;; amdgpu-corpus repo=pytorch/pytorch kind=compiled arch=gfx1250 opt=O3
	.amdgcn_target "amdgcn-amd-amdhsa--gfx1250"
	.amdhsa_code_object_version 6
	.text
	.p2align	2                               ; -- Begin function _ZN2at6native25elementwise_kernel_helperILb0EZZZNS0_12_GLOBAL__N_130modified_bessel_i1_kernel_cudaERNS_18TensorIteratorBaseEENKUlvE_clEvENKUlvE_clEvEUldE_NS0_6memory8policies11unroll_baseILi256ESt5arrayIPcLm2EE23TrivialOffsetCalculatorILi1EjESF_NS8_15LoadWithoutCastENS8_16StoreWithoutCastELi4ELi1EEEEEvT0_T1_
	.type	_ZN2at6native25elementwise_kernel_helperILb0EZZZNS0_12_GLOBAL__N_130modified_bessel_i1_kernel_cudaERNS_18TensorIteratorBaseEENKUlvE_clEvENKUlvE_clEvEUldE_NS0_6memory8policies11unroll_baseILi256ESt5arrayIPcLm2EE23TrivialOffsetCalculatorILi1EjESF_NS8_15LoadWithoutCastENS8_16StoreWithoutCastELi4ELi1EEEEEvT0_T1_,@function
_ZN2at6native25elementwise_kernel_helperILb0EZZZNS0_12_GLOBAL__N_130modified_bessel_i1_kernel_cudaERNS_18TensorIteratorBaseEENKUlvE_clEvENKUlvE_clEvEUldE_NS0_6memory8policies11unroll_baseILi256ESt5arrayIPcLm2EE23TrivialOffsetCalculatorILi1EjESF_NS8_15LoadWithoutCastENS8_16StoreWithoutCastELi4ELi1EEEEEvT0_T1_: ; @_ZN2at6native25elementwise_kernel_helperILb0EZZZNS0_12_GLOBAL__N_130modified_bessel_i1_kernel_cudaERNS_18TensorIteratorBaseEENKUlvE_clEvENKUlvE_clEvEUldE_NS0_6memory8policies11unroll_baseILi256ESt5arrayIPcLm2EE23TrivialOffsetCalculatorILi1EjESF_NS8_15LoadWithoutCastENS8_16StoreWithoutCastELi4ELi1EEEEEvT0_T1_
; %bb.0:
	s_wait_loadcnt_dscnt 0x0
	s_wait_kmcnt 0x0
	s_bfe_u32 s0, ttmp6, 0x4000c
	s_and_b32 s1, ttmp6, 15
	s_add_co_i32 s0, s0, 1
	s_getreg_b32 s2, hwreg(HW_REG_IB_STS2, 6, 4)
	s_mul_i32 s0, ttmp9, s0
	v_and_b32_e32 v5, 0x3ff, v31
	s_add_co_i32 s1, s1, s0
	s_cmp_eq_u32 s2, 0
	v_mov_b64_e32 v[18:19], 0
	s_cselect_b32 s0, ttmp9, s1
	v_mov_b64_e32 v[20:21], 0
	s_lshl_b32 s2, s0, 10
	v_cmp_lt_i32_e64 s0, v5, v4
	v_dual_mov_b32 v7, v5 :: v_dual_bitop2_b32 v6, s2, v5 bitop3:0x54
	v_add_nc_u32_e32 v24, 0x100, v5
	s_and_saveexec_b32 s1, s0
	s_cbranch_execz .LBB0_2
; %bb.1:
	v_mov_b32_e32 v7, 0
	s_delay_alu instid0(VALU_DEP_1)
	v_lshl_add_u64 v[8:9], v[6:7], 3, v[2:3]
	v_add_nc_u32_e32 v7, 0x100, v5
	flat_load_b64 v[20:21], v[8:9]
.LBB0_2:
	s_wait_xcnt 0x0
	s_or_b32 exec_lo, exec_lo, s1
	s_delay_alu instid0(SALU_CYCLE_1)
	s_mov_b32 s1, exec_lo
	v_cmpx_lt_i32_e64 v7, v4
	s_cbranch_execz .LBB0_4
; %bb.3:
	v_dual_mov_b32 v9, 0 :: v_dual_add_nc_u32 v8, s2, v7
	v_add_nc_u32_e32 v7, 0x100, v7
	s_delay_alu instid0(VALU_DEP_2)
	v_lshl_add_u64 v[8:9], v[8:9], 3, v[2:3]
	flat_load_b64 v[18:19], v[8:9]
.LBB0_4:
	s_wait_xcnt 0x0
	s_or_b32 exec_lo, exec_lo, s1
	v_mov_b64_e32 v[8:9], 0
	v_mov_b64_e32 v[10:11], 0
	s_mov_b32 s1, exec_lo
	v_cmpx_lt_i32_e64 v7, v4
	s_cbranch_execz .LBB0_6
; %bb.5:
	v_dual_mov_b32 v11, 0 :: v_dual_add_nc_u32 v10, s2, v7
	v_add_nc_u32_e32 v7, 0x100, v7
	s_delay_alu instid0(VALU_DEP_2)
	v_lshl_add_u64 v[10:11], v[10:11], 3, v[2:3]
	flat_load_b64 v[10:11], v[10:11]
.LBB0_6:
	s_wait_xcnt 0x0
	s_or_b32 exec_lo, exec_lo, s1
	s_delay_alu instid0(SALU_CYCLE_1)
	s_mov_b32 s1, exec_lo
	v_cmpx_lt_i32_e64 v7, v4
	s_cbranch_execz .LBB0_8
; %bb.7:
	v_dual_mov_b32 v9, 0 :: v_dual_add_nc_u32 v8, s2, v7
	s_delay_alu instid0(VALU_DEP_1)
	v_lshl_add_u64 v[2:3], v[8:9], 3, v[2:3]
	flat_load_b64 v[8:9], v[2:3]
.LBB0_8:
	s_wait_xcnt 0x0
	s_or_b32 exec_lo, exec_lo, s1
	v_mov_b32_e32 v2, 0
	s_delay_alu instid0(VALU_DEP_1)
	v_dual_mov_b32 v3, v2 :: v_dual_mov_b32 v16, v2
	v_dual_mov_b32 v17, v2 :: v_dual_mov_b32 v14, v2
	v_dual_mov_b32 v15, v2 :: v_dual_mov_b32 v12, v2
	v_mov_b32_e32 v13, v2
	s_and_saveexec_b32 s3, s0
	s_cbranch_execz .LBB0_22
; %bb.9:
	s_wait_loadcnt_dscnt 0x0
	v_cmp_ge_f64_e64 s1, 0x40200000, |v[20:21]|
                                        ; implicit-def: $vgpr2_vgpr3
	s_and_saveexec_b32 s4, s1
	s_delay_alu instid0(SALU_CYCLE_1)
	s_xor_b32 s1, exec_lo, s4
	s_cbranch_execz .LBB0_15
; %bb.10:
	v_fma_f64 v[2:3], |v[20:21]|, 0.5, -2.0
	s_mov_b64 s[4:5], 0x3c499f2a0c3c4014
	s_delay_alu instid0(VALU_DEP_1) | instid1(SALU_CYCLE_1)
	v_fmaak_f64 v[12:13], s[4:5], v[2:3], 0xbc7857d0c38a0576
	s_mov_b64 s[4:5], 0x3ff71547652b82fe
	s_delay_alu instid0(SALU_CYCLE_1) | instskip(SKIP_1) | instid1(VALU_DEP_2)
	v_mul_f64_e64 v[16:17], |v[20:21]|, s[4:5]
	s_mov_b64 s[4:5], 0xbfe62e42fefa39ef
	v_fmaak_f64 v[14:15], v[2:3], v[12:13], 0xbc499f2a0c3c4014
	s_delay_alu instid0(VALU_DEP_1) | instskip(NEXT) | instid1(VALU_DEP_3)
	v_add_f64_e32 v[14:15], 0x3ca663e3e593bfac, v[14:15]
	v_rndne_f64_e32 v[16:17], v[16:17]
	s_delay_alu instid0(VALU_DEP_2) | instskip(NEXT) | instid1(VALU_DEP_2)
	v_fma_f64 v[12:13], v[2:3], v[14:15], -v[12:13]
	v_fma_f64 v[22:23], v[16:17], s[4:5], |v[20:21]|
	s_mov_b64 s[4:5], 0x3e5ade156a5dcb37
	v_cvt_i32_f64_e32 v7, v[16:17]
	s_delay_alu instid0(VALU_DEP_3) | instskip(NEXT) | instid1(VALU_DEP_1)
	v_add_f64_e32 v[12:13], 0xbcd3eaaa7e0d1573, v[12:13]
	v_fma_f64 v[14:15], v[2:3], v[12:13], -v[14:15]
	s_delay_alu instid0(VALU_DEP_1) | instskip(NEXT) | instid1(VALU_DEP_1)
	v_add_f64_e32 v[14:15], 0x3d011d7f0615290c, v[14:15]
	v_fma_f64 v[12:13], v[2:3], v[14:15], -v[12:13]
	s_delay_alu instid0(VALU_DEP_1) | instskip(NEXT) | instid1(VALU_DEP_1)
	;; [unrolled: 3-line block ×24, first 2 shown]
	v_add_f64_e32 v[12:13], 0xbfc694d10469192e, v[12:13]
	v_fma_f64 v[2:3], v[2:3], v[12:13], -v[14:15]
	v_fmamk_f64 v[12:13], v[16:17], 0xbc7abc9e3b39803f, v[22:23]
	s_delay_alu instid0(VALU_DEP_1) | instskip(SKIP_1) | instid1(VALU_DEP_1)
	v_fmaak_f64 v[22:23], s[4:5], v[12:13], 0x3e928af3fca7ab0c
	s_mov_b32 s4, exec_lo
	v_fmaak_f64 v[22:23], v[12:13], v[22:23], 0x3ec71dee623fde64
	s_delay_alu instid0(VALU_DEP_1) | instskip(NEXT) | instid1(VALU_DEP_1)
	v_fmaak_f64 v[22:23], v[12:13], v[22:23], 0x3efa01997c89e6b0
	v_fmaak_f64 v[22:23], v[12:13], v[22:23], 0x3f2a01a014761f6e
	v_add_f64_e32 v[2:3], 0x3fd02a63724a7ffa, v[2:3]
	s_delay_alu instid0(VALU_DEP_2) | instskip(NEXT) | instid1(VALU_DEP_2)
	v_fmaak_f64 v[22:23], v[12:13], v[22:23], 0x3f56c16c1852b7b0
	v_add_f64_e64 v[2:3], v[2:3], -v[14:15]
	s_delay_alu instid0(VALU_DEP_2) | instskip(NEXT) | instid1(VALU_DEP_1)
	v_fmaak_f64 v[14:15], v[12:13], v[22:23], 0x3f81111111122322
	v_fmaak_f64 v[14:15], v[12:13], v[14:15], 0x3fa55555555502a1
	s_delay_alu instid0(VALU_DEP_1) | instskip(NEXT) | instid1(VALU_DEP_1)
	v_fmaak_f64 v[14:15], v[12:13], v[14:15], 0x3fc5555555555511
	v_fmaak_f64 v[14:15], v[12:13], v[14:15], 0x3fe000000000000b
	s_delay_alu instid0(VALU_DEP_1) | instskip(SKIP_1) | instid1(VALU_DEP_2)
	v_fma_f64 v[14:15], v[12:13], v[14:15], 1.0
	v_mul_f64_e32 v[2:3], 0.5, v[2:3]
	v_fma_f64 v[14:15], v[12:13], v[14:15], 1.0
	s_delay_alu instid0(VALU_DEP_2)
	v_mul_f64_e64 v[12:13], |v[20:21]|, v[2:3]
                                        ; implicit-def: $vgpr2_vgpr3
	v_cmpx_ngt_f64_e32 0, v[20:21]
	s_xor_b32 s4, exec_lo, s4
	s_cbranch_execz .LBB0_12
; %bb.11:
	s_delay_alu instid0(VALU_DEP_3) | instskip(SKIP_1) | instid1(VALU_DEP_2)
	v_ldexp_f64 v[2:3], v[14:15], v7
	v_cmp_nlt_f64_e64 vcc_lo, 0x40900000, |v[20:21]|
                                        ; implicit-def: $vgpr14_vgpr15
                                        ; implicit-def: $vgpr7
                                        ; implicit-def: $vgpr20_vgpr21
	v_cndmask_b32_e32 v3, 0x7ff00000, v3, vcc_lo
	s_delay_alu instid0(VALU_DEP_3) | instskip(NEXT) | instid1(VALU_DEP_1)
	v_cndmask_b32_e32 v2, 0, v2, vcc_lo
	v_mul_f64_e32 v[2:3], v[2:3], v[12:13]
                                        ; implicit-def: $vgpr12_vgpr13
.LBB0_12:
	s_and_not1_saveexec_b32 s4, s4
	s_cbranch_execz .LBB0_14
; %bb.13:
	s_delay_alu instid0(VALU_DEP_3) | instskip(SKIP_1) | instid1(VALU_DEP_2)
	v_ldexp_f64 v[2:3], -v[14:15], v7
	v_cmp_nlt_f64_e64 vcc_lo, 0x40900000, |v[20:21]|
	v_cndmask_b32_e32 v3, 0xfff00000, v3, vcc_lo
	s_delay_alu instid0(VALU_DEP_3) | instskip(NEXT) | instid1(VALU_DEP_1)
	v_cndmask_b32_e32 v2, 0, v2, vcc_lo
	v_mul_f64_e32 v[2:3], v[2:3], v[12:13]
.LBB0_14:
	s_or_b32 exec_lo, exec_lo, s4
                                        ; implicit-def: $vgpr20_vgpr21
.LBB0_15:
	s_and_not1_saveexec_b32 s4, s1
	s_cbranch_execz .LBB0_21
; %bb.16:
	v_and_b32_e32 v3, 0x7fffffff, v21
	v_mov_b32_e32 v2, v20
	s_mov_b64 s[6:7], 0x3c61556db352e8e6
	v_cmp_ngt_f64_e64 s1, 0, v[20:21]
	s_delay_alu instid0(VALU_DEP_2) | instskip(SKIP_1) | instid1(VALU_DEP_2)
	v_div_scale_f64 v[12:13], null, v[2:3], v[2:3], 0x40400000
	v_div_scale_f64 v[2:3], vcc_lo, 0x40400000, v[2:3], 0x40400000
	v_rcp_f64_e32 v[14:15], v[12:13]
	v_nop
	s_delay_alu instid0(TRANS32_DEP_1) | instskip(NEXT) | instid1(VALU_DEP_1)
	v_fma_f64 v[16:17], -v[12:13], v[14:15], 1.0
	v_fmac_f64_e32 v[14:15], v[14:15], v[16:17]
	s_delay_alu instid0(VALU_DEP_1) | instskip(NEXT) | instid1(VALU_DEP_1)
	v_fma_f64 v[16:17], -v[12:13], v[14:15], 1.0
	v_fmac_f64_e32 v[14:15], v[14:15], v[16:17]
	s_delay_alu instid0(VALU_DEP_1) | instskip(NEXT) | instid1(VALU_DEP_1)
	v_mul_f64_e32 v[16:17], v[2:3], v[14:15]
	v_fma_f64 v[2:3], -v[12:13], v[16:17], v[2:3]
	s_delay_alu instid0(VALU_DEP_1) | instskip(SKIP_1) | instid1(VALU_DEP_2)
	v_div_fmas_f64 v[2:3], v[2:3], v[14:15], v[16:17]
	v_cmp_nlt_f64_e64 vcc_lo, 0x40900000, |v[20:21]|
	v_div_fixup_f64 v[2:3], v[2:3], |v[20:21]|, 0x40400000
	s_delay_alu instid0(VALU_DEP_1) | instskip(NEXT) | instid1(VALU_DEP_1)
	v_add_f64_e32 v[2:3], -2.0, v[2:3]
	v_fmaak_f64 v[12:13], s[6:7], v[2:3], 0x3c545b8aea87b950
	s_mov_b64 s[6:7], 0x3ff71547652b82fe
	s_delay_alu instid0(SALU_CYCLE_1) | instskip(SKIP_1) | instid1(VALU_DEP_2)
	v_mul_f64_e64 v[16:17], |v[20:21]|, s[6:7]
	s_mov_b64 s[6:7], 0xbfe62e42fefa39ef
	v_fmaak_f64 v[14:15], v[2:3], v[12:13], 0xbc61556db352e8e6
	s_delay_alu instid0(VALU_DEP_1) | instskip(NEXT) | instid1(VALU_DEP_3)
	v_add_f64_e32 v[14:15], 0xbc8acea3b2532277, v[14:15]
	v_rndne_f64_e32 v[16:17], v[16:17]
	s_delay_alu instid0(VALU_DEP_2) | instskip(NEXT) | instid1(VALU_DEP_2)
	v_fma_f64 v[12:13], v[2:3], v[14:15], -v[12:13]
	v_fma_f64 v[22:23], v[16:17], s[6:7], |v[20:21]|
	s_mov_b64 s[6:7], 0x3e5ade156a5dcb37
	v_cvt_i32_f64_e32 v7, v[16:17]
	s_delay_alu instid0(VALU_DEP_3) | instskip(NEXT) | instid1(VALU_DEP_3)
	v_add_f64_e32 v[12:13], 0xbc82806c9c773320, v[12:13]
	v_fmamk_f64 v[22:23], v[16:17], 0xbc7abc9e3b39803f, v[22:23]
	s_delay_alu instid0(VALU_DEP_1) | instskip(NEXT) | instid1(VALU_DEP_3)
	v_fmaak_f64 v[26:27], s[6:7], v[22:23], 0x3e928af3fca7ab0c
	v_fma_f64 v[14:15], v[2:3], v[12:13], -v[14:15]
	s_delay_alu instid0(VALU_DEP_2) | instskip(NEXT) | instid1(VALU_DEP_1)
	v_fmaak_f64 v[26:27], v[22:23], v[26:27], 0x3ec71dee623fde64
	v_fmaak_f64 v[26:27], v[22:23], v[26:27], 0x3efa01997c89e6b0
	s_delay_alu instid0(VALU_DEP_1) | instskip(NEXT) | instid1(VALU_DEP_1)
	v_fmaak_f64 v[26:27], v[22:23], v[26:27], 0x3f2a01a014761f6e
	v_fmaak_f64 v[26:27], v[22:23], v[26:27], 0x3f56c16c1852b7b0
	s_delay_alu instid0(VALU_DEP_1) | instskip(SKIP_1) | instid1(VALU_DEP_2)
	v_fmaak_f64 v[26:27], v[22:23], v[26:27], 0x3f81111111122322
	v_add_f64_e32 v[14:15], 0x3cb55915fceb588a, v[14:15]
	v_fmaak_f64 v[26:27], v[22:23], v[26:27], 0x3fa55555555502a1
	s_delay_alu instid0(VALU_DEP_1) | instskip(NEXT) | instid1(VALU_DEP_1)
	v_fmaak_f64 v[26:27], v[22:23], v[26:27], 0x3fc5555555555511
	v_fmaak_f64 v[26:27], v[22:23], v[26:27], 0x3fe000000000000b
	s_delay_alu instid0(VALU_DEP_1) | instskip(SKIP_1) | instid1(VALU_DEP_1)
	v_fma_f64 v[26:27], v[22:23], v[26:27], 1.0
	v_fma_f64 v[12:13], v[2:3], v[14:15], -v[12:13]
	v_add_f64_e32 v[12:13], 0x3cb7d68e5f04a2d1, v[12:13]
	s_delay_alu instid0(VALU_DEP_1) | instskip(NEXT) | instid1(VALU_DEP_1)
	v_fma_f64 v[14:15], v[2:3], v[12:13], -v[14:15]
	v_add_f64_e32 v[14:15], 0xbce0efcd8bc4d22a, v[14:15]
	s_delay_alu instid0(VALU_DEP_1) | instskip(NEXT) | instid1(VALU_DEP_1)
	;; [unrolled: 3-line block ×18, first 2 shown]
	v_fma_f64 v[12:13], v[2:3], v[14:15], -v[12:13]
	v_add_f64_e32 v[12:13], 0xbf83fda053fcdb4c, v[12:13]
	s_delay_alu instid0(VALU_DEP_1) | instskip(SKIP_1) | instid1(VALU_DEP_2)
	v_fma_f64 v[2:3], v[2:3], v[12:13], -v[14:15]
	v_fma_f64 v[12:13], v[22:23], v[26:27], 1.0
	v_add_f64_e32 v[2:3], 0x3fe8ea18b55b1514, v[2:3]
	s_delay_alu instid0(VALU_DEP_2) | instskip(NEXT) | instid1(VALU_DEP_2)
	v_ldexp_f64 v[12:13], v[12:13], v7
	v_add_f64_e64 v[14:15], v[2:3], -v[14:15]
	s_delay_alu instid0(VALU_DEP_2) | instskip(NEXT) | instid1(VALU_DEP_3)
	v_cndmask_b32_e32 v13, 0x7ff00000, v13, vcc_lo
	v_cndmask_b32_e32 v12, 0, v12, vcc_lo
                                        ; implicit-def: $vgpr2_vgpr3
	s_and_saveexec_b32 s5, s1
	s_delay_alu instid0(SALU_CYCLE_1)
	s_xor_b32 s1, exec_lo, s5
	s_cbranch_execz .LBB0_18
; %bb.17:
	v_cmp_gt_f64_e64 s5, 0x10000000, |v[20:21]|
	s_delay_alu instid0(VALU_DEP_4) | instskip(NEXT) | instid1(VALU_DEP_2)
	v_mul_f64_e32 v[14:15], 0.5, v[14:15]
	v_cndmask_b32_e64 v2, 0, 0x100, s5
	v_cndmask_b32_e64 v7, 0, 0xffffff80, s5
	s_delay_alu instid0(VALU_DEP_3) | instskip(NEXT) | instid1(VALU_DEP_3)
	v_mul_f64_e32 v[12:13], v[12:13], v[14:15]
	v_ldexp_f64 v[2:3], |v[20:21]|, v2
	s_delay_alu instid0(VALU_DEP_1) | instskip(SKIP_1) | instid1(TRANS32_DEP_1)
	v_rsq_f64_e32 v[16:17], v[2:3]
	v_cmp_class_f64_e64 vcc_lo, v[2:3], 0x260
	v_mul_f64_e32 v[20:21], v[2:3], v[16:17]
	v_mul_f64_e32 v[16:17], 0.5, v[16:17]
	s_delay_alu instid0(VALU_DEP_1) | instskip(NEXT) | instid1(VALU_DEP_1)
	v_fma_f64 v[22:23], -v[16:17], v[20:21], 0.5
	v_fmac_f64_e32 v[20:21], v[20:21], v[22:23]
	v_fmac_f64_e32 v[16:17], v[16:17], v[22:23]
	s_delay_alu instid0(VALU_DEP_2) | instskip(NEXT) | instid1(VALU_DEP_1)
	v_fma_f64 v[22:23], -v[20:21], v[20:21], v[2:3]
	v_fmac_f64_e32 v[20:21], v[22:23], v[16:17]
	s_delay_alu instid0(VALU_DEP_1) | instskip(NEXT) | instid1(VALU_DEP_1)
	v_fma_f64 v[22:23], -v[20:21], v[20:21], v[2:3]
	v_fmac_f64_e32 v[20:21], v[22:23], v[16:17]
	s_delay_alu instid0(VALU_DEP_1) | instskip(NEXT) | instid1(VALU_DEP_1)
	v_ldexp_f64 v[16:17], v[20:21], v7
	v_dual_cndmask_b32 v3, v17, v3 :: v_dual_cndmask_b32 v2, v16, v2
	s_delay_alu instid0(VALU_DEP_1) | instskip(NEXT) | instid1(VALU_DEP_1)
	v_div_scale_f64 v[14:15], null, v[2:3], v[2:3], v[12:13]
	v_rcp_f64_e32 v[16:17], v[14:15]
	v_nop
	s_delay_alu instid0(TRANS32_DEP_1) | instskip(NEXT) | instid1(VALU_DEP_1)
	v_fma_f64 v[20:21], -v[14:15], v[16:17], 1.0
	v_fmac_f64_e32 v[16:17], v[16:17], v[20:21]
	s_delay_alu instid0(VALU_DEP_1) | instskip(NEXT) | instid1(VALU_DEP_1)
	v_fma_f64 v[20:21], -v[14:15], v[16:17], 1.0
	v_fmac_f64_e32 v[16:17], v[16:17], v[20:21]
	v_div_scale_f64 v[20:21], vcc_lo, v[12:13], v[2:3], v[12:13]
	s_delay_alu instid0(VALU_DEP_1) | instskip(NEXT) | instid1(VALU_DEP_1)
	v_mul_f64_e32 v[22:23], v[20:21], v[16:17]
	v_fma_f64 v[14:15], -v[14:15], v[22:23], v[20:21]
                                        ; implicit-def: $vgpr20_vgpr21
	s_delay_alu instid0(VALU_DEP_1) | instskip(NEXT) | instid1(VALU_DEP_1)
	v_div_fmas_f64 v[14:15], v[14:15], v[16:17], v[22:23]
	v_div_fixup_f64 v[2:3], v[14:15], v[2:3], v[12:13]
                                        ; implicit-def: $vgpr14_vgpr15
                                        ; implicit-def: $vgpr12_vgpr13
.LBB0_18:
	s_and_not1_saveexec_b32 s1, s1
	s_cbranch_execz .LBB0_20
; %bb.19:
	v_cmp_gt_f64_e64 s5, 0x10000000, |v[20:21]|
	s_delay_alu instid0(VALU_DEP_4) | instskip(NEXT) | instid1(VALU_DEP_2)
	v_mul_f64_e32 v[14:15], -0.5, v[14:15]
	v_cndmask_b32_e64 v2, 0, 0x100, s5
	v_cndmask_b32_e64 v7, 0, 0xffffff80, s5
	s_delay_alu instid0(VALU_DEP_3) | instskip(NEXT) | instid1(VALU_DEP_3)
	v_mul_f64_e32 v[12:13], v[12:13], v[14:15]
	v_ldexp_f64 v[2:3], |v[20:21]|, v2
	s_delay_alu instid0(VALU_DEP_1) | instskip(SKIP_1) | instid1(TRANS32_DEP_1)
	v_rsq_f64_e32 v[16:17], v[2:3]
	v_cmp_class_f64_e64 vcc_lo, v[2:3], 0x260
	v_mul_f64_e32 v[20:21], v[2:3], v[16:17]
	v_mul_f64_e32 v[16:17], 0.5, v[16:17]
	s_delay_alu instid0(VALU_DEP_1) | instskip(NEXT) | instid1(VALU_DEP_1)
	v_fma_f64 v[22:23], -v[16:17], v[20:21], 0.5
	v_fmac_f64_e32 v[20:21], v[20:21], v[22:23]
	v_fmac_f64_e32 v[16:17], v[16:17], v[22:23]
	s_delay_alu instid0(VALU_DEP_2) | instskip(NEXT) | instid1(VALU_DEP_1)
	v_fma_f64 v[22:23], -v[20:21], v[20:21], v[2:3]
	v_fmac_f64_e32 v[20:21], v[22:23], v[16:17]
	s_delay_alu instid0(VALU_DEP_1) | instskip(NEXT) | instid1(VALU_DEP_1)
	v_fma_f64 v[22:23], -v[20:21], v[20:21], v[2:3]
	v_fmac_f64_e32 v[20:21], v[22:23], v[16:17]
	s_delay_alu instid0(VALU_DEP_1) | instskip(NEXT) | instid1(VALU_DEP_1)
	v_ldexp_f64 v[16:17], v[20:21], v7
	v_dual_cndmask_b32 v3, v17, v3 :: v_dual_cndmask_b32 v2, v16, v2
	s_delay_alu instid0(VALU_DEP_1) | instskip(NEXT) | instid1(VALU_DEP_1)
	v_div_scale_f64 v[14:15], null, v[2:3], v[2:3], v[12:13]
	v_rcp_f64_e32 v[16:17], v[14:15]
	v_nop
	s_delay_alu instid0(TRANS32_DEP_1) | instskip(NEXT) | instid1(VALU_DEP_1)
	v_fma_f64 v[20:21], -v[14:15], v[16:17], 1.0
	v_fmac_f64_e32 v[16:17], v[16:17], v[20:21]
	s_delay_alu instid0(VALU_DEP_1) | instskip(NEXT) | instid1(VALU_DEP_1)
	v_fma_f64 v[20:21], -v[14:15], v[16:17], 1.0
	v_fmac_f64_e32 v[16:17], v[16:17], v[20:21]
	v_div_scale_f64 v[20:21], vcc_lo, v[12:13], v[2:3], v[12:13]
	s_delay_alu instid0(VALU_DEP_1) | instskip(NEXT) | instid1(VALU_DEP_1)
	v_mul_f64_e32 v[22:23], v[20:21], v[16:17]
	v_fma_f64 v[14:15], -v[14:15], v[22:23], v[20:21]
	s_delay_alu instid0(VALU_DEP_1) | instskip(NEXT) | instid1(VALU_DEP_1)
	v_div_fmas_f64 v[14:15], v[14:15], v[16:17], v[22:23]
	v_div_fixup_f64 v[2:3], v[14:15], v[2:3], v[12:13]
.LBB0_20:
	s_or_b32 exec_lo, exec_lo, s1
.LBB0_21:
	s_delay_alu instid0(SALU_CYCLE_1) | instskip(SKIP_1) | instid1(VALU_DEP_1)
	s_or_b32 exec_lo, exec_lo, s4
	v_mov_b32_e32 v16, 0
	v_dual_mov_b32 v17, v16 :: v_dual_mov_b32 v14, v16
	v_dual_mov_b32 v15, v16 :: v_dual_mov_b32 v12, v16
	v_mov_b32_e32 v13, v16
.LBB0_22:
	s_or_b32 exec_lo, exec_lo, s3
	s_delay_alu instid0(SALU_CYCLE_1)
	s_mov_b32 s3, exec_lo
	v_cmpx_lt_i32_e64 v24, v4
	s_cbranch_execz .LBB0_36
; %bb.23:
	s_wait_loadcnt_dscnt 0x0
	v_cmp_ge_f64_e64 s1, 0x40200000, |v[18:19]|
	s_and_saveexec_b32 s4, s1
	s_delay_alu instid0(SALU_CYCLE_1)
	s_xor_b32 s1, exec_lo, s4
                                        ; implicit-def: $vgpr16_vgpr17
	s_cbranch_execz .LBB0_29
; %bb.24:
	v_fma_f64 v[16:17], |v[18:19]|, 0.5, -2.0
	s_mov_b64 s[4:5], 0x3c499f2a0c3c4014
	s_delay_alu instid0(VALU_DEP_1) | instid1(SALU_CYCLE_1)
	v_fmaak_f64 v[20:21], s[4:5], v[16:17], 0xbc7857d0c38a0576
	s_mov_b64 s[4:5], 0x3ff71547652b82fe
	s_delay_alu instid0(SALU_CYCLE_1) | instskip(SKIP_1) | instid1(VALU_DEP_2)
	v_mul_f64_e64 v[26:27], |v[18:19]|, s[4:5]
	s_mov_b64 s[4:5], 0xbfe62e42fefa39ef
	v_fmaak_f64 v[22:23], v[16:17], v[20:21], 0xbc499f2a0c3c4014
	s_delay_alu instid0(VALU_DEP_1) | instskip(NEXT) | instid1(VALU_DEP_3)
	v_add_f64_e32 v[22:23], 0x3ca663e3e593bfac, v[22:23]
	v_rndne_f64_e32 v[26:27], v[26:27]
	s_delay_alu instid0(VALU_DEP_2) | instskip(NEXT) | instid1(VALU_DEP_2)
	v_fma_f64 v[20:21], v[16:17], v[22:23], -v[20:21]
	v_fma_f64 v[28:29], v[26:27], s[4:5], |v[18:19]|
	s_mov_b64 s[4:5], 0x3e5ade156a5dcb37
	v_cvt_i32_f64_e32 v7, v[26:27]
	s_delay_alu instid0(VALU_DEP_3) | instskip(NEXT) | instid1(VALU_DEP_1)
	v_add_f64_e32 v[20:21], 0xbcd3eaaa7e0d1573, v[20:21]
	v_fma_f64 v[22:23], v[16:17], v[20:21], -v[22:23]
	s_delay_alu instid0(VALU_DEP_1) | instskip(NEXT) | instid1(VALU_DEP_1)
	v_add_f64_e32 v[22:23], 0x3d011d7f0615290c, v[22:23]
	v_fma_f64 v[20:21], v[16:17], v[22:23], -v[20:21]
	s_delay_alu instid0(VALU_DEP_1) | instskip(NEXT) | instid1(VALU_DEP_1)
	;; [unrolled: 3-line block ×24, first 2 shown]
	v_add_f64_e32 v[20:21], 0xbfc694d10469192e, v[20:21]
	v_fma_f64 v[16:17], v[16:17], v[20:21], -v[22:23]
	v_fmamk_f64 v[20:21], v[26:27], 0xbc7abc9e3b39803f, v[28:29]
	s_delay_alu instid0(VALU_DEP_1) | instskip(SKIP_1) | instid1(VALU_DEP_1)
	v_fmaak_f64 v[28:29], s[4:5], v[20:21], 0x3e928af3fca7ab0c
	s_mov_b32 s4, exec_lo
	v_fmaak_f64 v[28:29], v[20:21], v[28:29], 0x3ec71dee623fde64
	s_delay_alu instid0(VALU_DEP_1) | instskip(NEXT) | instid1(VALU_DEP_1)
	v_fmaak_f64 v[28:29], v[20:21], v[28:29], 0x3efa01997c89e6b0
	v_fmaak_f64 v[28:29], v[20:21], v[28:29], 0x3f2a01a014761f6e
	v_add_f64_e32 v[16:17], 0x3fd02a63724a7ffa, v[16:17]
	s_delay_alu instid0(VALU_DEP_2) | instskip(NEXT) | instid1(VALU_DEP_2)
	v_fmaak_f64 v[28:29], v[20:21], v[28:29], 0x3f56c16c1852b7b0
	v_add_f64_e64 v[16:17], v[16:17], -v[22:23]
	s_delay_alu instid0(VALU_DEP_2) | instskip(NEXT) | instid1(VALU_DEP_1)
	v_fmaak_f64 v[22:23], v[20:21], v[28:29], 0x3f81111111122322
	v_fmaak_f64 v[22:23], v[20:21], v[22:23], 0x3fa55555555502a1
	s_delay_alu instid0(VALU_DEP_1) | instskip(NEXT) | instid1(VALU_DEP_1)
	v_fmaak_f64 v[22:23], v[20:21], v[22:23], 0x3fc5555555555511
	v_fmaak_f64 v[22:23], v[20:21], v[22:23], 0x3fe000000000000b
	s_delay_alu instid0(VALU_DEP_1) | instskip(SKIP_1) | instid1(VALU_DEP_2)
	v_fma_f64 v[22:23], v[20:21], v[22:23], 1.0
	v_mul_f64_e32 v[16:17], 0.5, v[16:17]
	v_fma_f64 v[22:23], v[20:21], v[22:23], 1.0
	s_delay_alu instid0(VALU_DEP_2)
	v_mul_f64_e64 v[20:21], |v[18:19]|, v[16:17]
	v_cmpx_ngt_f64_e32 0, v[18:19]
	s_xor_b32 s4, exec_lo, s4
                                        ; implicit-def: $vgpr16_vgpr17
	s_cbranch_execz .LBB0_26
; %bb.25:
	s_delay_alu instid0(VALU_DEP_3) | instskip(SKIP_1) | instid1(VALU_DEP_2)
	v_ldexp_f64 v[16:17], v[22:23], v7
	v_cmp_nlt_f64_e64 vcc_lo, 0x40900000, |v[18:19]|
                                        ; implicit-def: $vgpr22_vgpr23
                                        ; implicit-def: $vgpr7
                                        ; implicit-def: $vgpr18_vgpr19
	v_cndmask_b32_e32 v17, 0x7ff00000, v17, vcc_lo
	s_delay_alu instid0(VALU_DEP_3) | instskip(NEXT) | instid1(VALU_DEP_1)
	v_cndmask_b32_e32 v16, 0, v16, vcc_lo
	v_mul_f64_e32 v[16:17], v[16:17], v[20:21]
                                        ; implicit-def: $vgpr20_vgpr21
.LBB0_26:
	s_and_not1_saveexec_b32 s4, s4
	s_cbranch_execz .LBB0_28
; %bb.27:
	s_delay_alu instid0(VALU_DEP_3) | instskip(SKIP_1) | instid1(VALU_DEP_2)
	v_ldexp_f64 v[16:17], -v[22:23], v7
	v_cmp_nlt_f64_e64 vcc_lo, 0x40900000, |v[18:19]|
	v_cndmask_b32_e32 v17, 0xfff00000, v17, vcc_lo
	s_delay_alu instid0(VALU_DEP_3) | instskip(NEXT) | instid1(VALU_DEP_1)
	v_cndmask_b32_e32 v16, 0, v16, vcc_lo
	v_mul_f64_e32 v[16:17], v[16:17], v[20:21]
.LBB0_28:
	s_or_b32 exec_lo, exec_lo, s4
                                        ; implicit-def: $vgpr18_vgpr19
.LBB0_29:
	s_and_not1_saveexec_b32 s4, s1
	s_cbranch_execz .LBB0_35
; %bb.30:
	v_and_b32_e32 v17, 0x7fffffff, v19
	v_mov_b32_e32 v16, v18
	s_mov_b64 s[6:7], 0x3c61556db352e8e6
	v_cmp_ngt_f64_e64 s1, 0, v[18:19]
	s_delay_alu instid0(VALU_DEP_2) | instskip(SKIP_1) | instid1(VALU_DEP_2)
	v_div_scale_f64 v[20:21], null, v[16:17], v[16:17], 0x40400000
	v_div_scale_f64 v[16:17], vcc_lo, 0x40400000, v[16:17], 0x40400000
	v_rcp_f64_e32 v[22:23], v[20:21]
	v_nop
	s_delay_alu instid0(TRANS32_DEP_1) | instskip(NEXT) | instid1(VALU_DEP_1)
	v_fma_f64 v[26:27], -v[20:21], v[22:23], 1.0
	v_fmac_f64_e32 v[22:23], v[22:23], v[26:27]
	s_delay_alu instid0(VALU_DEP_1) | instskip(NEXT) | instid1(VALU_DEP_1)
	v_fma_f64 v[26:27], -v[20:21], v[22:23], 1.0
	v_fmac_f64_e32 v[22:23], v[22:23], v[26:27]
	s_delay_alu instid0(VALU_DEP_1) | instskip(NEXT) | instid1(VALU_DEP_1)
	v_mul_f64_e32 v[26:27], v[16:17], v[22:23]
	v_fma_f64 v[16:17], -v[20:21], v[26:27], v[16:17]
	s_delay_alu instid0(VALU_DEP_1) | instskip(SKIP_1) | instid1(VALU_DEP_2)
	v_div_fmas_f64 v[16:17], v[16:17], v[22:23], v[26:27]
	v_cmp_nlt_f64_e64 vcc_lo, 0x40900000, |v[18:19]|
	v_div_fixup_f64 v[16:17], v[16:17], |v[18:19]|, 0x40400000
	s_delay_alu instid0(VALU_DEP_1) | instskip(NEXT) | instid1(VALU_DEP_1)
	v_add_f64_e32 v[16:17], -2.0, v[16:17]
	v_fmaak_f64 v[20:21], s[6:7], v[16:17], 0x3c545b8aea87b950
	s_mov_b64 s[6:7], 0x3ff71547652b82fe
	s_delay_alu instid0(SALU_CYCLE_1) | instskip(SKIP_1) | instid1(VALU_DEP_2)
	v_mul_f64_e64 v[26:27], |v[18:19]|, s[6:7]
	s_mov_b64 s[6:7], 0xbfe62e42fefa39ef
	v_fmaak_f64 v[22:23], v[16:17], v[20:21], 0xbc61556db352e8e6
	s_delay_alu instid0(VALU_DEP_1) | instskip(NEXT) | instid1(VALU_DEP_3)
	v_add_f64_e32 v[22:23], 0xbc8acea3b2532277, v[22:23]
	v_rndne_f64_e32 v[26:27], v[26:27]
	s_delay_alu instid0(VALU_DEP_2) | instskip(NEXT) | instid1(VALU_DEP_2)
	v_fma_f64 v[20:21], v[16:17], v[22:23], -v[20:21]
	v_fma_f64 v[28:29], v[26:27], s[6:7], |v[18:19]|
	s_mov_b64 s[6:7], 0x3e5ade156a5dcb37
	v_cvt_i32_f64_e32 v7, v[26:27]
	s_delay_alu instid0(VALU_DEP_3) | instskip(NEXT) | instid1(VALU_DEP_3)
	v_add_f64_e32 v[20:21], 0xbc82806c9c773320, v[20:21]
	v_fmamk_f64 v[28:29], v[26:27], 0xbc7abc9e3b39803f, v[28:29]
	s_delay_alu instid0(VALU_DEP_1) | instskip(NEXT) | instid1(VALU_DEP_3)
	v_fmaak_f64 v[30:31], s[6:7], v[28:29], 0x3e928af3fca7ab0c
	v_fma_f64 v[22:23], v[16:17], v[20:21], -v[22:23]
	s_delay_alu instid0(VALU_DEP_2) | instskip(NEXT) | instid1(VALU_DEP_1)
	v_fmaak_f64 v[30:31], v[28:29], v[30:31], 0x3ec71dee623fde64
	v_fmaak_f64 v[30:31], v[28:29], v[30:31], 0x3efa01997c89e6b0
	s_delay_alu instid0(VALU_DEP_1) | instskip(NEXT) | instid1(VALU_DEP_1)
	v_fmaak_f64 v[30:31], v[28:29], v[30:31], 0x3f2a01a014761f6e
	v_fmaak_f64 v[30:31], v[28:29], v[30:31], 0x3f56c16c1852b7b0
	s_delay_alu instid0(VALU_DEP_1) | instskip(SKIP_1) | instid1(VALU_DEP_2)
	v_fmaak_f64 v[30:31], v[28:29], v[30:31], 0x3f81111111122322
	v_add_f64_e32 v[22:23], 0x3cb55915fceb588a, v[22:23]
	v_fmaak_f64 v[30:31], v[28:29], v[30:31], 0x3fa55555555502a1
	s_delay_alu instid0(VALU_DEP_1) | instskip(NEXT) | instid1(VALU_DEP_1)
	v_fmaak_f64 v[30:31], v[28:29], v[30:31], 0x3fc5555555555511
	v_fmaak_f64 v[30:31], v[28:29], v[30:31], 0x3fe000000000000b
	s_delay_alu instid0(VALU_DEP_1) | instskip(SKIP_1) | instid1(VALU_DEP_1)
	v_fma_f64 v[30:31], v[28:29], v[30:31], 1.0
	v_fma_f64 v[20:21], v[16:17], v[22:23], -v[20:21]
	v_add_f64_e32 v[20:21], 0x3cb7d68e5f04a2d1, v[20:21]
	s_delay_alu instid0(VALU_DEP_1) | instskip(NEXT) | instid1(VALU_DEP_1)
	v_fma_f64 v[22:23], v[16:17], v[20:21], -v[22:23]
	v_add_f64_e32 v[22:23], 0xbce0efcd8bc4d22a, v[22:23]
	s_delay_alu instid0(VALU_DEP_1) | instskip(NEXT) | instid1(VALU_DEP_1)
	v_fma_f64 v[20:21], v[16:17], v[22:23], -v[20:21]
	v_add_f64_e32 v[20:21], 0xbcf12db5138afbc7, v[20:21]
	s_delay_alu instid0(VALU_DEP_1) | instskip(NEXT) | instid1(VALU_DEP_1)
	v_fma_f64 v[22:23], v[16:17], v[20:21], -v[22:23]
	v_add_f64_e32 v[22:23], 0x3d0776e1762d31e8, v[22:23]
	s_delay_alu instid0(VALU_DEP_1) | instskip(NEXT) | instid1(VALU_DEP_1)
	v_fma_f64 v[20:21], v[16:17], v[22:23], -v[20:21]
	v_add_f64_e32 v[20:21], 0x3d280d3c26b3281e, v[20:21]
	s_delay_alu instid0(VALU_DEP_1) | instskip(NEXT) | instid1(VALU_DEP_1)
	v_fma_f64 v[22:23], v[16:17], v[20:21], -v[22:23]
	v_add_f64_e32 v[22:23], 0xbd17a9482e6d22a0, v[22:23]
	s_delay_alu instid0(VALU_DEP_1) | instskip(NEXT) | instid1(VALU_DEP_1)
	v_fma_f64 v[20:21], v[16:17], v[22:23], -v[20:21]
	v_add_f64_e32 v[20:21], 0xbd5cbc458e73e255, v[20:21]
	s_delay_alu instid0(VALU_DEP_1) | instskip(NEXT) | instid1(VALU_DEP_1)
	v_fma_f64 v[22:23], v[16:17], v[20:21], -v[22:23]
	v_add_f64_e32 v[22:23], 0xbd6953e1076ab493, v[22:23]
	s_delay_alu instid0(VALU_DEP_1) | instskip(NEXT) | instid1(VALU_DEP_1)
	v_fma_f64 v[20:21], v[16:17], v[22:23], -v[20:21]
	v_add_f64_e32 v[20:21], 0x3d81e7d3f6439fa3, v[20:21]
	s_delay_alu instid0(VALU_DEP_1) | instskip(NEXT) | instid1(VALU_DEP_1)
	v_fma_f64 v[22:23], v[16:17], v[20:21], -v[22:23]
	v_add_f64_e32 v[22:23], 0x3daf101f653c457b, v[22:23]
	s_delay_alu instid0(VALU_DEP_1) | instskip(NEXT) | instid1(VALU_DEP_1)
	v_fma_f64 v[20:21], v[16:17], v[22:23], -v[20:21]
	v_add_f64_e32 v[20:21], 0x3dc1e1a1f1587865, v[20:21]
	s_delay_alu instid0(VALU_DEP_1) | instskip(NEXT) | instid1(VALU_DEP_1)
	v_fma_f64 v[22:23], v[16:17], v[20:21], -v[22:23]
	v_add_f64_e32 v[22:23], 0xbdb4dcf9d4504c0c, v[22:23]
	s_delay_alu instid0(VALU_DEP_1) | instskip(NEXT) | instid1(VALU_DEP_1)
	v_fma_f64 v[20:21], v[16:17], v[22:23], -v[20:21]
	v_add_f64_e32 v[20:21], 0xbe0334ca5423dd80, v[20:21]
	s_delay_alu instid0(VALU_DEP_1) | instskip(NEXT) | instid1(VALU_DEP_1)
	v_fma_f64 v[22:23], v[16:17], v[20:21], -v[22:23]
	v_add_f64_e32 v[22:23], 0xbe30790b9ad53528, v[22:23]
	s_delay_alu instid0(VALU_DEP_1) | instskip(NEXT) | instid1(VALU_DEP_1)
	v_fma_f64 v[20:21], v[16:17], v[22:23], -v[20:21]
	v_add_f64_e32 v[20:21], 0xbe5c415394bb46c1, v[20:21]
	s_delay_alu instid0(VALU_DEP_1) | instskip(NEXT) | instid1(VALU_DEP_1)
	v_fma_f64 v[22:23], v[16:17], v[20:21], -v[22:23]
	v_add_f64_e32 v[22:23], 0xbe90dbfd2e9e5443, v[22:23]
	s_delay_alu instid0(VALU_DEP_1) | instskip(NEXT) | instid1(VALU_DEP_1)
	v_fma_f64 v[20:21], v[16:17], v[22:23], -v[20:21]
	v_add_f64_e32 v[20:21], 0xbed048df49ca0373, v[20:21]
	s_delay_alu instid0(VALU_DEP_1) | instskip(NEXT) | instid1(VALU_DEP_1)
	v_fma_f64 v[22:23], v[16:17], v[20:21], -v[22:23]
	v_add_f64_e32 v[22:23], 0xbf1cfd7f804aa9a6, v[22:23]
	s_delay_alu instid0(VALU_DEP_1) | instskip(NEXT) | instid1(VALU_DEP_1)
	v_fma_f64 v[20:21], v[16:17], v[22:23], -v[20:21]
	v_add_f64_e32 v[20:21], 0xbf83fda053fcdb4c, v[20:21]
	s_delay_alu instid0(VALU_DEP_1) | instskip(SKIP_1) | instid1(VALU_DEP_2)
	v_fma_f64 v[16:17], v[16:17], v[20:21], -v[22:23]
	v_fma_f64 v[20:21], v[28:29], v[30:31], 1.0
	v_add_f64_e32 v[16:17], 0x3fe8ea18b55b1514, v[16:17]
	s_delay_alu instid0(VALU_DEP_2) | instskip(NEXT) | instid1(VALU_DEP_2)
	v_ldexp_f64 v[20:21], v[20:21], v7
	v_add_f64_e64 v[22:23], v[16:17], -v[22:23]
	s_delay_alu instid0(VALU_DEP_2) | instskip(NEXT) | instid1(VALU_DEP_3)
	v_cndmask_b32_e32 v21, 0x7ff00000, v21, vcc_lo
	v_cndmask_b32_e32 v20, 0, v20, vcc_lo
	s_and_saveexec_b32 s5, s1
	s_delay_alu instid0(SALU_CYCLE_1)
	s_xor_b32 s1, exec_lo, s5
                                        ; implicit-def: $vgpr16_vgpr17
	s_cbranch_execz .LBB0_32
; %bb.31:
	v_cmp_gt_f64_e64 s5, 0x10000000, |v[18:19]|
	s_delay_alu instid0(VALU_DEP_1) | instskip(NEXT) | instid1(VALU_DEP_1)
	v_cndmask_b32_e64 v7, 0, 0x100, s5
	v_ldexp_f64 v[16:17], |v[18:19]|, v7
	v_cndmask_b32_e64 v7, 0, 0xffffff80, s5
	s_delay_alu instid0(VALU_DEP_2) | instskip(SKIP_1) | instid1(TRANS32_DEP_1)
	v_rsq_f64_e32 v[18:19], v[16:17]
	v_cmp_class_f64_e64 vcc_lo, v[16:17], 0x260
	v_mul_f64_e32 v[26:27], v[16:17], v[18:19]
	v_mul_f64_e32 v[18:19], 0.5, v[18:19]
	s_delay_alu instid0(VALU_DEP_1) | instskip(NEXT) | instid1(VALU_DEP_1)
	v_fma_f64 v[28:29], -v[18:19], v[26:27], 0.5
	v_fmac_f64_e32 v[26:27], v[26:27], v[28:29]
	v_fmac_f64_e32 v[18:19], v[18:19], v[28:29]
	s_delay_alu instid0(VALU_DEP_2) | instskip(NEXT) | instid1(VALU_DEP_1)
	v_fma_f64 v[28:29], -v[26:27], v[26:27], v[16:17]
	v_fmac_f64_e32 v[26:27], v[28:29], v[18:19]
	s_delay_alu instid0(VALU_DEP_1) | instskip(NEXT) | instid1(VALU_DEP_1)
	v_fma_f64 v[28:29], -v[26:27], v[26:27], v[16:17]
	v_fmac_f64_e32 v[26:27], v[28:29], v[18:19]
	v_mul_f64_e32 v[18:19], 0.5, v[22:23]
	s_delay_alu instid0(VALU_DEP_2) | instskip(NEXT) | instid1(VALU_DEP_1)
	v_ldexp_f64 v[22:23], v[26:27], v7
	v_dual_mul_f64 v[18:19], v[20:21], v[18:19] :: v_dual_cndmask_b32 v17, v23, v17, vcc_lo
	s_delay_alu instid0(VALU_DEP_2) | instskip(NEXT) | instid1(VALU_DEP_1)
	v_cndmask_b32_e32 v16, v22, v16, vcc_lo
	v_div_scale_f64 v[20:21], null, v[16:17], v[16:17], v[18:19]
	s_delay_alu instid0(VALU_DEP_1) | instskip(SKIP_1) | instid1(TRANS32_DEP_1)
	v_rcp_f64_e32 v[22:23], v[20:21]
	v_nop
	v_fma_f64 v[26:27], -v[20:21], v[22:23], 1.0
	s_delay_alu instid0(VALU_DEP_1) | instskip(NEXT) | instid1(VALU_DEP_1)
	v_fmac_f64_e32 v[22:23], v[22:23], v[26:27]
	v_fma_f64 v[26:27], -v[20:21], v[22:23], 1.0
	s_delay_alu instid0(VALU_DEP_1) | instskip(SKIP_1) | instid1(VALU_DEP_1)
	v_fmac_f64_e32 v[22:23], v[22:23], v[26:27]
	v_div_scale_f64 v[26:27], vcc_lo, v[18:19], v[16:17], v[18:19]
	v_mul_f64_e32 v[28:29], v[26:27], v[22:23]
	s_delay_alu instid0(VALU_DEP_1) | instskip(NEXT) | instid1(VALU_DEP_1)
	v_fma_f64 v[20:21], -v[20:21], v[28:29], v[26:27]
	v_div_fmas_f64 v[20:21], v[20:21], v[22:23], v[28:29]
                                        ; implicit-def: $vgpr22_vgpr23
	s_delay_alu instid0(VALU_DEP_1)
	v_div_fixup_f64 v[16:17], v[20:21], v[16:17], v[18:19]
                                        ; implicit-def: $vgpr18_vgpr19
                                        ; implicit-def: $vgpr20_vgpr21
.LBB0_32:
	s_and_not1_saveexec_b32 s1, s1
	s_cbranch_execz .LBB0_34
; %bb.33:
	v_cmp_gt_f64_e64 s5, 0x10000000, |v[18:19]|
	s_delay_alu instid0(VALU_DEP_1) | instskip(NEXT) | instid1(VALU_DEP_1)
	v_cndmask_b32_e64 v7, 0, 0x100, s5
	v_ldexp_f64 v[16:17], |v[18:19]|, v7
	v_cndmask_b32_e64 v7, 0, 0xffffff80, s5
	s_delay_alu instid0(VALU_DEP_2) | instskip(SKIP_1) | instid1(TRANS32_DEP_1)
	v_rsq_f64_e32 v[18:19], v[16:17]
	v_cmp_class_f64_e64 vcc_lo, v[16:17], 0x260
	v_mul_f64_e32 v[26:27], v[16:17], v[18:19]
	v_mul_f64_e32 v[18:19], 0.5, v[18:19]
	s_delay_alu instid0(VALU_DEP_1) | instskip(NEXT) | instid1(VALU_DEP_1)
	v_fma_f64 v[28:29], -v[18:19], v[26:27], 0.5
	v_fmac_f64_e32 v[26:27], v[26:27], v[28:29]
	v_fmac_f64_e32 v[18:19], v[18:19], v[28:29]
	s_delay_alu instid0(VALU_DEP_2) | instskip(NEXT) | instid1(VALU_DEP_1)
	v_fma_f64 v[28:29], -v[26:27], v[26:27], v[16:17]
	v_fmac_f64_e32 v[26:27], v[28:29], v[18:19]
	s_delay_alu instid0(VALU_DEP_1) | instskip(NEXT) | instid1(VALU_DEP_1)
	v_fma_f64 v[28:29], -v[26:27], v[26:27], v[16:17]
	v_fmac_f64_e32 v[26:27], v[28:29], v[18:19]
	v_mul_f64_e32 v[18:19], -0.5, v[22:23]
	s_delay_alu instid0(VALU_DEP_2) | instskip(NEXT) | instid1(VALU_DEP_1)
	v_ldexp_f64 v[22:23], v[26:27], v7
	v_dual_mul_f64 v[18:19], v[20:21], v[18:19] :: v_dual_cndmask_b32 v17, v23, v17, vcc_lo
	s_delay_alu instid0(VALU_DEP_2) | instskip(NEXT) | instid1(VALU_DEP_1)
	v_cndmask_b32_e32 v16, v22, v16, vcc_lo
	v_div_scale_f64 v[20:21], null, v[16:17], v[16:17], v[18:19]
	s_delay_alu instid0(VALU_DEP_1) | instskip(SKIP_1) | instid1(TRANS32_DEP_1)
	v_rcp_f64_e32 v[22:23], v[20:21]
	v_nop
	v_fma_f64 v[26:27], -v[20:21], v[22:23], 1.0
	s_delay_alu instid0(VALU_DEP_1) | instskip(NEXT) | instid1(VALU_DEP_1)
	v_fmac_f64_e32 v[22:23], v[22:23], v[26:27]
	v_fma_f64 v[26:27], -v[20:21], v[22:23], 1.0
	s_delay_alu instid0(VALU_DEP_1) | instskip(SKIP_1) | instid1(VALU_DEP_1)
	v_fmac_f64_e32 v[22:23], v[22:23], v[26:27]
	v_div_scale_f64 v[26:27], vcc_lo, v[18:19], v[16:17], v[18:19]
	v_mul_f64_e32 v[28:29], v[26:27], v[22:23]
	s_delay_alu instid0(VALU_DEP_1) | instskip(NEXT) | instid1(VALU_DEP_1)
	v_fma_f64 v[20:21], -v[20:21], v[28:29], v[26:27]
	v_div_fmas_f64 v[20:21], v[20:21], v[22:23], v[28:29]
	s_delay_alu instid0(VALU_DEP_1)
	v_div_fixup_f64 v[16:17], v[20:21], v[16:17], v[18:19]
.LBB0_34:
	s_or_b32 exec_lo, exec_lo, s1
.LBB0_35:
	s_delay_alu instid0(SALU_CYCLE_1)
	s_or_b32 exec_lo, exec_lo, s4
.LBB0_36:
	s_delay_alu instid0(SALU_CYCLE_1) | instskip(SKIP_2) | instid1(VALU_DEP_1)
	s_or_b32 exec_lo, exec_lo, s3
	v_add_nc_u32_e32 v7, 0x200, v5
	s_mov_b32 s3, exec_lo
	v_cmpx_lt_i32_e64 v7, v4
	s_cbranch_execz .LBB0_50
; %bb.37:
	s_wait_loadcnt_dscnt 0x0
	v_cmp_ge_f64_e64 s1, 0x40200000, |v[10:11]|
	s_and_saveexec_b32 s4, s1
	s_delay_alu instid0(SALU_CYCLE_1)
	s_xor_b32 s1, exec_lo, s4
                                        ; implicit-def: $vgpr14_vgpr15
	s_cbranch_execz .LBB0_43
; %bb.38:
	v_fma_f64 v[14:15], |v[10:11]|, 0.5, -2.0
	s_mov_b64 s[4:5], 0x3c499f2a0c3c4014
	s_delay_alu instid0(VALU_DEP_1) | instid1(SALU_CYCLE_1)
	v_fmaak_f64 v[18:19], s[4:5], v[14:15], 0xbc7857d0c38a0576
	s_mov_b64 s[4:5], 0x3ff71547652b82fe
	s_delay_alu instid0(SALU_CYCLE_1) | instskip(SKIP_1) | instid1(VALU_DEP_2)
	v_mul_f64_e64 v[22:23], |v[10:11]|, s[4:5]
	s_mov_b64 s[4:5], 0xbfe62e42fefa39ef
	v_fmaak_f64 v[20:21], v[14:15], v[18:19], 0xbc499f2a0c3c4014
	s_delay_alu instid0(VALU_DEP_1) | instskip(NEXT) | instid1(VALU_DEP_3)
	v_add_f64_e32 v[20:21], 0x3ca663e3e593bfac, v[20:21]
	v_rndne_f64_e32 v[22:23], v[22:23]
	s_delay_alu instid0(VALU_DEP_2) | instskip(NEXT) | instid1(VALU_DEP_2)
	v_fma_f64 v[18:19], v[14:15], v[20:21], -v[18:19]
	v_fma_f64 v[26:27], v[22:23], s[4:5], |v[10:11]|
	s_mov_b64 s[4:5], 0x3e5ade156a5dcb37
	v_cvt_i32_f64_e32 v7, v[22:23]
	s_delay_alu instid0(VALU_DEP_3) | instskip(NEXT) | instid1(VALU_DEP_1)
	v_add_f64_e32 v[18:19], 0xbcd3eaaa7e0d1573, v[18:19]
	v_fma_f64 v[20:21], v[14:15], v[18:19], -v[20:21]
	s_delay_alu instid0(VALU_DEP_1) | instskip(NEXT) | instid1(VALU_DEP_1)
	v_add_f64_e32 v[20:21], 0x3d011d7f0615290c, v[20:21]
	v_fma_f64 v[18:19], v[14:15], v[20:21], -v[18:19]
	s_delay_alu instid0(VALU_DEP_1) | instskip(NEXT) | instid1(VALU_DEP_1)
	;; [unrolled: 3-line block ×24, first 2 shown]
	v_add_f64_e32 v[18:19], 0xbfc694d10469192e, v[18:19]
	v_fma_f64 v[14:15], v[14:15], v[18:19], -v[20:21]
	v_fmamk_f64 v[18:19], v[22:23], 0xbc7abc9e3b39803f, v[26:27]
	s_delay_alu instid0(VALU_DEP_1) | instskip(SKIP_1) | instid1(VALU_DEP_1)
	v_fmaak_f64 v[26:27], s[4:5], v[18:19], 0x3e928af3fca7ab0c
	s_mov_b32 s4, exec_lo
	v_fmaak_f64 v[26:27], v[18:19], v[26:27], 0x3ec71dee623fde64
	s_delay_alu instid0(VALU_DEP_1) | instskip(NEXT) | instid1(VALU_DEP_1)
	v_fmaak_f64 v[26:27], v[18:19], v[26:27], 0x3efa01997c89e6b0
	v_fmaak_f64 v[26:27], v[18:19], v[26:27], 0x3f2a01a014761f6e
	v_add_f64_e32 v[14:15], 0x3fd02a63724a7ffa, v[14:15]
	s_delay_alu instid0(VALU_DEP_2) | instskip(NEXT) | instid1(VALU_DEP_2)
	v_fmaak_f64 v[26:27], v[18:19], v[26:27], 0x3f56c16c1852b7b0
	v_add_f64_e64 v[14:15], v[14:15], -v[20:21]
	s_delay_alu instid0(VALU_DEP_2) | instskip(NEXT) | instid1(VALU_DEP_1)
	v_fmaak_f64 v[20:21], v[18:19], v[26:27], 0x3f81111111122322
	v_fmaak_f64 v[20:21], v[18:19], v[20:21], 0x3fa55555555502a1
	s_delay_alu instid0(VALU_DEP_1) | instskip(NEXT) | instid1(VALU_DEP_1)
	v_fmaak_f64 v[20:21], v[18:19], v[20:21], 0x3fc5555555555511
	v_fmaak_f64 v[20:21], v[18:19], v[20:21], 0x3fe000000000000b
	s_delay_alu instid0(VALU_DEP_1) | instskip(SKIP_1) | instid1(VALU_DEP_2)
	v_fma_f64 v[20:21], v[18:19], v[20:21], 1.0
	v_mul_f64_e32 v[14:15], 0.5, v[14:15]
	v_fma_f64 v[20:21], v[18:19], v[20:21], 1.0
	s_delay_alu instid0(VALU_DEP_2)
	v_mul_f64_e64 v[18:19], |v[10:11]|, v[14:15]
	v_cmpx_ngt_f64_e32 0, v[10:11]
	s_xor_b32 s4, exec_lo, s4
                                        ; implicit-def: $vgpr14_vgpr15
	s_cbranch_execz .LBB0_40
; %bb.39:
	s_delay_alu instid0(VALU_DEP_3) | instskip(SKIP_1) | instid1(VALU_DEP_2)
	v_ldexp_f64 v[14:15], v[20:21], v7
	v_cmp_nlt_f64_e64 vcc_lo, 0x40900000, |v[10:11]|
                                        ; implicit-def: $vgpr20_vgpr21
                                        ; implicit-def: $vgpr7
	v_cndmask_b32_e32 v11, 0x7ff00000, v15, vcc_lo
	s_delay_alu instid0(VALU_DEP_3) | instskip(NEXT) | instid1(VALU_DEP_1)
	v_cndmask_b32_e32 v10, 0, v14, vcc_lo
	v_mul_f64_e32 v[14:15], v[10:11], v[18:19]
                                        ; implicit-def: $vgpr10_vgpr11
                                        ; implicit-def: $vgpr18_vgpr19
.LBB0_40:
	s_and_not1_saveexec_b32 s4, s4
	s_cbranch_execz .LBB0_42
; %bb.41:
	s_delay_alu instid0(VALU_DEP_3) | instskip(SKIP_1) | instid1(VALU_DEP_2)
	v_ldexp_f64 v[14:15], -v[20:21], v7
	v_cmp_nlt_f64_e64 vcc_lo, 0x40900000, |v[10:11]|
	v_cndmask_b32_e32 v11, 0xfff00000, v15, vcc_lo
	s_delay_alu instid0(VALU_DEP_3) | instskip(NEXT) | instid1(VALU_DEP_1)
	v_cndmask_b32_e32 v10, 0, v14, vcc_lo
	v_mul_f64_e32 v[14:15], v[10:11], v[18:19]
.LBB0_42:
	s_or_b32 exec_lo, exec_lo, s4
                                        ; implicit-def: $vgpr10_vgpr11
.LBB0_43:
	s_and_not1_saveexec_b32 s4, s1
	s_cbranch_execz .LBB0_49
; %bb.44:
	v_and_b32_e32 v15, 0x7fffffff, v11
	v_mov_b32_e32 v14, v10
	s_mov_b64 s[6:7], 0x3c61556db352e8e6
	v_cmp_ngt_f64_e64 s1, 0, v[10:11]
	s_delay_alu instid0(VALU_DEP_2) | instskip(SKIP_1) | instid1(VALU_DEP_2)
	v_div_scale_f64 v[18:19], null, v[14:15], v[14:15], 0x40400000
	v_div_scale_f64 v[14:15], vcc_lo, 0x40400000, v[14:15], 0x40400000
	v_rcp_f64_e32 v[20:21], v[18:19]
	v_nop
	s_delay_alu instid0(TRANS32_DEP_1) | instskip(NEXT) | instid1(VALU_DEP_1)
	v_fma_f64 v[22:23], -v[18:19], v[20:21], 1.0
	v_fmac_f64_e32 v[20:21], v[20:21], v[22:23]
	s_delay_alu instid0(VALU_DEP_1) | instskip(NEXT) | instid1(VALU_DEP_1)
	v_fma_f64 v[22:23], -v[18:19], v[20:21], 1.0
	v_fmac_f64_e32 v[20:21], v[20:21], v[22:23]
	s_delay_alu instid0(VALU_DEP_1) | instskip(NEXT) | instid1(VALU_DEP_1)
	v_mul_f64_e32 v[22:23], v[14:15], v[20:21]
	v_fma_f64 v[14:15], -v[18:19], v[22:23], v[14:15]
	s_delay_alu instid0(VALU_DEP_1) | instskip(SKIP_1) | instid1(VALU_DEP_2)
	v_div_fmas_f64 v[14:15], v[14:15], v[20:21], v[22:23]
	v_cmp_nlt_f64_e64 vcc_lo, 0x40900000, |v[10:11]|
	v_div_fixup_f64 v[14:15], v[14:15], |v[10:11]|, 0x40400000
	s_delay_alu instid0(VALU_DEP_1) | instskip(NEXT) | instid1(VALU_DEP_1)
	v_add_f64_e32 v[14:15], -2.0, v[14:15]
	v_fmaak_f64 v[18:19], s[6:7], v[14:15], 0x3c545b8aea87b950
	s_mov_b64 s[6:7], 0x3ff71547652b82fe
	s_delay_alu instid0(SALU_CYCLE_1) | instskip(SKIP_1) | instid1(VALU_DEP_2)
	v_mul_f64_e64 v[22:23], |v[10:11]|, s[6:7]
	s_mov_b64 s[6:7], 0xbfe62e42fefa39ef
	v_fmaak_f64 v[20:21], v[14:15], v[18:19], 0xbc61556db352e8e6
	s_delay_alu instid0(VALU_DEP_1) | instskip(NEXT) | instid1(VALU_DEP_3)
	v_add_f64_e32 v[20:21], 0xbc8acea3b2532277, v[20:21]
	v_rndne_f64_e32 v[22:23], v[22:23]
	s_delay_alu instid0(VALU_DEP_2) | instskip(NEXT) | instid1(VALU_DEP_2)
	v_fma_f64 v[18:19], v[14:15], v[20:21], -v[18:19]
	v_fma_f64 v[26:27], v[22:23], s[6:7], |v[10:11]|
	s_mov_b64 s[6:7], 0x3e5ade156a5dcb37
	v_cvt_i32_f64_e32 v7, v[22:23]
	s_delay_alu instid0(VALU_DEP_3) | instskip(NEXT) | instid1(VALU_DEP_3)
	v_add_f64_e32 v[18:19], 0xbc82806c9c773320, v[18:19]
	v_fmamk_f64 v[26:27], v[22:23], 0xbc7abc9e3b39803f, v[26:27]
	s_delay_alu instid0(VALU_DEP_1) | instskip(NEXT) | instid1(VALU_DEP_3)
	v_fmaak_f64 v[28:29], s[6:7], v[26:27], 0x3e928af3fca7ab0c
	v_fma_f64 v[20:21], v[14:15], v[18:19], -v[20:21]
	s_delay_alu instid0(VALU_DEP_2) | instskip(NEXT) | instid1(VALU_DEP_1)
	v_fmaak_f64 v[28:29], v[26:27], v[28:29], 0x3ec71dee623fde64
	v_fmaak_f64 v[28:29], v[26:27], v[28:29], 0x3efa01997c89e6b0
	s_delay_alu instid0(VALU_DEP_1) | instskip(NEXT) | instid1(VALU_DEP_1)
	v_fmaak_f64 v[28:29], v[26:27], v[28:29], 0x3f2a01a014761f6e
	v_fmaak_f64 v[28:29], v[26:27], v[28:29], 0x3f56c16c1852b7b0
	s_delay_alu instid0(VALU_DEP_1) | instskip(SKIP_1) | instid1(VALU_DEP_2)
	v_fmaak_f64 v[28:29], v[26:27], v[28:29], 0x3f81111111122322
	v_add_f64_e32 v[20:21], 0x3cb55915fceb588a, v[20:21]
	v_fmaak_f64 v[28:29], v[26:27], v[28:29], 0x3fa55555555502a1
	s_delay_alu instid0(VALU_DEP_1) | instskip(NEXT) | instid1(VALU_DEP_1)
	v_fmaak_f64 v[28:29], v[26:27], v[28:29], 0x3fc5555555555511
	v_fmaak_f64 v[28:29], v[26:27], v[28:29], 0x3fe000000000000b
	s_delay_alu instid0(VALU_DEP_1) | instskip(SKIP_1) | instid1(VALU_DEP_1)
	v_fma_f64 v[28:29], v[26:27], v[28:29], 1.0
	v_fma_f64 v[18:19], v[14:15], v[20:21], -v[18:19]
	v_add_f64_e32 v[18:19], 0x3cb7d68e5f04a2d1, v[18:19]
	s_delay_alu instid0(VALU_DEP_1) | instskip(NEXT) | instid1(VALU_DEP_1)
	v_fma_f64 v[20:21], v[14:15], v[18:19], -v[20:21]
	v_add_f64_e32 v[20:21], 0xbce0efcd8bc4d22a, v[20:21]
	s_delay_alu instid0(VALU_DEP_1) | instskip(NEXT) | instid1(VALU_DEP_1)
	;; [unrolled: 3-line block ×18, first 2 shown]
	v_fma_f64 v[18:19], v[14:15], v[20:21], -v[18:19]
	v_add_f64_e32 v[18:19], 0xbf83fda053fcdb4c, v[18:19]
	s_delay_alu instid0(VALU_DEP_1) | instskip(SKIP_1) | instid1(VALU_DEP_2)
	v_fma_f64 v[14:15], v[14:15], v[18:19], -v[20:21]
	v_fma_f64 v[18:19], v[26:27], v[28:29], 1.0
	v_add_f64_e32 v[14:15], 0x3fe8ea18b55b1514, v[14:15]
	s_delay_alu instid0(VALU_DEP_2) | instskip(NEXT) | instid1(VALU_DEP_2)
	v_ldexp_f64 v[18:19], v[18:19], v7
	v_add_f64_e64 v[20:21], v[14:15], -v[20:21]
	s_delay_alu instid0(VALU_DEP_2) | instskip(NEXT) | instid1(VALU_DEP_3)
	v_cndmask_b32_e32 v19, 0x7ff00000, v19, vcc_lo
	v_cndmask_b32_e32 v18, 0, v18, vcc_lo
	s_and_saveexec_b32 s5, s1
	s_delay_alu instid0(SALU_CYCLE_1)
	s_xor_b32 s1, exec_lo, s5
                                        ; implicit-def: $vgpr14_vgpr15
	s_cbranch_execz .LBB0_46
; %bb.45:
	v_cmp_gt_f64_e64 s5, 0x10000000, |v[10:11]|
	s_delay_alu instid0(VALU_DEP_1) | instskip(NEXT) | instid1(VALU_DEP_1)
	v_cndmask_b32_e64 v7, 0, 0x100, s5
	v_ldexp_f64 v[10:11], |v[10:11]|, v7
	v_cndmask_b32_e64 v7, 0, 0xffffff80, s5
	s_delay_alu instid0(VALU_DEP_2) | instskip(SKIP_1) | instid1(TRANS32_DEP_1)
	v_rsq_f64_e32 v[14:15], v[10:11]
	v_cmp_class_f64_e64 vcc_lo, v[10:11], 0x260
	v_mul_f64_e32 v[22:23], v[10:11], v[14:15]
	v_mul_f64_e32 v[14:15], 0.5, v[14:15]
	s_delay_alu instid0(VALU_DEP_1) | instskip(NEXT) | instid1(VALU_DEP_1)
	v_fma_f64 v[26:27], -v[14:15], v[22:23], 0.5
	v_fmac_f64_e32 v[22:23], v[22:23], v[26:27]
	v_fmac_f64_e32 v[14:15], v[14:15], v[26:27]
	s_delay_alu instid0(VALU_DEP_2) | instskip(NEXT) | instid1(VALU_DEP_1)
	v_fma_f64 v[26:27], -v[22:23], v[22:23], v[10:11]
	v_fmac_f64_e32 v[22:23], v[26:27], v[14:15]
	s_delay_alu instid0(VALU_DEP_1) | instskip(NEXT) | instid1(VALU_DEP_1)
	v_fma_f64 v[26:27], -v[22:23], v[22:23], v[10:11]
	v_fmac_f64_e32 v[22:23], v[26:27], v[14:15]
	v_mul_f64_e32 v[14:15], 0.5, v[20:21]
	s_delay_alu instid0(VALU_DEP_2) | instskip(NEXT) | instid1(VALU_DEP_1)
	v_ldexp_f64 v[20:21], v[22:23], v7
	v_cndmask_b32_e32 v11, v21, v11, vcc_lo
	s_delay_alu instid0(VALU_DEP_3) | instskip(NEXT) | instid1(VALU_DEP_3)
	v_mul_f64_e32 v[14:15], v[18:19], v[14:15]
	v_cndmask_b32_e32 v10, v20, v10, vcc_lo
	s_delay_alu instid0(VALU_DEP_1) | instskip(NEXT) | instid1(VALU_DEP_1)
	v_div_scale_f64 v[18:19], null, v[10:11], v[10:11], v[14:15]
	v_rcp_f64_e32 v[20:21], v[18:19]
	v_nop
	s_delay_alu instid0(TRANS32_DEP_1) | instskip(NEXT) | instid1(VALU_DEP_1)
	v_fma_f64 v[22:23], -v[18:19], v[20:21], 1.0
	v_fmac_f64_e32 v[20:21], v[20:21], v[22:23]
	s_delay_alu instid0(VALU_DEP_1) | instskip(NEXT) | instid1(VALU_DEP_1)
	v_fma_f64 v[22:23], -v[18:19], v[20:21], 1.0
	v_fmac_f64_e32 v[20:21], v[20:21], v[22:23]
	v_div_scale_f64 v[22:23], vcc_lo, v[14:15], v[10:11], v[14:15]
	s_delay_alu instid0(VALU_DEP_1) | instskip(NEXT) | instid1(VALU_DEP_1)
	v_mul_f64_e32 v[26:27], v[22:23], v[20:21]
	v_fma_f64 v[18:19], -v[18:19], v[26:27], v[22:23]
	s_delay_alu instid0(VALU_DEP_1) | instskip(NEXT) | instid1(VALU_DEP_1)
	v_div_fmas_f64 v[18:19], v[18:19], v[20:21], v[26:27]
                                        ; implicit-def: $vgpr20_vgpr21
	v_div_fixup_f64 v[14:15], v[18:19], v[10:11], v[14:15]
                                        ; implicit-def: $vgpr10_vgpr11
                                        ; implicit-def: $vgpr18_vgpr19
.LBB0_46:
	s_and_not1_saveexec_b32 s1, s1
	s_cbranch_execz .LBB0_48
; %bb.47:
	v_cmp_gt_f64_e64 s5, 0x10000000, |v[10:11]|
	s_delay_alu instid0(VALU_DEP_1) | instskip(NEXT) | instid1(VALU_DEP_1)
	v_cndmask_b32_e64 v7, 0, 0x100, s5
	v_ldexp_f64 v[10:11], |v[10:11]|, v7
	v_cndmask_b32_e64 v7, 0, 0xffffff80, s5
	s_delay_alu instid0(VALU_DEP_2) | instskip(SKIP_1) | instid1(TRANS32_DEP_1)
	v_rsq_f64_e32 v[14:15], v[10:11]
	v_cmp_class_f64_e64 vcc_lo, v[10:11], 0x260
	v_mul_f64_e32 v[22:23], v[10:11], v[14:15]
	v_mul_f64_e32 v[14:15], 0.5, v[14:15]
	s_delay_alu instid0(VALU_DEP_1) | instskip(NEXT) | instid1(VALU_DEP_1)
	v_fma_f64 v[26:27], -v[14:15], v[22:23], 0.5
	v_fmac_f64_e32 v[22:23], v[22:23], v[26:27]
	v_fmac_f64_e32 v[14:15], v[14:15], v[26:27]
	s_delay_alu instid0(VALU_DEP_2) | instskip(NEXT) | instid1(VALU_DEP_1)
	v_fma_f64 v[26:27], -v[22:23], v[22:23], v[10:11]
	v_fmac_f64_e32 v[22:23], v[26:27], v[14:15]
	s_delay_alu instid0(VALU_DEP_1) | instskip(NEXT) | instid1(VALU_DEP_1)
	v_fma_f64 v[26:27], -v[22:23], v[22:23], v[10:11]
	v_fmac_f64_e32 v[22:23], v[26:27], v[14:15]
	v_mul_f64_e32 v[14:15], -0.5, v[20:21]
	s_delay_alu instid0(VALU_DEP_2) | instskip(NEXT) | instid1(VALU_DEP_1)
	v_ldexp_f64 v[20:21], v[22:23], v7
	v_cndmask_b32_e32 v11, v21, v11, vcc_lo
	s_delay_alu instid0(VALU_DEP_3) | instskip(NEXT) | instid1(VALU_DEP_3)
	v_mul_f64_e32 v[14:15], v[18:19], v[14:15]
	v_cndmask_b32_e32 v10, v20, v10, vcc_lo
	s_delay_alu instid0(VALU_DEP_1) | instskip(NEXT) | instid1(VALU_DEP_1)
	v_div_scale_f64 v[18:19], null, v[10:11], v[10:11], v[14:15]
	v_rcp_f64_e32 v[20:21], v[18:19]
	v_nop
	s_delay_alu instid0(TRANS32_DEP_1) | instskip(NEXT) | instid1(VALU_DEP_1)
	v_fma_f64 v[22:23], -v[18:19], v[20:21], 1.0
	v_fmac_f64_e32 v[20:21], v[20:21], v[22:23]
	s_delay_alu instid0(VALU_DEP_1) | instskip(NEXT) | instid1(VALU_DEP_1)
	v_fma_f64 v[22:23], -v[18:19], v[20:21], 1.0
	v_fmac_f64_e32 v[20:21], v[20:21], v[22:23]
	v_div_scale_f64 v[22:23], vcc_lo, v[14:15], v[10:11], v[14:15]
	s_delay_alu instid0(VALU_DEP_1) | instskip(NEXT) | instid1(VALU_DEP_1)
	v_mul_f64_e32 v[26:27], v[22:23], v[20:21]
	v_fma_f64 v[18:19], -v[18:19], v[26:27], v[22:23]
	s_delay_alu instid0(VALU_DEP_1) | instskip(NEXT) | instid1(VALU_DEP_1)
	v_div_fmas_f64 v[18:19], v[18:19], v[20:21], v[26:27]
	v_div_fixup_f64 v[14:15], v[18:19], v[10:11], v[14:15]
.LBB0_48:
	s_or_b32 exec_lo, exec_lo, s1
.LBB0_49:
	s_delay_alu instid0(SALU_CYCLE_1)
	s_or_b32 exec_lo, exec_lo, s4
.LBB0_50:
	s_delay_alu instid0(SALU_CYCLE_1) | instskip(SKIP_2) | instid1(VALU_DEP_1)
	s_or_b32 exec_lo, exec_lo, s3
	v_add_nc_u32_e32 v7, 0x300, v5
	s_mov_b32 s3, exec_lo
	v_cmpx_lt_i32_e64 v7, v4
	s_cbranch_execnz .LBB0_56
; %bb.51:
	s_or_b32 exec_lo, exec_lo, s3
	s_and_saveexec_b32 s1, s0
	s_delay_alu instid0(SALU_CYCLE_1)
	s_xor_b32 s0, exec_lo, s1
	s_cbranch_execnz .LBB0_69
.LBB0_52:
	s_or_b32 exec_lo, exec_lo, s0
	s_delay_alu instid0(SALU_CYCLE_1)
	s_mov_b32 s0, exec_lo
	v_cmpx_lt_i32_e64 v5, v4
	s_cbranch_execnz .LBB0_70
.LBB0_53:
	s_or_b32 exec_lo, exec_lo, s0
	s_delay_alu instid0(SALU_CYCLE_1)
	s_mov_b32 s0, exec_lo
	v_cmpx_lt_i32_e64 v5, v4
	s_cbranch_execnz .LBB0_71
.LBB0_54:
	s_or_b32 exec_lo, exec_lo, s0
	s_delay_alu instid0(SALU_CYCLE_1)
	s_mov_b32 s0, exec_lo
	v_cmpx_lt_i32_e64 v5, v4
	s_cbranch_execnz .LBB0_72
.LBB0_55:
	s_or_b32 exec_lo, exec_lo, s0
	s_wait_loadcnt_dscnt 0x0
	s_set_pc_i64 s[30:31]
.LBB0_56:
	s_wait_loadcnt_dscnt 0x0
	v_cmp_ge_f64_e64 s1, 0x40200000, |v[8:9]|
	s_and_saveexec_b32 s4, s1
	s_delay_alu instid0(SALU_CYCLE_1)
	s_xor_b32 s1, exec_lo, s4
                                        ; implicit-def: $vgpr12_vgpr13
	s_cbranch_execz .LBB0_62
; %bb.57:
	v_fma_f64 v[10:11], |v[8:9]|, 0.5, -2.0
	s_mov_b64 s[4:5], 0x3c499f2a0c3c4014
	s_delay_alu instid0(VALU_DEP_1) | instid1(SALU_CYCLE_1)
	v_fmaak_f64 v[12:13], s[4:5], v[10:11], 0xbc7857d0c38a0576
	s_mov_b64 s[4:5], 0x3ff71547652b82fe
	s_delay_alu instid0(SALU_CYCLE_1) | instskip(SKIP_1) | instid1(VALU_DEP_2)
	v_mul_f64_e64 v[20:21], |v[8:9]|, s[4:5]
	s_mov_b64 s[4:5], 0xbfe62e42fefa39ef
	v_fmaak_f64 v[18:19], v[10:11], v[12:13], 0xbc499f2a0c3c4014
	s_delay_alu instid0(VALU_DEP_1) | instskip(NEXT) | instid1(VALU_DEP_3)
	v_add_f64_e32 v[18:19], 0x3ca663e3e593bfac, v[18:19]
	v_rndne_f64_e32 v[20:21], v[20:21]
	s_delay_alu instid0(VALU_DEP_2) | instskip(NEXT) | instid1(VALU_DEP_2)
	v_fma_f64 v[12:13], v[10:11], v[18:19], -v[12:13]
	v_fma_f64 v[22:23], v[20:21], s[4:5], |v[8:9]|
	s_mov_b64 s[4:5], 0x3e5ade156a5dcb37
	v_cvt_i32_f64_e32 v7, v[20:21]
	s_delay_alu instid0(VALU_DEP_3) | instskip(NEXT) | instid1(VALU_DEP_1)
	v_add_f64_e32 v[12:13], 0xbcd3eaaa7e0d1573, v[12:13]
	v_fma_f64 v[18:19], v[10:11], v[12:13], -v[18:19]
	s_delay_alu instid0(VALU_DEP_1) | instskip(NEXT) | instid1(VALU_DEP_1)
	v_add_f64_e32 v[18:19], 0x3d011d7f0615290c, v[18:19]
	v_fma_f64 v[12:13], v[10:11], v[18:19], -v[12:13]
	s_delay_alu instid0(VALU_DEP_1) | instskip(NEXT) | instid1(VALU_DEP_1)
	;; [unrolled: 3-line block ×24, first 2 shown]
	v_add_f64_e32 v[12:13], 0xbfc694d10469192e, v[12:13]
	v_fma_f64 v[10:11], v[10:11], v[12:13], -v[18:19]
	v_fmamk_f64 v[12:13], v[20:21], 0xbc7abc9e3b39803f, v[22:23]
	s_delay_alu instid0(VALU_DEP_1) | instskip(SKIP_1) | instid1(VALU_DEP_1)
	v_fmaak_f64 v[22:23], s[4:5], v[12:13], 0x3e928af3fca7ab0c
	s_mov_b32 s4, exec_lo
	v_fmaak_f64 v[22:23], v[12:13], v[22:23], 0x3ec71dee623fde64
	s_delay_alu instid0(VALU_DEP_1) | instskip(NEXT) | instid1(VALU_DEP_1)
	v_fmaak_f64 v[22:23], v[12:13], v[22:23], 0x3efa01997c89e6b0
	v_fmaak_f64 v[22:23], v[12:13], v[22:23], 0x3f2a01a014761f6e
	v_add_f64_e32 v[10:11], 0x3fd02a63724a7ffa, v[10:11]
	s_delay_alu instid0(VALU_DEP_2) | instskip(NEXT) | instid1(VALU_DEP_2)
	v_fmaak_f64 v[22:23], v[12:13], v[22:23], 0x3f56c16c1852b7b0
	v_add_f64_e64 v[10:11], v[10:11], -v[18:19]
	s_delay_alu instid0(VALU_DEP_2) | instskip(NEXT) | instid1(VALU_DEP_1)
	v_fmaak_f64 v[18:19], v[12:13], v[22:23], 0x3f81111111122322
	v_fmaak_f64 v[18:19], v[12:13], v[18:19], 0x3fa55555555502a1
	s_delay_alu instid0(VALU_DEP_1) | instskip(NEXT) | instid1(VALU_DEP_1)
	v_fmaak_f64 v[18:19], v[12:13], v[18:19], 0x3fc5555555555511
	v_fmaak_f64 v[18:19], v[12:13], v[18:19], 0x3fe000000000000b
	s_delay_alu instid0(VALU_DEP_1) | instskip(SKIP_1) | instid1(VALU_DEP_2)
	v_fma_f64 v[18:19], v[12:13], v[18:19], 1.0
	v_mul_f64_e32 v[10:11], 0.5, v[10:11]
	v_fma_f64 v[18:19], v[12:13], v[18:19], 1.0
	s_delay_alu instid0(VALU_DEP_2)
	v_mul_f64_e64 v[10:11], |v[8:9]|, v[10:11]
	v_cmpx_ngt_f64_e32 0, v[8:9]
	s_xor_b32 s4, exec_lo, s4
                                        ; implicit-def: $vgpr12_vgpr13
	s_cbranch_execz .LBB0_59
; %bb.58:
	s_delay_alu instid0(VALU_DEP_3) | instskip(SKIP_1) | instid1(VALU_DEP_2)
	v_ldexp_f64 v[12:13], v[18:19], v7
	v_cmp_nlt_f64_e64 vcc_lo, 0x40900000, |v[8:9]|
                                        ; implicit-def: $vgpr18_vgpr19
                                        ; implicit-def: $vgpr7
	v_cndmask_b32_e32 v9, 0x7ff00000, v13, vcc_lo
	s_delay_alu instid0(VALU_DEP_3) | instskip(NEXT) | instid1(VALU_DEP_1)
	v_cndmask_b32_e32 v8, 0, v12, vcc_lo
	v_mul_f64_e32 v[12:13], v[8:9], v[10:11]
                                        ; implicit-def: $vgpr8_vgpr9
                                        ; implicit-def: $vgpr10_vgpr11
.LBB0_59:
	s_and_not1_saveexec_b32 s4, s4
	s_cbranch_execz .LBB0_61
; %bb.60:
	s_delay_alu instid0(VALU_DEP_3) | instskip(SKIP_1) | instid1(VALU_DEP_2)
	v_ldexp_f64 v[12:13], -v[18:19], v7
	v_cmp_nlt_f64_e64 vcc_lo, 0x40900000, |v[8:9]|
	v_cndmask_b32_e32 v9, 0xfff00000, v13, vcc_lo
	s_delay_alu instid0(VALU_DEP_3) | instskip(NEXT) | instid1(VALU_DEP_1)
	v_cndmask_b32_e32 v8, 0, v12, vcc_lo
	v_mul_f64_e32 v[12:13], v[8:9], v[10:11]
.LBB0_61:
	s_or_b32 exec_lo, exec_lo, s4
                                        ; implicit-def: $vgpr8_vgpr9
.LBB0_62:
	s_and_not1_saveexec_b32 s4, s1
	s_cbranch_execz .LBB0_68
; %bb.63:
	v_and_b32_e32 v11, 0x7fffffff, v9
	v_mov_b32_e32 v10, v8
	s_mov_b64 s[6:7], 0x3c61556db352e8e6
	v_cmp_ngt_f64_e64 s1, 0, v[8:9]
	s_delay_alu instid0(VALU_DEP_2) | instskip(SKIP_1) | instid1(VALU_DEP_2)
	v_div_scale_f64 v[12:13], null, v[10:11], v[10:11], 0x40400000
	v_div_scale_f64 v[10:11], vcc_lo, 0x40400000, v[10:11], 0x40400000
	v_rcp_f64_e32 v[18:19], v[12:13]
	v_nop
	s_delay_alu instid0(TRANS32_DEP_1) | instskip(NEXT) | instid1(VALU_DEP_1)
	v_fma_f64 v[20:21], -v[12:13], v[18:19], 1.0
	v_fmac_f64_e32 v[18:19], v[18:19], v[20:21]
	s_delay_alu instid0(VALU_DEP_1) | instskip(NEXT) | instid1(VALU_DEP_1)
	v_fma_f64 v[20:21], -v[12:13], v[18:19], 1.0
	v_fmac_f64_e32 v[18:19], v[18:19], v[20:21]
	s_delay_alu instid0(VALU_DEP_1) | instskip(NEXT) | instid1(VALU_DEP_1)
	v_mul_f64_e32 v[20:21], v[10:11], v[18:19]
	v_fma_f64 v[10:11], -v[12:13], v[20:21], v[10:11]
	s_delay_alu instid0(VALU_DEP_1) | instskip(SKIP_1) | instid1(VALU_DEP_2)
	v_div_fmas_f64 v[10:11], v[10:11], v[18:19], v[20:21]
	v_cmp_nlt_f64_e64 vcc_lo, 0x40900000, |v[8:9]|
	v_div_fixup_f64 v[10:11], v[10:11], |v[8:9]|, 0x40400000
	s_delay_alu instid0(VALU_DEP_1) | instskip(NEXT) | instid1(VALU_DEP_1)
	v_add_f64_e32 v[10:11], -2.0, v[10:11]
	v_fmaak_f64 v[12:13], s[6:7], v[10:11], 0x3c545b8aea87b950
	s_mov_b64 s[6:7], 0x3ff71547652b82fe
	s_delay_alu instid0(SALU_CYCLE_1) | instskip(SKIP_1) | instid1(VALU_DEP_2)
	v_mul_f64_e64 v[20:21], |v[8:9]|, s[6:7]
	s_mov_b64 s[6:7], 0xbfe62e42fefa39ef
	v_fmaak_f64 v[18:19], v[10:11], v[12:13], 0xbc61556db352e8e6
	s_delay_alu instid0(VALU_DEP_1) | instskip(NEXT) | instid1(VALU_DEP_3)
	v_add_f64_e32 v[18:19], 0xbc8acea3b2532277, v[18:19]
	v_rndne_f64_e32 v[20:21], v[20:21]
	s_delay_alu instid0(VALU_DEP_2) | instskip(NEXT) | instid1(VALU_DEP_2)
	v_fma_f64 v[12:13], v[10:11], v[18:19], -v[12:13]
	v_fma_f64 v[22:23], v[20:21], s[6:7], |v[8:9]|
	s_mov_b64 s[6:7], 0x3e5ade156a5dcb37
	v_cvt_i32_f64_e32 v7, v[20:21]
	s_delay_alu instid0(VALU_DEP_3) | instskip(NEXT) | instid1(VALU_DEP_3)
	v_add_f64_e32 v[12:13], 0xbc82806c9c773320, v[12:13]
	v_fmamk_f64 v[22:23], v[20:21], 0xbc7abc9e3b39803f, v[22:23]
	s_delay_alu instid0(VALU_DEP_1) | instskip(NEXT) | instid1(VALU_DEP_3)
	v_fmaak_f64 v[26:27], s[6:7], v[22:23], 0x3e928af3fca7ab0c
	v_fma_f64 v[18:19], v[10:11], v[12:13], -v[18:19]
	s_delay_alu instid0(VALU_DEP_2) | instskip(NEXT) | instid1(VALU_DEP_1)
	v_fmaak_f64 v[26:27], v[22:23], v[26:27], 0x3ec71dee623fde64
	v_fmaak_f64 v[26:27], v[22:23], v[26:27], 0x3efa01997c89e6b0
	s_delay_alu instid0(VALU_DEP_1) | instskip(NEXT) | instid1(VALU_DEP_1)
	v_fmaak_f64 v[26:27], v[22:23], v[26:27], 0x3f2a01a014761f6e
	v_fmaak_f64 v[26:27], v[22:23], v[26:27], 0x3f56c16c1852b7b0
	s_delay_alu instid0(VALU_DEP_1) | instskip(SKIP_1) | instid1(VALU_DEP_2)
	v_fmaak_f64 v[26:27], v[22:23], v[26:27], 0x3f81111111122322
	v_add_f64_e32 v[18:19], 0x3cb55915fceb588a, v[18:19]
	v_fmaak_f64 v[26:27], v[22:23], v[26:27], 0x3fa55555555502a1
	s_delay_alu instid0(VALU_DEP_1) | instskip(NEXT) | instid1(VALU_DEP_1)
	v_fmaak_f64 v[26:27], v[22:23], v[26:27], 0x3fc5555555555511
	v_fmaak_f64 v[26:27], v[22:23], v[26:27], 0x3fe000000000000b
	s_delay_alu instid0(VALU_DEP_1) | instskip(SKIP_1) | instid1(VALU_DEP_1)
	v_fma_f64 v[26:27], v[22:23], v[26:27], 1.0
	v_fma_f64 v[12:13], v[10:11], v[18:19], -v[12:13]
	v_add_f64_e32 v[12:13], 0x3cb7d68e5f04a2d1, v[12:13]
	s_delay_alu instid0(VALU_DEP_1) | instskip(NEXT) | instid1(VALU_DEP_1)
	v_fma_f64 v[18:19], v[10:11], v[12:13], -v[18:19]
	v_add_f64_e32 v[18:19], 0xbce0efcd8bc4d22a, v[18:19]
	s_delay_alu instid0(VALU_DEP_1) | instskip(NEXT) | instid1(VALU_DEP_1)
	;; [unrolled: 3-line block ×18, first 2 shown]
	v_fma_f64 v[12:13], v[10:11], v[18:19], -v[12:13]
	v_add_f64_e32 v[12:13], 0xbf83fda053fcdb4c, v[12:13]
	s_delay_alu instid0(VALU_DEP_1) | instskip(SKIP_1) | instid1(VALU_DEP_2)
	v_fma_f64 v[10:11], v[10:11], v[12:13], -v[18:19]
	v_fma_f64 v[12:13], v[22:23], v[26:27], 1.0
	v_add_f64_e32 v[10:11], 0x3fe8ea18b55b1514, v[10:11]
	s_delay_alu instid0(VALU_DEP_2) | instskip(NEXT) | instid1(VALU_DEP_2)
	v_ldexp_f64 v[12:13], v[12:13], v7
	v_add_f64_e64 v[18:19], v[10:11], -v[18:19]
	s_delay_alu instid0(VALU_DEP_2) | instskip(NEXT) | instid1(VALU_DEP_3)
	v_cndmask_b32_e32 v11, 0x7ff00000, v13, vcc_lo
	v_cndmask_b32_e32 v10, 0, v12, vcc_lo
	s_and_saveexec_b32 s5, s1
	s_delay_alu instid0(SALU_CYCLE_1)
	s_xor_b32 s1, exec_lo, s5
                                        ; implicit-def: $vgpr12_vgpr13
	s_cbranch_execz .LBB0_65
; %bb.64:
	v_cmp_gt_f64_e64 s5, 0x10000000, |v[8:9]|
	s_delay_alu instid0(VALU_DEP_1) | instskip(NEXT) | instid1(VALU_DEP_1)
	v_cndmask_b32_e64 v7, 0, 0x100, s5
	v_ldexp_f64 v[8:9], |v[8:9]|, v7
	v_cndmask_b32_e64 v7, 0, 0xffffff80, s5
	s_delay_alu instid0(VALU_DEP_2) | instskip(SKIP_1) | instid1(TRANS32_DEP_1)
	v_rsq_f64_e32 v[12:13], v[8:9]
	v_cmp_class_f64_e64 vcc_lo, v[8:9], 0x260
	v_mul_f64_e32 v[20:21], v[8:9], v[12:13]
	v_mul_f64_e32 v[12:13], 0.5, v[12:13]
	s_delay_alu instid0(VALU_DEP_1) | instskip(NEXT) | instid1(VALU_DEP_1)
	v_fma_f64 v[22:23], -v[12:13], v[20:21], 0.5
	v_fmac_f64_e32 v[20:21], v[20:21], v[22:23]
	v_fmac_f64_e32 v[12:13], v[12:13], v[22:23]
	s_delay_alu instid0(VALU_DEP_2) | instskip(NEXT) | instid1(VALU_DEP_1)
	v_fma_f64 v[22:23], -v[20:21], v[20:21], v[8:9]
	v_fmac_f64_e32 v[20:21], v[22:23], v[12:13]
	s_delay_alu instid0(VALU_DEP_1) | instskip(NEXT) | instid1(VALU_DEP_1)
	v_fma_f64 v[22:23], -v[20:21], v[20:21], v[8:9]
	v_fmac_f64_e32 v[20:21], v[22:23], v[12:13]
	v_mul_f64_e32 v[12:13], 0.5, v[18:19]
	s_delay_alu instid0(VALU_DEP_2) | instskip(NEXT) | instid1(VALU_DEP_1)
	v_ldexp_f64 v[18:19], v[20:21], v7
	v_cndmask_b32_e32 v9, v19, v9, vcc_lo
	s_delay_alu instid0(VALU_DEP_3) | instskip(NEXT) | instid1(VALU_DEP_3)
	v_mul_f64_e32 v[10:11], v[10:11], v[12:13]
	v_cndmask_b32_e32 v8, v18, v8, vcc_lo
	s_delay_alu instid0(VALU_DEP_1) | instskip(NEXT) | instid1(VALU_DEP_1)
	v_div_scale_f64 v[12:13], null, v[8:9], v[8:9], v[10:11]
	v_rcp_f64_e32 v[18:19], v[12:13]
	v_nop
	s_delay_alu instid0(TRANS32_DEP_1) | instskip(NEXT) | instid1(VALU_DEP_1)
	v_fma_f64 v[20:21], -v[12:13], v[18:19], 1.0
	v_fmac_f64_e32 v[18:19], v[18:19], v[20:21]
	s_delay_alu instid0(VALU_DEP_1) | instskip(NEXT) | instid1(VALU_DEP_1)
	v_fma_f64 v[20:21], -v[12:13], v[18:19], 1.0
	v_fmac_f64_e32 v[18:19], v[18:19], v[20:21]
	v_div_scale_f64 v[20:21], vcc_lo, v[10:11], v[8:9], v[10:11]
	s_delay_alu instid0(VALU_DEP_1) | instskip(NEXT) | instid1(VALU_DEP_1)
	v_mul_f64_e32 v[22:23], v[20:21], v[18:19]
	v_fma_f64 v[12:13], -v[12:13], v[22:23], v[20:21]
	s_delay_alu instid0(VALU_DEP_1) | instskip(NEXT) | instid1(VALU_DEP_1)
	v_div_fmas_f64 v[12:13], v[12:13], v[18:19], v[22:23]
                                        ; implicit-def: $vgpr18_vgpr19
	v_div_fixup_f64 v[12:13], v[12:13], v[8:9], v[10:11]
                                        ; implicit-def: $vgpr8_vgpr9
                                        ; implicit-def: $vgpr10_vgpr11
.LBB0_65:
	s_and_not1_saveexec_b32 s1, s1
	s_cbranch_execz .LBB0_67
; %bb.66:
	v_cmp_gt_f64_e64 s5, 0x10000000, |v[8:9]|
	s_delay_alu instid0(VALU_DEP_1) | instskip(NEXT) | instid1(VALU_DEP_1)
	v_cndmask_b32_e64 v7, 0, 0x100, s5
	v_ldexp_f64 v[8:9], |v[8:9]|, v7
	v_cndmask_b32_e64 v7, 0, 0xffffff80, s5
	s_delay_alu instid0(VALU_DEP_2) | instskip(SKIP_1) | instid1(TRANS32_DEP_1)
	v_rsq_f64_e32 v[12:13], v[8:9]
	v_cmp_class_f64_e64 vcc_lo, v[8:9], 0x260
	v_mul_f64_e32 v[20:21], v[8:9], v[12:13]
	v_mul_f64_e32 v[12:13], 0.5, v[12:13]
	s_delay_alu instid0(VALU_DEP_1) | instskip(NEXT) | instid1(VALU_DEP_1)
	v_fma_f64 v[22:23], -v[12:13], v[20:21], 0.5
	v_fmac_f64_e32 v[20:21], v[20:21], v[22:23]
	v_fmac_f64_e32 v[12:13], v[12:13], v[22:23]
	s_delay_alu instid0(VALU_DEP_2) | instskip(NEXT) | instid1(VALU_DEP_1)
	v_fma_f64 v[22:23], -v[20:21], v[20:21], v[8:9]
	v_fmac_f64_e32 v[20:21], v[22:23], v[12:13]
	s_delay_alu instid0(VALU_DEP_1) | instskip(NEXT) | instid1(VALU_DEP_1)
	v_fma_f64 v[22:23], -v[20:21], v[20:21], v[8:9]
	v_fmac_f64_e32 v[20:21], v[22:23], v[12:13]
	v_mul_f64_e32 v[12:13], -0.5, v[18:19]
	s_delay_alu instid0(VALU_DEP_2) | instskip(NEXT) | instid1(VALU_DEP_1)
	v_ldexp_f64 v[18:19], v[20:21], v7
	v_cndmask_b32_e32 v9, v19, v9, vcc_lo
	s_delay_alu instid0(VALU_DEP_3) | instskip(NEXT) | instid1(VALU_DEP_3)
	v_mul_f64_e32 v[10:11], v[10:11], v[12:13]
	v_cndmask_b32_e32 v8, v18, v8, vcc_lo
	s_delay_alu instid0(VALU_DEP_1) | instskip(NEXT) | instid1(VALU_DEP_1)
	v_div_scale_f64 v[12:13], null, v[8:9], v[8:9], v[10:11]
	v_rcp_f64_e32 v[18:19], v[12:13]
	v_nop
	s_delay_alu instid0(TRANS32_DEP_1) | instskip(NEXT) | instid1(VALU_DEP_1)
	v_fma_f64 v[20:21], -v[12:13], v[18:19], 1.0
	v_fmac_f64_e32 v[18:19], v[18:19], v[20:21]
	s_delay_alu instid0(VALU_DEP_1) | instskip(NEXT) | instid1(VALU_DEP_1)
	v_fma_f64 v[20:21], -v[12:13], v[18:19], 1.0
	v_fmac_f64_e32 v[18:19], v[18:19], v[20:21]
	v_div_scale_f64 v[20:21], vcc_lo, v[10:11], v[8:9], v[10:11]
	s_delay_alu instid0(VALU_DEP_1) | instskip(NEXT) | instid1(VALU_DEP_1)
	v_mul_f64_e32 v[22:23], v[20:21], v[18:19]
	v_fma_f64 v[12:13], -v[12:13], v[22:23], v[20:21]
	s_delay_alu instid0(VALU_DEP_1) | instskip(NEXT) | instid1(VALU_DEP_1)
	v_div_fmas_f64 v[12:13], v[12:13], v[18:19], v[22:23]
	v_div_fixup_f64 v[12:13], v[12:13], v[8:9], v[10:11]
.LBB0_67:
	s_or_b32 exec_lo, exec_lo, s1
.LBB0_68:
	s_delay_alu instid0(SALU_CYCLE_1) | instskip(NEXT) | instid1(SALU_CYCLE_1)
	s_or_b32 exec_lo, exec_lo, s4
	s_or_b32 exec_lo, exec_lo, s3
	s_and_saveexec_b32 s1, s0
	s_delay_alu instid0(SALU_CYCLE_1)
	s_xor_b32 s0, exec_lo, s1
	s_cbranch_execz .LBB0_52
.LBB0_69:
	v_dual_mov_b32 v7, 0 :: v_dual_mov_b32 v5, v24
	s_delay_alu instid0(VALU_DEP_1) | instskip(SKIP_3) | instid1(SALU_CYCLE_1)
	v_lshl_add_u64 v[6:7], v[6:7], 3, v[0:1]
	flat_store_b64 v[6:7], v[2:3]
	s_wait_xcnt 0x0
	s_or_b32 exec_lo, exec_lo, s0
	s_mov_b32 s0, exec_lo
	v_cmpx_lt_i32_e64 v5, v4
	s_cbranch_execz .LBB0_53
.LBB0_70:
	v_dual_mov_b32 v3, 0 :: v_dual_add_nc_u32 v2, s2, v5
	v_add_nc_u32_e32 v5, 0x100, v5
	s_delay_alu instid0(VALU_DEP_2) | instskip(SKIP_3) | instid1(SALU_CYCLE_1)
	v_lshl_add_u64 v[2:3], v[2:3], 3, v[0:1]
	flat_store_b64 v[2:3], v[16:17]
	s_wait_xcnt 0x0
	s_or_b32 exec_lo, exec_lo, s0
	s_mov_b32 s0, exec_lo
	v_cmpx_lt_i32_e64 v5, v4
	s_cbranch_execz .LBB0_54
.LBB0_71:
	v_dual_mov_b32 v3, 0 :: v_dual_add_nc_u32 v2, s2, v5
	v_add_nc_u32_e32 v5, 0x100, v5
	s_delay_alu instid0(VALU_DEP_2) | instskip(SKIP_3) | instid1(SALU_CYCLE_1)
	v_lshl_add_u64 v[2:3], v[2:3], 3, v[0:1]
	flat_store_b64 v[2:3], v[14:15]
	s_wait_xcnt 0x0
	s_or_b32 exec_lo, exec_lo, s0
	s_mov_b32 s0, exec_lo
	v_cmpx_lt_i32_e64 v5, v4
	s_cbranch_execz .LBB0_55
.LBB0_72:
	v_dual_mov_b32 v3, 0 :: v_dual_add_nc_u32 v2, s2, v5
	s_delay_alu instid0(VALU_DEP_1)
	v_lshl_add_u64 v[0:1], v[2:3], 3, v[0:1]
	flat_store_b64 v[0:1], v[12:13]
	s_wait_xcnt 0x0
	s_or_b32 exec_lo, exec_lo, s0
	s_wait_loadcnt_dscnt 0x0
	s_set_pc_i64 s[30:31]
.Lfunc_end0:
	.size	_ZN2at6native25elementwise_kernel_helperILb0EZZZNS0_12_GLOBAL__N_130modified_bessel_i1_kernel_cudaERNS_18TensorIteratorBaseEENKUlvE_clEvENKUlvE_clEvEUldE_NS0_6memory8policies11unroll_baseILi256ESt5arrayIPcLm2EE23TrivialOffsetCalculatorILi1EjESF_NS8_15LoadWithoutCastENS8_16StoreWithoutCastELi4ELi1EEEEEvT0_T1_, .Lfunc_end0-_ZN2at6native25elementwise_kernel_helperILb0EZZZNS0_12_GLOBAL__N_130modified_bessel_i1_kernel_cudaERNS_18TensorIteratorBaseEENKUlvE_clEvENKUlvE_clEvEUldE_NS0_6memory8policies11unroll_baseILi256ESt5arrayIPcLm2EE23TrivialOffsetCalculatorILi1EjESF_NS8_15LoadWithoutCastENS8_16StoreWithoutCastELi4ELi1EEEEEvT0_T1_
                                        ; -- End function
	.set .L_ZN2at6native25elementwise_kernel_helperILb0EZZZNS0_12_GLOBAL__N_130modified_bessel_i1_kernel_cudaERNS_18TensorIteratorBaseEENKUlvE_clEvENKUlvE_clEvEUldE_NS0_6memory8policies11unroll_baseILi256ESt5arrayIPcLm2EE23TrivialOffsetCalculatorILi1EjESF_NS8_15LoadWithoutCastENS8_16StoreWithoutCastELi4ELi1EEEEEvT0_T1_.num_vgpr, 32
	.set .L_ZN2at6native25elementwise_kernel_helperILb0EZZZNS0_12_GLOBAL__N_130modified_bessel_i1_kernel_cudaERNS_18TensorIteratorBaseEENKUlvE_clEvENKUlvE_clEvEUldE_NS0_6memory8policies11unroll_baseILi256ESt5arrayIPcLm2EE23TrivialOffsetCalculatorILi1EjESF_NS8_15LoadWithoutCastENS8_16StoreWithoutCastELi4ELi1EEEEEvT0_T1_.num_agpr, 0
	.set .L_ZN2at6native25elementwise_kernel_helperILb0EZZZNS0_12_GLOBAL__N_130modified_bessel_i1_kernel_cudaERNS_18TensorIteratorBaseEENKUlvE_clEvENKUlvE_clEvEUldE_NS0_6memory8policies11unroll_baseILi256ESt5arrayIPcLm2EE23TrivialOffsetCalculatorILi1EjESF_NS8_15LoadWithoutCastENS8_16StoreWithoutCastELi4ELi1EEEEEvT0_T1_.numbered_sgpr, 32
	.set .L_ZN2at6native25elementwise_kernel_helperILb0EZZZNS0_12_GLOBAL__N_130modified_bessel_i1_kernel_cudaERNS_18TensorIteratorBaseEENKUlvE_clEvENKUlvE_clEvEUldE_NS0_6memory8policies11unroll_baseILi256ESt5arrayIPcLm2EE23TrivialOffsetCalculatorILi1EjESF_NS8_15LoadWithoutCastENS8_16StoreWithoutCastELi4ELi1EEEEEvT0_T1_.num_named_barrier, 0
	.set .L_ZN2at6native25elementwise_kernel_helperILb0EZZZNS0_12_GLOBAL__N_130modified_bessel_i1_kernel_cudaERNS_18TensorIteratorBaseEENKUlvE_clEvENKUlvE_clEvEUldE_NS0_6memory8policies11unroll_baseILi256ESt5arrayIPcLm2EE23TrivialOffsetCalculatorILi1EjESF_NS8_15LoadWithoutCastENS8_16StoreWithoutCastELi4ELi1EEEEEvT0_T1_.private_seg_size, 0
	.set .L_ZN2at6native25elementwise_kernel_helperILb0EZZZNS0_12_GLOBAL__N_130modified_bessel_i1_kernel_cudaERNS_18TensorIteratorBaseEENKUlvE_clEvENKUlvE_clEvEUldE_NS0_6memory8policies11unroll_baseILi256ESt5arrayIPcLm2EE23TrivialOffsetCalculatorILi1EjESF_NS8_15LoadWithoutCastENS8_16StoreWithoutCastELi4ELi1EEEEEvT0_T1_.uses_vcc, 1
	.set .L_ZN2at6native25elementwise_kernel_helperILb0EZZZNS0_12_GLOBAL__N_130modified_bessel_i1_kernel_cudaERNS_18TensorIteratorBaseEENKUlvE_clEvENKUlvE_clEvEUldE_NS0_6memory8policies11unroll_baseILi256ESt5arrayIPcLm2EE23TrivialOffsetCalculatorILi1EjESF_NS8_15LoadWithoutCastENS8_16StoreWithoutCastELi4ELi1EEEEEvT0_T1_.uses_flat_scratch, 0
	.set .L_ZN2at6native25elementwise_kernel_helperILb0EZZZNS0_12_GLOBAL__N_130modified_bessel_i1_kernel_cudaERNS_18TensorIteratorBaseEENKUlvE_clEvENKUlvE_clEvEUldE_NS0_6memory8policies11unroll_baseILi256ESt5arrayIPcLm2EE23TrivialOffsetCalculatorILi1EjESF_NS8_15LoadWithoutCastENS8_16StoreWithoutCastELi4ELi1EEEEEvT0_T1_.has_dyn_sized_stack, 0
	.set .L_ZN2at6native25elementwise_kernel_helperILb0EZZZNS0_12_GLOBAL__N_130modified_bessel_i1_kernel_cudaERNS_18TensorIteratorBaseEENKUlvE_clEvENKUlvE_clEvEUldE_NS0_6memory8policies11unroll_baseILi256ESt5arrayIPcLm2EE23TrivialOffsetCalculatorILi1EjESF_NS8_15LoadWithoutCastENS8_16StoreWithoutCastELi4ELi1EEEEEvT0_T1_.has_recursion, 0
	.set .L_ZN2at6native25elementwise_kernel_helperILb0EZZZNS0_12_GLOBAL__N_130modified_bessel_i1_kernel_cudaERNS_18TensorIteratorBaseEENKUlvE_clEvENKUlvE_clEvEUldE_NS0_6memory8policies11unroll_baseILi256ESt5arrayIPcLm2EE23TrivialOffsetCalculatorILi1EjESF_NS8_15LoadWithoutCastENS8_16StoreWithoutCastELi4ELi1EEEEEvT0_T1_.has_indirect_call, 0
	.section	.AMDGPU.csdata,"",@progbits
; Function info:
; codeLenInByte = 11364
; TotalNumSgprs: 34
; NumVgprs: 32
; ScratchSize: 0
; MemoryBound: 0
	.text
	.p2align	2                               ; -- Begin function _ZN2at6native25elementwise_kernel_helperILb0EZZZNS0_12_GLOBAL__N_130modified_bessel_i1_kernel_cudaERNS_18TensorIteratorBaseEENKUlvE_clEvENKUlvE_clEvEUldE_NS0_6memory8policies10vectorizedILi4ESt5arrayIPcLm2EELi4EEEEEvT0_T1_
	.type	_ZN2at6native25elementwise_kernel_helperILb0EZZZNS0_12_GLOBAL__N_130modified_bessel_i1_kernel_cudaERNS_18TensorIteratorBaseEENKUlvE_clEvENKUlvE_clEvEUldE_NS0_6memory8policies10vectorizedILi4ESt5arrayIPcLm2EELi4EEEEEvT0_T1_,@function
_ZN2at6native25elementwise_kernel_helperILb0EZZZNS0_12_GLOBAL__N_130modified_bessel_i1_kernel_cudaERNS_18TensorIteratorBaseEENKUlvE_clEvENKUlvE_clEvEUldE_NS0_6memory8policies10vectorizedILi4ESt5arrayIPcLm2EELi4EEEEEvT0_T1_: ; @_ZN2at6native25elementwise_kernel_helperILb0EZZZNS0_12_GLOBAL__N_130modified_bessel_i1_kernel_cudaERNS_18TensorIteratorBaseEENKUlvE_clEvENKUlvE_clEvEUldE_NS0_6memory8policies10vectorizedILi4ESt5arrayIPcLm2EELi4EEEEEvT0_T1_
; %bb.0:
	s_wait_loadcnt_dscnt 0x0
	s_wait_kmcnt 0x0
	s_bfe_u32 s0, ttmp6, 0x4000c
	s_and_b32 s1, ttmp6, 15
	s_add_co_i32 s0, s0, 1
	s_getreg_b32 s2, hwreg(HW_REG_IB_STS2, 6, 4)
	s_mul_i32 s0, ttmp9, s0
	v_and_b32_e32 v4, 0x3ff, v31
	s_add_co_i32 s1, s1, s0
	s_cmp_eq_u32 s2, 0
	v_mov_b32_e32 v15, 0
	s_cselect_b32 s0, ttmp9, s1
	v_lshlrev_b32_e32 v14, 5, v4
	s_lshl_b32 s2, s0, 10
	s_delay_alu instid0(SALU_CYCLE_1) | instskip(NEXT) | instid1(SALU_CYCLE_1)
	s_ashr_i32 s3, s2, 31
	v_lshl_add_u64 v[2:3], s[2:3], 3, v[2:3]
	s_delay_alu instid0(VALU_DEP_1)
	v_add_nc_u64_e32 v[6:7], v[2:3], v[14:15]
	s_clause 0x1
	flat_load_b128 v[8:11], v[6:7]
	flat_load_b128 v[2:5], v[6:7] offset:16
                                        ; implicit-def: $vgpr6_vgpr7
	s_wait_loadcnt_dscnt 0x101
	v_cmp_ge_f64_e64 s0, 0x40200000, |v[8:9]|
	s_wait_xcnt 0x0
	s_and_saveexec_b32 s1, s0
	s_delay_alu instid0(SALU_CYCLE_1)
	s_xor_b32 s0, exec_lo, s1
	s_cbranch_execz .LBB1_6
; %bb.1:
	v_fma_f64 v[6:7], |v[8:9]|, 0.5, -2.0
	s_mov_b64 s[4:5], 0x3c499f2a0c3c4014
	s_mov_b32 s1, exec_lo
	s_delay_alu instid0(VALU_DEP_1) | instskip(SKIP_1) | instid1(SALU_CYCLE_1)
	v_fmaak_f64 v[12:13], s[4:5], v[6:7], 0xbc7857d0c38a0576
	s_mov_b64 s[4:5], 0x3ff71547652b82fe
	v_mul_f64_e64 v[18:19], |v[8:9]|, s[4:5]
	s_mov_b64 s[4:5], 0xbfe62e42fefa39ef
	s_delay_alu instid0(VALU_DEP_2) | instskip(NEXT) | instid1(VALU_DEP_1)
	v_fmaak_f64 v[16:17], v[6:7], v[12:13], 0xbc499f2a0c3c4014
	v_add_f64_e32 v[16:17], 0x3ca663e3e593bfac, v[16:17]
	s_delay_alu instid0(VALU_DEP_3) | instskip(NEXT) | instid1(VALU_DEP_2)
	v_rndne_f64_e32 v[18:19], v[18:19]
	v_fma_f64 v[12:13], v[6:7], v[16:17], -v[12:13]
	s_delay_alu instid0(VALU_DEP_2) | instskip(SKIP_2) | instid1(VALU_DEP_3)
	v_fma_f64 v[20:21], v[18:19], s[4:5], |v[8:9]|
	s_mov_b64 s[4:5], 0x3e5ade156a5dcb37
	v_cvt_i32_f64_e32 v15, v[18:19]
	v_add_f64_e32 v[12:13], 0xbcd3eaaa7e0d1573, v[12:13]
	s_delay_alu instid0(VALU_DEP_1) | instskip(NEXT) | instid1(VALU_DEP_1)
	v_fma_f64 v[16:17], v[6:7], v[12:13], -v[16:17]
	v_add_f64_e32 v[16:17], 0x3d011d7f0615290c, v[16:17]
	s_delay_alu instid0(VALU_DEP_1) | instskip(NEXT) | instid1(VALU_DEP_1)
	v_fma_f64 v[12:13], v[6:7], v[16:17], -v[12:13]
	;; [unrolled: 3-line block ×24, first 2 shown]
	v_add_f64_e32 v[12:13], 0xbfc694d10469192e, v[12:13]
	s_delay_alu instid0(VALU_DEP_1) | instskip(SKIP_1) | instid1(VALU_DEP_1)
	v_fma_f64 v[6:7], v[6:7], v[12:13], -v[16:17]
	v_fmamk_f64 v[12:13], v[18:19], 0xbc7abc9e3b39803f, v[20:21]
	v_fmaak_f64 v[20:21], s[4:5], v[12:13], 0x3e928af3fca7ab0c
	s_delay_alu instid0(VALU_DEP_1) | instskip(NEXT) | instid1(VALU_DEP_1)
	v_fmaak_f64 v[20:21], v[12:13], v[20:21], 0x3ec71dee623fde64
	v_fmaak_f64 v[20:21], v[12:13], v[20:21], 0x3efa01997c89e6b0
	s_delay_alu instid0(VALU_DEP_1) | instskip(SKIP_1) | instid1(VALU_DEP_2)
	v_fmaak_f64 v[20:21], v[12:13], v[20:21], 0x3f2a01a014761f6e
	v_add_f64_e32 v[6:7], 0x3fd02a63724a7ffa, v[6:7]
	v_fmaak_f64 v[20:21], v[12:13], v[20:21], 0x3f56c16c1852b7b0
	s_delay_alu instid0(VALU_DEP_2) | instskip(NEXT) | instid1(VALU_DEP_2)
	v_add_f64_e64 v[6:7], v[6:7], -v[16:17]
	v_fmaak_f64 v[16:17], v[12:13], v[20:21], 0x3f81111111122322
	s_delay_alu instid0(VALU_DEP_1) | instskip(NEXT) | instid1(VALU_DEP_1)
	v_fmaak_f64 v[16:17], v[12:13], v[16:17], 0x3fa55555555502a1
	v_fmaak_f64 v[16:17], v[12:13], v[16:17], 0x3fc5555555555511
	s_delay_alu instid0(VALU_DEP_1) | instskip(NEXT) | instid1(VALU_DEP_1)
	v_fmaak_f64 v[16:17], v[12:13], v[16:17], 0x3fe000000000000b
	v_fma_f64 v[16:17], v[12:13], v[16:17], 1.0
	v_mul_f64_e32 v[6:7], 0.5, v[6:7]
	s_delay_alu instid0(VALU_DEP_2) | instskip(NEXT) | instid1(VALU_DEP_2)
	v_fma_f64 v[16:17], v[12:13], v[16:17], 1.0
	v_mul_f64_e64 v[12:13], |v[8:9]|, v[6:7]
                                        ; implicit-def: $vgpr6_vgpr7
	v_cmpx_ngt_f64_e32 0, v[8:9]
	s_xor_b32 s1, exec_lo, s1
	s_cbranch_execz .LBB1_3
; %bb.2:
	s_delay_alu instid0(VALU_DEP_3) | instskip(SKIP_1) | instid1(VALU_DEP_2)
	v_ldexp_f64 v[6:7], v[16:17], v15
	v_cmp_nlt_f64_e64 vcc_lo, 0x40900000, |v[8:9]|
                                        ; implicit-def: $vgpr16_vgpr17
                                        ; implicit-def: $vgpr15
	v_cndmask_b32_e32 v7, 0x7ff00000, v7, vcc_lo
	s_delay_alu instid0(VALU_DEP_3) | instskip(NEXT) | instid1(VALU_DEP_1)
	v_cndmask_b32_e32 v6, 0, v6, vcc_lo
	v_mul_f64_e32 v[6:7], v[6:7], v[12:13]
                                        ; implicit-def: $vgpr12_vgpr13
.LBB1_3:
	s_and_not1_saveexec_b32 s1, s1
	s_cbranch_execz .LBB1_5
; %bb.4:
	s_delay_alu instid0(VALU_DEP_3) | instskip(SKIP_1) | instid1(VALU_DEP_2)
	v_ldexp_f64 v[6:7], -v[16:17], v15
	v_cmp_nlt_f64_e64 vcc_lo, 0x40900000, |v[8:9]|
	v_cndmask_b32_e32 v7, 0xfff00000, v7, vcc_lo
	s_delay_alu instid0(VALU_DEP_3) | instskip(NEXT) | instid1(VALU_DEP_1)
	v_cndmask_b32_e32 v6, 0, v6, vcc_lo
	v_mul_f64_e32 v[6:7], v[6:7], v[12:13]
.LBB1_5:
	s_or_b32 exec_lo, exec_lo, s1
.LBB1_6:
	s_and_not1_saveexec_b32 s1, s0
	s_cbranch_execz .LBB1_12
; %bb.7:
	v_and_b32_e32 v7, 0x7fffffff, v9
	v_mov_b32_e32 v6, v8
	s_mov_b64 s[4:5], 0x3c61556db352e8e6
	v_cmp_ngt_f64_e64 s0, 0, v[8:9]
	s_delay_alu instid0(VALU_DEP_2) | instskip(SKIP_1) | instid1(VALU_DEP_2)
	v_div_scale_f64 v[12:13], null, v[6:7], v[6:7], 0x40400000
	v_div_scale_f64 v[6:7], vcc_lo, 0x40400000, v[6:7], 0x40400000
	v_rcp_f64_e32 v[16:17], v[12:13]
	v_nop
	s_delay_alu instid0(TRANS32_DEP_1) | instskip(NEXT) | instid1(VALU_DEP_1)
	v_fma_f64 v[18:19], -v[12:13], v[16:17], 1.0
	v_fmac_f64_e32 v[16:17], v[16:17], v[18:19]
	s_delay_alu instid0(VALU_DEP_1) | instskip(NEXT) | instid1(VALU_DEP_1)
	v_fma_f64 v[18:19], -v[12:13], v[16:17], 1.0
	v_fmac_f64_e32 v[16:17], v[16:17], v[18:19]
	s_delay_alu instid0(VALU_DEP_1) | instskip(NEXT) | instid1(VALU_DEP_1)
	v_mul_f64_e32 v[18:19], v[6:7], v[16:17]
	v_fma_f64 v[6:7], -v[12:13], v[18:19], v[6:7]
	s_delay_alu instid0(VALU_DEP_1) | instskip(SKIP_1) | instid1(VALU_DEP_2)
	v_div_fmas_f64 v[6:7], v[6:7], v[16:17], v[18:19]
	v_cmp_nlt_f64_e64 vcc_lo, 0x40900000, |v[8:9]|
	v_div_fixup_f64 v[6:7], v[6:7], |v[8:9]|, 0x40400000
	s_delay_alu instid0(VALU_DEP_1) | instskip(NEXT) | instid1(VALU_DEP_1)
	v_add_f64_e32 v[6:7], -2.0, v[6:7]
	v_fmaak_f64 v[12:13], s[4:5], v[6:7], 0x3c545b8aea87b950
	s_mov_b64 s[4:5], 0x3ff71547652b82fe
	s_delay_alu instid0(SALU_CYCLE_1) | instskip(SKIP_1) | instid1(VALU_DEP_2)
	v_mul_f64_e64 v[18:19], |v[8:9]|, s[4:5]
	s_mov_b64 s[4:5], 0xbfe62e42fefa39ef
	v_fmaak_f64 v[16:17], v[6:7], v[12:13], 0xbc61556db352e8e6
	s_delay_alu instid0(VALU_DEP_1) | instskip(NEXT) | instid1(VALU_DEP_3)
	v_add_f64_e32 v[16:17], 0xbc8acea3b2532277, v[16:17]
	v_rndne_f64_e32 v[18:19], v[18:19]
	s_delay_alu instid0(VALU_DEP_2) | instskip(NEXT) | instid1(VALU_DEP_2)
	v_fma_f64 v[12:13], v[6:7], v[16:17], -v[12:13]
	v_fma_f64 v[20:21], v[18:19], s[4:5], |v[8:9]|
	s_mov_b64 s[4:5], 0x3e5ade156a5dcb37
	v_cvt_i32_f64_e32 v15, v[18:19]
	s_delay_alu instid0(VALU_DEP_3) | instskip(NEXT) | instid1(VALU_DEP_3)
	v_add_f64_e32 v[12:13], 0xbc82806c9c773320, v[12:13]
	v_fmamk_f64 v[20:21], v[18:19], 0xbc7abc9e3b39803f, v[20:21]
	s_delay_alu instid0(VALU_DEP_1) | instskip(NEXT) | instid1(VALU_DEP_3)
	v_fmaak_f64 v[22:23], s[4:5], v[20:21], 0x3e928af3fca7ab0c
	v_fma_f64 v[16:17], v[6:7], v[12:13], -v[16:17]
	s_delay_alu instid0(VALU_DEP_2) | instskip(NEXT) | instid1(VALU_DEP_1)
	v_fmaak_f64 v[22:23], v[20:21], v[22:23], 0x3ec71dee623fde64
	v_fmaak_f64 v[22:23], v[20:21], v[22:23], 0x3efa01997c89e6b0
	s_delay_alu instid0(VALU_DEP_1) | instskip(NEXT) | instid1(VALU_DEP_1)
	v_fmaak_f64 v[22:23], v[20:21], v[22:23], 0x3f2a01a014761f6e
	v_fmaak_f64 v[22:23], v[20:21], v[22:23], 0x3f56c16c1852b7b0
	s_delay_alu instid0(VALU_DEP_1) | instskip(SKIP_1) | instid1(VALU_DEP_2)
	v_fmaak_f64 v[22:23], v[20:21], v[22:23], 0x3f81111111122322
	v_add_f64_e32 v[16:17], 0x3cb55915fceb588a, v[16:17]
	v_fmaak_f64 v[22:23], v[20:21], v[22:23], 0x3fa55555555502a1
	s_delay_alu instid0(VALU_DEP_1) | instskip(NEXT) | instid1(VALU_DEP_1)
	v_fmaak_f64 v[22:23], v[20:21], v[22:23], 0x3fc5555555555511
	v_fmaak_f64 v[22:23], v[20:21], v[22:23], 0x3fe000000000000b
	s_delay_alu instid0(VALU_DEP_1) | instskip(SKIP_1) | instid1(VALU_DEP_1)
	v_fma_f64 v[22:23], v[20:21], v[22:23], 1.0
	v_fma_f64 v[12:13], v[6:7], v[16:17], -v[12:13]
	v_add_f64_e32 v[12:13], 0x3cb7d68e5f04a2d1, v[12:13]
	s_delay_alu instid0(VALU_DEP_1) | instskip(NEXT) | instid1(VALU_DEP_1)
	v_fma_f64 v[16:17], v[6:7], v[12:13], -v[16:17]
	v_add_f64_e32 v[16:17], 0xbce0efcd8bc4d22a, v[16:17]
	s_delay_alu instid0(VALU_DEP_1) | instskip(NEXT) | instid1(VALU_DEP_1)
	;; [unrolled: 3-line block ×18, first 2 shown]
	v_fma_f64 v[12:13], v[6:7], v[16:17], -v[12:13]
	v_add_f64_e32 v[12:13], 0xbf83fda053fcdb4c, v[12:13]
	s_delay_alu instid0(VALU_DEP_1) | instskip(SKIP_1) | instid1(VALU_DEP_2)
	v_fma_f64 v[6:7], v[6:7], v[12:13], -v[16:17]
	v_fma_f64 v[12:13], v[20:21], v[22:23], 1.0
	v_add_f64_e32 v[6:7], 0x3fe8ea18b55b1514, v[6:7]
	s_delay_alu instid0(VALU_DEP_2) | instskip(NEXT) | instid1(VALU_DEP_2)
	v_ldexp_f64 v[12:13], v[12:13], v15
	v_add_f64_e64 v[16:17], v[6:7], -v[16:17]
	s_delay_alu instid0(VALU_DEP_2) | instskip(NEXT) | instid1(VALU_DEP_3)
	v_cndmask_b32_e32 v13, 0x7ff00000, v13, vcc_lo
	v_cndmask_b32_e32 v12, 0, v12, vcc_lo
                                        ; implicit-def: $vgpr6_vgpr7
	s_and_saveexec_b32 s4, s0
	s_delay_alu instid0(SALU_CYCLE_1)
	s_xor_b32 s0, exec_lo, s4
	s_cbranch_execz .LBB1_9
; %bb.8:
	v_cmp_gt_f64_e64 s4, 0x10000000, |v[8:9]|
	s_delay_alu instid0(VALU_DEP_4) | instskip(NEXT) | instid1(VALU_DEP_2)
	v_mul_f64_e32 v[16:17], 0.5, v[16:17]
	v_cndmask_b32_e64 v6, 0, 0x100, s4
	v_cndmask_b32_e64 v15, 0, 0xffffff80, s4
	s_delay_alu instid0(VALU_DEP_3) | instskip(NEXT) | instid1(VALU_DEP_3)
	v_mul_f64_e32 v[12:13], v[12:13], v[16:17]
	v_ldexp_f64 v[6:7], |v[8:9]|, v6
	s_delay_alu instid0(VALU_DEP_1) | instskip(SKIP_1) | instid1(TRANS32_DEP_1)
	v_rsq_f64_e32 v[18:19], v[6:7]
	v_cmp_class_f64_e64 vcc_lo, v[6:7], 0x260
	v_mul_f64_e32 v[20:21], v[6:7], v[18:19]
	v_mul_f64_e32 v[18:19], 0.5, v[18:19]
	s_delay_alu instid0(VALU_DEP_1) | instskip(NEXT) | instid1(VALU_DEP_1)
	v_fma_f64 v[22:23], -v[18:19], v[20:21], 0.5
	v_fmac_f64_e32 v[20:21], v[20:21], v[22:23]
	v_fmac_f64_e32 v[18:19], v[18:19], v[22:23]
	s_delay_alu instid0(VALU_DEP_2) | instskip(NEXT) | instid1(VALU_DEP_1)
	v_fma_f64 v[22:23], -v[20:21], v[20:21], v[6:7]
	v_fmac_f64_e32 v[20:21], v[22:23], v[18:19]
	s_delay_alu instid0(VALU_DEP_1) | instskip(NEXT) | instid1(VALU_DEP_1)
	v_fma_f64 v[22:23], -v[20:21], v[20:21], v[6:7]
	v_fmac_f64_e32 v[20:21], v[22:23], v[18:19]
	s_delay_alu instid0(VALU_DEP_1) | instskip(NEXT) | instid1(VALU_DEP_1)
	v_ldexp_f64 v[18:19], v[20:21], v15
	v_dual_cndmask_b32 v7, v19, v7 :: v_dual_cndmask_b32 v6, v18, v6
	s_delay_alu instid0(VALU_DEP_1) | instskip(NEXT) | instid1(VALU_DEP_1)
	v_div_scale_f64 v[16:17], null, v[6:7], v[6:7], v[12:13]
	v_rcp_f64_e32 v[18:19], v[16:17]
	v_nop
	s_delay_alu instid0(TRANS32_DEP_1) | instskip(NEXT) | instid1(VALU_DEP_1)
	v_fma_f64 v[20:21], -v[16:17], v[18:19], 1.0
	v_fmac_f64_e32 v[18:19], v[18:19], v[20:21]
	s_delay_alu instid0(VALU_DEP_1) | instskip(NEXT) | instid1(VALU_DEP_1)
	v_fma_f64 v[20:21], -v[16:17], v[18:19], 1.0
	v_fmac_f64_e32 v[18:19], v[18:19], v[20:21]
	v_div_scale_f64 v[20:21], vcc_lo, v[12:13], v[6:7], v[12:13]
	s_delay_alu instid0(VALU_DEP_1) | instskip(NEXT) | instid1(VALU_DEP_1)
	v_mul_f64_e32 v[22:23], v[20:21], v[18:19]
	v_fma_f64 v[16:17], -v[16:17], v[22:23], v[20:21]
	s_delay_alu instid0(VALU_DEP_1) | instskip(NEXT) | instid1(VALU_DEP_1)
	v_div_fmas_f64 v[16:17], v[16:17], v[18:19], v[22:23]
	v_div_fixup_f64 v[6:7], v[16:17], v[6:7], v[12:13]
                                        ; implicit-def: $vgpr16_vgpr17
                                        ; implicit-def: $vgpr12_vgpr13
.LBB1_9:
	s_and_not1_saveexec_b32 s0, s0
	s_cbranch_execz .LBB1_11
; %bb.10:
	v_cmp_gt_f64_e64 s4, 0x10000000, |v[8:9]|
	s_delay_alu instid0(VALU_DEP_1) | instskip(SKIP_1) | instid1(VALU_DEP_2)
	v_cndmask_b32_e64 v6, 0, 0x100, s4
	v_cndmask_b32_e64 v15, 0, 0xffffff80, s4
	v_ldexp_f64 v[6:7], |v[8:9]|, v6
	s_delay_alu instid0(VALU_DEP_1) | instskip(SKIP_1) | instid1(TRANS32_DEP_1)
	v_rsq_f64_e32 v[8:9], v[6:7]
	v_cmp_class_f64_e64 vcc_lo, v[6:7], 0x260
	v_mul_f64_e32 v[18:19], v[6:7], v[8:9]
	v_mul_f64_e32 v[8:9], 0.5, v[8:9]
	s_delay_alu instid0(VALU_DEP_1) | instskip(NEXT) | instid1(VALU_DEP_1)
	v_fma_f64 v[20:21], -v[8:9], v[18:19], 0.5
	v_fmac_f64_e32 v[18:19], v[18:19], v[20:21]
	v_fmac_f64_e32 v[8:9], v[8:9], v[20:21]
	s_delay_alu instid0(VALU_DEP_2) | instskip(NEXT) | instid1(VALU_DEP_1)
	v_fma_f64 v[20:21], -v[18:19], v[18:19], v[6:7]
	v_fmac_f64_e32 v[18:19], v[20:21], v[8:9]
	s_delay_alu instid0(VALU_DEP_1) | instskip(NEXT) | instid1(VALU_DEP_1)
	v_fma_f64 v[20:21], -v[18:19], v[18:19], v[6:7]
	v_fmac_f64_e32 v[18:19], v[20:21], v[8:9]
	v_mul_f64_e32 v[8:9], -0.5, v[16:17]
	s_delay_alu instid0(VALU_DEP_2) | instskip(NEXT) | instid1(VALU_DEP_2)
	v_ldexp_f64 v[16:17], v[18:19], v15
	v_mul_f64_e32 v[8:9], v[12:13], v[8:9]
	s_delay_alu instid0(VALU_DEP_2) | instskip(NEXT) | instid1(VALU_DEP_1)
	v_dual_cndmask_b32 v7, v17, v7 :: v_dual_cndmask_b32 v6, v16, v6
	v_div_scale_f64 v[12:13], null, v[6:7], v[6:7], v[8:9]
	s_delay_alu instid0(VALU_DEP_1) | instskip(SKIP_1) | instid1(TRANS32_DEP_1)
	v_rcp_f64_e32 v[16:17], v[12:13]
	v_nop
	v_fma_f64 v[18:19], -v[12:13], v[16:17], 1.0
	s_delay_alu instid0(VALU_DEP_1) | instskip(NEXT) | instid1(VALU_DEP_1)
	v_fmac_f64_e32 v[16:17], v[16:17], v[18:19]
	v_fma_f64 v[18:19], -v[12:13], v[16:17], 1.0
	s_delay_alu instid0(VALU_DEP_1) | instskip(SKIP_1) | instid1(VALU_DEP_1)
	v_fmac_f64_e32 v[16:17], v[16:17], v[18:19]
	v_div_scale_f64 v[18:19], vcc_lo, v[8:9], v[6:7], v[8:9]
	v_mul_f64_e32 v[20:21], v[18:19], v[16:17]
	s_delay_alu instid0(VALU_DEP_1) | instskip(NEXT) | instid1(VALU_DEP_1)
	v_fma_f64 v[12:13], -v[12:13], v[20:21], v[18:19]
	v_div_fmas_f64 v[12:13], v[12:13], v[16:17], v[20:21]
	s_delay_alu instid0(VALU_DEP_1)
	v_div_fixup_f64 v[6:7], v[12:13], v[6:7], v[8:9]
.LBB1_11:
	s_or_b32 exec_lo, exec_lo, s0
.LBB1_12:
	s_delay_alu instid0(SALU_CYCLE_1) | instskip(SKIP_2) | instid1(SALU_CYCLE_1)
	s_or_b32 exec_lo, exec_lo, s1
	v_cmp_ge_f64_e64 s0, 0x40200000, |v[10:11]|
	s_and_saveexec_b32 s1, s0
	s_xor_b32 s0, exec_lo, s1
	s_cbranch_execz .LBB1_18
; %bb.13:
	v_fma_f64 v[8:9], |v[10:11]|, 0.5, -2.0
	s_mov_b64 s[4:5], 0x3c499f2a0c3c4014
	s_mov_b32 s1, exec_lo
	s_delay_alu instid0(VALU_DEP_1) | instskip(SKIP_1) | instid1(SALU_CYCLE_1)
	v_fmaak_f64 v[12:13], s[4:5], v[8:9], 0xbc7857d0c38a0576
	s_mov_b64 s[4:5], 0x3ff71547652b82fe
	v_mul_f64_e64 v[18:19], |v[10:11]|, s[4:5]
	s_mov_b64 s[4:5], 0xbfe62e42fefa39ef
	s_delay_alu instid0(VALU_DEP_2) | instskip(NEXT) | instid1(VALU_DEP_1)
	v_fmaak_f64 v[16:17], v[8:9], v[12:13], 0xbc499f2a0c3c4014
	v_add_f64_e32 v[16:17], 0x3ca663e3e593bfac, v[16:17]
	s_delay_alu instid0(VALU_DEP_3) | instskip(NEXT) | instid1(VALU_DEP_2)
	v_rndne_f64_e32 v[18:19], v[18:19]
	v_fma_f64 v[12:13], v[8:9], v[16:17], -v[12:13]
	s_delay_alu instid0(VALU_DEP_2) | instskip(SKIP_2) | instid1(VALU_DEP_3)
	v_fma_f64 v[20:21], v[18:19], s[4:5], |v[10:11]|
	s_mov_b64 s[4:5], 0x3e5ade156a5dcb37
	v_cvt_i32_f64_e32 v15, v[18:19]
	v_add_f64_e32 v[12:13], 0xbcd3eaaa7e0d1573, v[12:13]
	s_delay_alu instid0(VALU_DEP_1) | instskip(NEXT) | instid1(VALU_DEP_1)
	v_fma_f64 v[16:17], v[8:9], v[12:13], -v[16:17]
	v_add_f64_e32 v[16:17], 0x3d011d7f0615290c, v[16:17]
	s_delay_alu instid0(VALU_DEP_1) | instskip(NEXT) | instid1(VALU_DEP_1)
	v_fma_f64 v[12:13], v[8:9], v[16:17], -v[12:13]
	;; [unrolled: 3-line block ×24, first 2 shown]
	v_add_f64_e32 v[12:13], 0xbfc694d10469192e, v[12:13]
	s_delay_alu instid0(VALU_DEP_1) | instskip(SKIP_1) | instid1(VALU_DEP_1)
	v_fma_f64 v[8:9], v[8:9], v[12:13], -v[16:17]
	v_fmamk_f64 v[12:13], v[18:19], 0xbc7abc9e3b39803f, v[20:21]
	v_fmaak_f64 v[20:21], s[4:5], v[12:13], 0x3e928af3fca7ab0c
	s_delay_alu instid0(VALU_DEP_1) | instskip(NEXT) | instid1(VALU_DEP_1)
	v_fmaak_f64 v[20:21], v[12:13], v[20:21], 0x3ec71dee623fde64
	v_fmaak_f64 v[20:21], v[12:13], v[20:21], 0x3efa01997c89e6b0
	s_delay_alu instid0(VALU_DEP_1) | instskip(SKIP_1) | instid1(VALU_DEP_2)
	v_fmaak_f64 v[20:21], v[12:13], v[20:21], 0x3f2a01a014761f6e
	v_add_f64_e32 v[8:9], 0x3fd02a63724a7ffa, v[8:9]
	v_fmaak_f64 v[20:21], v[12:13], v[20:21], 0x3f56c16c1852b7b0
	s_delay_alu instid0(VALU_DEP_2) | instskip(NEXT) | instid1(VALU_DEP_2)
	v_add_f64_e64 v[8:9], v[8:9], -v[16:17]
	v_fmaak_f64 v[16:17], v[12:13], v[20:21], 0x3f81111111122322
	s_delay_alu instid0(VALU_DEP_1) | instskip(NEXT) | instid1(VALU_DEP_1)
	v_fmaak_f64 v[16:17], v[12:13], v[16:17], 0x3fa55555555502a1
	v_fmaak_f64 v[16:17], v[12:13], v[16:17], 0x3fc5555555555511
	s_delay_alu instid0(VALU_DEP_1) | instskip(NEXT) | instid1(VALU_DEP_1)
	v_fmaak_f64 v[16:17], v[12:13], v[16:17], 0x3fe000000000000b
	v_fma_f64 v[16:17], v[12:13], v[16:17], 1.0
	v_mul_f64_e32 v[8:9], 0.5, v[8:9]
	s_delay_alu instid0(VALU_DEP_2) | instskip(NEXT) | instid1(VALU_DEP_2)
	v_fma_f64 v[16:17], v[12:13], v[16:17], 1.0
	v_mul_f64_e64 v[12:13], |v[10:11]|, v[8:9]
	v_cmpx_ngt_f64_e32 0, v[10:11]
	s_xor_b32 s1, exec_lo, s1
	s_cbranch_execz .LBB1_15
; %bb.14:
	s_delay_alu instid0(VALU_DEP_3) | instskip(SKIP_1) | instid1(VALU_DEP_2)
	v_ldexp_f64 v[8:9], v[16:17], v15
	v_cmp_nlt_f64_e64 vcc_lo, 0x40900000, |v[10:11]|
                                        ; implicit-def: $vgpr16_vgpr17
                                        ; implicit-def: $vgpr15
                                        ; implicit-def: $vgpr10_vgpr11
	v_cndmask_b32_e32 v9, 0x7ff00000, v9, vcc_lo
	s_delay_alu instid0(VALU_DEP_3) | instskip(NEXT) | instid1(VALU_DEP_1)
	v_cndmask_b32_e32 v8, 0, v8, vcc_lo
	v_mul_f64_e32 v[8:9], v[8:9], v[12:13]
                                        ; implicit-def: $vgpr12_vgpr13
.LBB1_15:
	s_and_not1_saveexec_b32 s1, s1
	s_cbranch_execz .LBB1_17
; %bb.16:
	s_delay_alu instid0(VALU_DEP_3) | instskip(SKIP_1) | instid1(VALU_DEP_2)
	v_ldexp_f64 v[8:9], -v[16:17], v15
	v_cmp_nlt_f64_e64 vcc_lo, 0x40900000, |v[10:11]|
	v_cndmask_b32_e32 v9, 0xfff00000, v9, vcc_lo
	s_delay_alu instid0(VALU_DEP_3) | instskip(NEXT) | instid1(VALU_DEP_1)
	v_cndmask_b32_e32 v8, 0, v8, vcc_lo
	v_mul_f64_e32 v[8:9], v[8:9], v[12:13]
.LBB1_17:
	s_or_b32 exec_lo, exec_lo, s1
                                        ; implicit-def: $vgpr10_vgpr11
.LBB1_18:
	s_and_not1_saveexec_b32 s1, s0
	s_cbranch_execz .LBB1_24
; %bb.19:
	v_and_b32_e32 v9, 0x7fffffff, v11
	v_mov_b32_e32 v8, v10
	s_mov_b64 s[4:5], 0x3c61556db352e8e6
	v_cmp_ngt_f64_e64 s0, 0, v[10:11]
	s_delay_alu instid0(VALU_DEP_2) | instskip(SKIP_1) | instid1(VALU_DEP_2)
	v_div_scale_f64 v[12:13], null, v[8:9], v[8:9], 0x40400000
	v_div_scale_f64 v[8:9], vcc_lo, 0x40400000, v[8:9], 0x40400000
	v_rcp_f64_e32 v[16:17], v[12:13]
	v_nop
	s_delay_alu instid0(TRANS32_DEP_1) | instskip(NEXT) | instid1(VALU_DEP_1)
	v_fma_f64 v[18:19], -v[12:13], v[16:17], 1.0
	v_fmac_f64_e32 v[16:17], v[16:17], v[18:19]
	s_delay_alu instid0(VALU_DEP_1) | instskip(NEXT) | instid1(VALU_DEP_1)
	v_fma_f64 v[18:19], -v[12:13], v[16:17], 1.0
	v_fmac_f64_e32 v[16:17], v[16:17], v[18:19]
	s_delay_alu instid0(VALU_DEP_1) | instskip(NEXT) | instid1(VALU_DEP_1)
	v_mul_f64_e32 v[18:19], v[8:9], v[16:17]
	v_fma_f64 v[8:9], -v[12:13], v[18:19], v[8:9]
	s_delay_alu instid0(VALU_DEP_1) | instskip(SKIP_1) | instid1(VALU_DEP_2)
	v_div_fmas_f64 v[8:9], v[8:9], v[16:17], v[18:19]
	v_cmp_nlt_f64_e64 vcc_lo, 0x40900000, |v[10:11]|
	v_div_fixup_f64 v[8:9], v[8:9], |v[10:11]|, 0x40400000
	s_delay_alu instid0(VALU_DEP_1) | instskip(NEXT) | instid1(VALU_DEP_1)
	v_add_f64_e32 v[8:9], -2.0, v[8:9]
	v_fmaak_f64 v[12:13], s[4:5], v[8:9], 0x3c545b8aea87b950
	s_mov_b64 s[4:5], 0x3ff71547652b82fe
	s_delay_alu instid0(SALU_CYCLE_1) | instskip(SKIP_1) | instid1(VALU_DEP_2)
	v_mul_f64_e64 v[18:19], |v[10:11]|, s[4:5]
	s_mov_b64 s[4:5], 0xbfe62e42fefa39ef
	v_fmaak_f64 v[16:17], v[8:9], v[12:13], 0xbc61556db352e8e6
	s_delay_alu instid0(VALU_DEP_1) | instskip(NEXT) | instid1(VALU_DEP_3)
	v_add_f64_e32 v[16:17], 0xbc8acea3b2532277, v[16:17]
	v_rndne_f64_e32 v[18:19], v[18:19]
	s_delay_alu instid0(VALU_DEP_2) | instskip(NEXT) | instid1(VALU_DEP_2)
	v_fma_f64 v[12:13], v[8:9], v[16:17], -v[12:13]
	v_fma_f64 v[20:21], v[18:19], s[4:5], |v[10:11]|
	s_mov_b64 s[4:5], 0x3e5ade156a5dcb37
	v_cvt_i32_f64_e32 v15, v[18:19]
	s_delay_alu instid0(VALU_DEP_3) | instskip(NEXT) | instid1(VALU_DEP_3)
	v_add_f64_e32 v[12:13], 0xbc82806c9c773320, v[12:13]
	v_fmamk_f64 v[20:21], v[18:19], 0xbc7abc9e3b39803f, v[20:21]
	s_delay_alu instid0(VALU_DEP_1) | instskip(NEXT) | instid1(VALU_DEP_3)
	v_fmaak_f64 v[22:23], s[4:5], v[20:21], 0x3e928af3fca7ab0c
	v_fma_f64 v[16:17], v[8:9], v[12:13], -v[16:17]
	s_delay_alu instid0(VALU_DEP_2) | instskip(NEXT) | instid1(VALU_DEP_1)
	v_fmaak_f64 v[22:23], v[20:21], v[22:23], 0x3ec71dee623fde64
	v_fmaak_f64 v[22:23], v[20:21], v[22:23], 0x3efa01997c89e6b0
	s_delay_alu instid0(VALU_DEP_1) | instskip(NEXT) | instid1(VALU_DEP_1)
	v_fmaak_f64 v[22:23], v[20:21], v[22:23], 0x3f2a01a014761f6e
	v_fmaak_f64 v[22:23], v[20:21], v[22:23], 0x3f56c16c1852b7b0
	s_delay_alu instid0(VALU_DEP_1) | instskip(SKIP_1) | instid1(VALU_DEP_2)
	v_fmaak_f64 v[22:23], v[20:21], v[22:23], 0x3f81111111122322
	v_add_f64_e32 v[16:17], 0x3cb55915fceb588a, v[16:17]
	v_fmaak_f64 v[22:23], v[20:21], v[22:23], 0x3fa55555555502a1
	s_delay_alu instid0(VALU_DEP_1) | instskip(NEXT) | instid1(VALU_DEP_1)
	v_fmaak_f64 v[22:23], v[20:21], v[22:23], 0x3fc5555555555511
	v_fmaak_f64 v[22:23], v[20:21], v[22:23], 0x3fe000000000000b
	s_delay_alu instid0(VALU_DEP_1) | instskip(SKIP_1) | instid1(VALU_DEP_1)
	v_fma_f64 v[22:23], v[20:21], v[22:23], 1.0
	v_fma_f64 v[12:13], v[8:9], v[16:17], -v[12:13]
	v_add_f64_e32 v[12:13], 0x3cb7d68e5f04a2d1, v[12:13]
	s_delay_alu instid0(VALU_DEP_1) | instskip(NEXT) | instid1(VALU_DEP_1)
	v_fma_f64 v[16:17], v[8:9], v[12:13], -v[16:17]
	v_add_f64_e32 v[16:17], 0xbce0efcd8bc4d22a, v[16:17]
	s_delay_alu instid0(VALU_DEP_1) | instskip(NEXT) | instid1(VALU_DEP_1)
	;; [unrolled: 3-line block ×18, first 2 shown]
	v_fma_f64 v[12:13], v[8:9], v[16:17], -v[12:13]
	v_add_f64_e32 v[12:13], 0xbf83fda053fcdb4c, v[12:13]
	s_delay_alu instid0(VALU_DEP_1) | instskip(SKIP_1) | instid1(VALU_DEP_2)
	v_fma_f64 v[8:9], v[8:9], v[12:13], -v[16:17]
	v_fma_f64 v[12:13], v[20:21], v[22:23], 1.0
	v_add_f64_e32 v[8:9], 0x3fe8ea18b55b1514, v[8:9]
	s_delay_alu instid0(VALU_DEP_2) | instskip(NEXT) | instid1(VALU_DEP_2)
	v_ldexp_f64 v[12:13], v[12:13], v15
	v_add_f64_e64 v[16:17], v[8:9], -v[16:17]
	s_delay_alu instid0(VALU_DEP_2) | instskip(NEXT) | instid1(VALU_DEP_3)
	v_cndmask_b32_e32 v13, 0x7ff00000, v13, vcc_lo
	v_cndmask_b32_e32 v12, 0, v12, vcc_lo
	s_and_saveexec_b32 s4, s0
	s_delay_alu instid0(SALU_CYCLE_1)
	s_xor_b32 s0, exec_lo, s4
	s_cbranch_execz .LBB1_21
; %bb.20:
	v_cmp_gt_f64_e64 s4, 0x10000000, |v[10:11]|
	s_delay_alu instid0(VALU_DEP_1) | instskip(SKIP_1) | instid1(VALU_DEP_2)
	v_cndmask_b32_e64 v8, 0, 0x100, s4
	v_cndmask_b32_e64 v15, 0, 0xffffff80, s4
	v_ldexp_f64 v[8:9], |v[10:11]|, v8
	s_delay_alu instid0(VALU_DEP_1) | instskip(SKIP_1) | instid1(TRANS32_DEP_1)
	v_rsq_f64_e32 v[10:11], v[8:9]
	v_cmp_class_f64_e64 vcc_lo, v[8:9], 0x260
	v_mul_f64_e32 v[18:19], v[8:9], v[10:11]
	v_mul_f64_e32 v[10:11], 0.5, v[10:11]
	s_delay_alu instid0(VALU_DEP_1) | instskip(NEXT) | instid1(VALU_DEP_1)
	v_fma_f64 v[20:21], -v[10:11], v[18:19], 0.5
	v_fmac_f64_e32 v[18:19], v[18:19], v[20:21]
	v_fmac_f64_e32 v[10:11], v[10:11], v[20:21]
	s_delay_alu instid0(VALU_DEP_2) | instskip(NEXT) | instid1(VALU_DEP_1)
	v_fma_f64 v[20:21], -v[18:19], v[18:19], v[8:9]
	v_fmac_f64_e32 v[18:19], v[20:21], v[10:11]
	s_delay_alu instid0(VALU_DEP_1) | instskip(NEXT) | instid1(VALU_DEP_1)
	v_fma_f64 v[20:21], -v[18:19], v[18:19], v[8:9]
	v_fmac_f64_e32 v[18:19], v[20:21], v[10:11]
	v_mul_f64_e32 v[10:11], 0.5, v[16:17]
	s_delay_alu instid0(VALU_DEP_2) | instskip(NEXT) | instid1(VALU_DEP_2)
	v_ldexp_f64 v[16:17], v[18:19], v15
	v_mul_f64_e32 v[10:11], v[12:13], v[10:11]
	s_delay_alu instid0(VALU_DEP_2) | instskip(NEXT) | instid1(VALU_DEP_1)
	v_dual_cndmask_b32 v9, v17, v9 :: v_dual_cndmask_b32 v8, v16, v8
	v_div_scale_f64 v[12:13], null, v[8:9], v[8:9], v[10:11]
	s_delay_alu instid0(VALU_DEP_1) | instskip(SKIP_1) | instid1(TRANS32_DEP_1)
	v_rcp_f64_e32 v[16:17], v[12:13]
	v_nop
	v_fma_f64 v[18:19], -v[12:13], v[16:17], 1.0
	s_delay_alu instid0(VALU_DEP_1) | instskip(NEXT) | instid1(VALU_DEP_1)
	v_fmac_f64_e32 v[16:17], v[16:17], v[18:19]
	v_fma_f64 v[18:19], -v[12:13], v[16:17], 1.0
	s_delay_alu instid0(VALU_DEP_1) | instskip(SKIP_1) | instid1(VALU_DEP_1)
	v_fmac_f64_e32 v[16:17], v[16:17], v[18:19]
	v_div_scale_f64 v[18:19], vcc_lo, v[10:11], v[8:9], v[10:11]
	v_mul_f64_e32 v[20:21], v[18:19], v[16:17]
	s_delay_alu instid0(VALU_DEP_1) | instskip(NEXT) | instid1(VALU_DEP_1)
	v_fma_f64 v[12:13], -v[12:13], v[20:21], v[18:19]
	v_div_fmas_f64 v[12:13], v[12:13], v[16:17], v[20:21]
                                        ; implicit-def: $vgpr16_vgpr17
	s_delay_alu instid0(VALU_DEP_1)
	v_div_fixup_f64 v[8:9], v[12:13], v[8:9], v[10:11]
                                        ; implicit-def: $vgpr10_vgpr11
                                        ; implicit-def: $vgpr12_vgpr13
.LBB1_21:
	s_and_not1_saveexec_b32 s0, s0
	s_cbranch_execz .LBB1_23
; %bb.22:
	v_cmp_gt_f64_e64 s4, 0x10000000, |v[10:11]|
	s_delay_alu instid0(VALU_DEP_1) | instskip(SKIP_1) | instid1(VALU_DEP_2)
	v_cndmask_b32_e64 v8, 0, 0x100, s4
	v_cndmask_b32_e64 v15, 0, 0xffffff80, s4
	v_ldexp_f64 v[8:9], |v[10:11]|, v8
	s_delay_alu instid0(VALU_DEP_1) | instskip(SKIP_1) | instid1(TRANS32_DEP_1)
	v_rsq_f64_e32 v[10:11], v[8:9]
	v_cmp_class_f64_e64 vcc_lo, v[8:9], 0x260
	v_mul_f64_e32 v[18:19], v[8:9], v[10:11]
	v_mul_f64_e32 v[10:11], 0.5, v[10:11]
	s_delay_alu instid0(VALU_DEP_1) | instskip(NEXT) | instid1(VALU_DEP_1)
	v_fma_f64 v[20:21], -v[10:11], v[18:19], 0.5
	v_fmac_f64_e32 v[18:19], v[18:19], v[20:21]
	v_fmac_f64_e32 v[10:11], v[10:11], v[20:21]
	s_delay_alu instid0(VALU_DEP_2) | instskip(NEXT) | instid1(VALU_DEP_1)
	v_fma_f64 v[20:21], -v[18:19], v[18:19], v[8:9]
	v_fmac_f64_e32 v[18:19], v[20:21], v[10:11]
	s_delay_alu instid0(VALU_DEP_1) | instskip(NEXT) | instid1(VALU_DEP_1)
	v_fma_f64 v[20:21], -v[18:19], v[18:19], v[8:9]
	v_fmac_f64_e32 v[18:19], v[20:21], v[10:11]
	v_mul_f64_e32 v[10:11], -0.5, v[16:17]
	s_delay_alu instid0(VALU_DEP_2) | instskip(NEXT) | instid1(VALU_DEP_2)
	v_ldexp_f64 v[16:17], v[18:19], v15
	v_mul_f64_e32 v[10:11], v[12:13], v[10:11]
	s_delay_alu instid0(VALU_DEP_2) | instskip(NEXT) | instid1(VALU_DEP_1)
	v_dual_cndmask_b32 v9, v17, v9 :: v_dual_cndmask_b32 v8, v16, v8
	v_div_scale_f64 v[12:13], null, v[8:9], v[8:9], v[10:11]
	s_delay_alu instid0(VALU_DEP_1) | instskip(SKIP_1) | instid1(TRANS32_DEP_1)
	v_rcp_f64_e32 v[16:17], v[12:13]
	v_nop
	v_fma_f64 v[18:19], -v[12:13], v[16:17], 1.0
	s_delay_alu instid0(VALU_DEP_1) | instskip(NEXT) | instid1(VALU_DEP_1)
	v_fmac_f64_e32 v[16:17], v[16:17], v[18:19]
	v_fma_f64 v[18:19], -v[12:13], v[16:17], 1.0
	s_delay_alu instid0(VALU_DEP_1) | instskip(SKIP_1) | instid1(VALU_DEP_1)
	v_fmac_f64_e32 v[16:17], v[16:17], v[18:19]
	v_div_scale_f64 v[18:19], vcc_lo, v[10:11], v[8:9], v[10:11]
	v_mul_f64_e32 v[20:21], v[18:19], v[16:17]
	s_delay_alu instid0(VALU_DEP_1) | instskip(NEXT) | instid1(VALU_DEP_1)
	v_fma_f64 v[12:13], -v[12:13], v[20:21], v[18:19]
	v_div_fmas_f64 v[12:13], v[12:13], v[16:17], v[20:21]
	s_delay_alu instid0(VALU_DEP_1)
	v_div_fixup_f64 v[8:9], v[12:13], v[8:9], v[10:11]
.LBB1_23:
	s_or_b32 exec_lo, exec_lo, s0
.LBB1_24:
	s_delay_alu instid0(SALU_CYCLE_1) | instskip(SKIP_3) | instid1(SALU_CYCLE_1)
	s_or_b32 exec_lo, exec_lo, s1
	s_wait_loadcnt_dscnt 0x0
	v_cmp_ge_f64_e64 s0, 0x40200000, |v[2:3]|
                                        ; implicit-def: $vgpr10_vgpr11
	s_and_saveexec_b32 s1, s0
	s_xor_b32 s0, exec_lo, s1
	s_cbranch_execz .LBB1_30
; %bb.25:
	v_fma_f64 v[10:11], |v[2:3]|, 0.5, -2.0
	s_mov_b64 s[4:5], 0x3c499f2a0c3c4014
	s_mov_b32 s1, exec_lo
	s_delay_alu instid0(VALU_DEP_1) | instskip(SKIP_1) | instid1(SALU_CYCLE_1)
	v_fmaak_f64 v[12:13], s[4:5], v[10:11], 0xbc7857d0c38a0576
	s_mov_b64 s[4:5], 0x3ff71547652b82fe
	v_mul_f64_e64 v[18:19], |v[2:3]|, s[4:5]
	s_mov_b64 s[4:5], 0xbfe62e42fefa39ef
	s_delay_alu instid0(VALU_DEP_2) | instskip(NEXT) | instid1(VALU_DEP_1)
	v_fmaak_f64 v[16:17], v[10:11], v[12:13], 0xbc499f2a0c3c4014
	v_add_f64_e32 v[16:17], 0x3ca663e3e593bfac, v[16:17]
	s_delay_alu instid0(VALU_DEP_3) | instskip(NEXT) | instid1(VALU_DEP_2)
	v_rndne_f64_e32 v[18:19], v[18:19]
	v_fma_f64 v[12:13], v[10:11], v[16:17], -v[12:13]
	s_delay_alu instid0(VALU_DEP_2) | instskip(SKIP_2) | instid1(VALU_DEP_3)
	v_fma_f64 v[20:21], v[18:19], s[4:5], |v[2:3]|
	s_mov_b64 s[4:5], 0x3e5ade156a5dcb37
	v_cvt_i32_f64_e32 v15, v[18:19]
	v_add_f64_e32 v[12:13], 0xbcd3eaaa7e0d1573, v[12:13]
	s_delay_alu instid0(VALU_DEP_1) | instskip(NEXT) | instid1(VALU_DEP_1)
	v_fma_f64 v[16:17], v[10:11], v[12:13], -v[16:17]
	v_add_f64_e32 v[16:17], 0x3d011d7f0615290c, v[16:17]
	s_delay_alu instid0(VALU_DEP_1) | instskip(NEXT) | instid1(VALU_DEP_1)
	v_fma_f64 v[12:13], v[10:11], v[16:17], -v[12:13]
	;; [unrolled: 3-line block ×24, first 2 shown]
	v_add_f64_e32 v[12:13], 0xbfc694d10469192e, v[12:13]
	s_delay_alu instid0(VALU_DEP_1) | instskip(SKIP_1) | instid1(VALU_DEP_1)
	v_fma_f64 v[10:11], v[10:11], v[12:13], -v[16:17]
	v_fmamk_f64 v[12:13], v[18:19], 0xbc7abc9e3b39803f, v[20:21]
	v_fmaak_f64 v[20:21], s[4:5], v[12:13], 0x3e928af3fca7ab0c
	s_delay_alu instid0(VALU_DEP_1) | instskip(NEXT) | instid1(VALU_DEP_1)
	v_fmaak_f64 v[20:21], v[12:13], v[20:21], 0x3ec71dee623fde64
	v_fmaak_f64 v[20:21], v[12:13], v[20:21], 0x3efa01997c89e6b0
	s_delay_alu instid0(VALU_DEP_1) | instskip(SKIP_1) | instid1(VALU_DEP_2)
	v_fmaak_f64 v[20:21], v[12:13], v[20:21], 0x3f2a01a014761f6e
	v_add_f64_e32 v[10:11], 0x3fd02a63724a7ffa, v[10:11]
	v_fmaak_f64 v[20:21], v[12:13], v[20:21], 0x3f56c16c1852b7b0
	s_delay_alu instid0(VALU_DEP_2) | instskip(NEXT) | instid1(VALU_DEP_2)
	v_add_f64_e64 v[10:11], v[10:11], -v[16:17]
	v_fmaak_f64 v[16:17], v[12:13], v[20:21], 0x3f81111111122322
	s_delay_alu instid0(VALU_DEP_1) | instskip(NEXT) | instid1(VALU_DEP_1)
	v_fmaak_f64 v[16:17], v[12:13], v[16:17], 0x3fa55555555502a1
	v_fmaak_f64 v[16:17], v[12:13], v[16:17], 0x3fc5555555555511
	s_delay_alu instid0(VALU_DEP_1) | instskip(NEXT) | instid1(VALU_DEP_1)
	v_fmaak_f64 v[16:17], v[12:13], v[16:17], 0x3fe000000000000b
	v_fma_f64 v[16:17], v[12:13], v[16:17], 1.0
	v_mul_f64_e32 v[10:11], 0.5, v[10:11]
	s_delay_alu instid0(VALU_DEP_2) | instskip(NEXT) | instid1(VALU_DEP_2)
	v_fma_f64 v[16:17], v[12:13], v[16:17], 1.0
	v_mul_f64_e64 v[12:13], |v[2:3]|, v[10:11]
                                        ; implicit-def: $vgpr10_vgpr11
	v_cmpx_ngt_f64_e32 0, v[2:3]
	s_xor_b32 s1, exec_lo, s1
	s_cbranch_execz .LBB1_27
; %bb.26:
	s_delay_alu instid0(VALU_DEP_3) | instskip(SKIP_1) | instid1(VALU_DEP_2)
	v_ldexp_f64 v[10:11], v[16:17], v15
	v_cmp_nlt_f64_e64 vcc_lo, 0x40900000, |v[2:3]|
                                        ; implicit-def: $vgpr16_vgpr17
                                        ; implicit-def: $vgpr15
	v_cndmask_b32_e32 v11, 0x7ff00000, v11, vcc_lo
	s_delay_alu instid0(VALU_DEP_3) | instskip(NEXT) | instid1(VALU_DEP_1)
	v_cndmask_b32_e32 v10, 0, v10, vcc_lo
	v_mul_f64_e32 v[10:11], v[10:11], v[12:13]
                                        ; implicit-def: $vgpr12_vgpr13
.LBB1_27:
	s_and_not1_saveexec_b32 s1, s1
	s_cbranch_execz .LBB1_29
; %bb.28:
	s_delay_alu instid0(VALU_DEP_3) | instskip(SKIP_1) | instid1(VALU_DEP_2)
	v_ldexp_f64 v[10:11], -v[16:17], v15
	v_cmp_nlt_f64_e64 vcc_lo, 0x40900000, |v[2:3]|
	v_cndmask_b32_e32 v11, 0xfff00000, v11, vcc_lo
	s_delay_alu instid0(VALU_DEP_3) | instskip(NEXT) | instid1(VALU_DEP_1)
	v_cndmask_b32_e32 v10, 0, v10, vcc_lo
	v_mul_f64_e32 v[10:11], v[10:11], v[12:13]
.LBB1_29:
	s_or_b32 exec_lo, exec_lo, s1
.LBB1_30:
	s_and_not1_saveexec_b32 s1, s0
	s_cbranch_execz .LBB1_36
; %bb.31:
	v_and_b32_e32 v11, 0x7fffffff, v3
	v_mov_b32_e32 v10, v2
	s_mov_b64 s[4:5], 0x3c61556db352e8e6
	v_cmp_ngt_f64_e64 s0, 0, v[2:3]
	s_delay_alu instid0(VALU_DEP_2) | instskip(SKIP_1) | instid1(VALU_DEP_2)
	v_div_scale_f64 v[12:13], null, v[10:11], v[10:11], 0x40400000
	v_div_scale_f64 v[10:11], vcc_lo, 0x40400000, v[10:11], 0x40400000
	v_rcp_f64_e32 v[16:17], v[12:13]
	v_nop
	s_delay_alu instid0(TRANS32_DEP_1) | instskip(NEXT) | instid1(VALU_DEP_1)
	v_fma_f64 v[18:19], -v[12:13], v[16:17], 1.0
	v_fmac_f64_e32 v[16:17], v[16:17], v[18:19]
	s_delay_alu instid0(VALU_DEP_1) | instskip(NEXT) | instid1(VALU_DEP_1)
	v_fma_f64 v[18:19], -v[12:13], v[16:17], 1.0
	v_fmac_f64_e32 v[16:17], v[16:17], v[18:19]
	s_delay_alu instid0(VALU_DEP_1) | instskip(NEXT) | instid1(VALU_DEP_1)
	v_mul_f64_e32 v[18:19], v[10:11], v[16:17]
	v_fma_f64 v[10:11], -v[12:13], v[18:19], v[10:11]
	s_delay_alu instid0(VALU_DEP_1) | instskip(SKIP_1) | instid1(VALU_DEP_2)
	v_div_fmas_f64 v[10:11], v[10:11], v[16:17], v[18:19]
	v_cmp_nlt_f64_e64 vcc_lo, 0x40900000, |v[2:3]|
	v_div_fixup_f64 v[10:11], v[10:11], |v[2:3]|, 0x40400000
	s_delay_alu instid0(VALU_DEP_1) | instskip(NEXT) | instid1(VALU_DEP_1)
	v_add_f64_e32 v[10:11], -2.0, v[10:11]
	v_fmaak_f64 v[12:13], s[4:5], v[10:11], 0x3c545b8aea87b950
	s_mov_b64 s[4:5], 0x3ff71547652b82fe
	s_delay_alu instid0(SALU_CYCLE_1) | instskip(SKIP_1) | instid1(VALU_DEP_2)
	v_mul_f64_e64 v[18:19], |v[2:3]|, s[4:5]
	s_mov_b64 s[4:5], 0xbfe62e42fefa39ef
	v_fmaak_f64 v[16:17], v[10:11], v[12:13], 0xbc61556db352e8e6
	s_delay_alu instid0(VALU_DEP_1) | instskip(NEXT) | instid1(VALU_DEP_3)
	v_add_f64_e32 v[16:17], 0xbc8acea3b2532277, v[16:17]
	v_rndne_f64_e32 v[18:19], v[18:19]
	s_delay_alu instid0(VALU_DEP_2) | instskip(NEXT) | instid1(VALU_DEP_2)
	v_fma_f64 v[12:13], v[10:11], v[16:17], -v[12:13]
	v_fma_f64 v[20:21], v[18:19], s[4:5], |v[2:3]|
	s_mov_b64 s[4:5], 0x3e5ade156a5dcb37
	v_cvt_i32_f64_e32 v15, v[18:19]
	s_delay_alu instid0(VALU_DEP_3) | instskip(NEXT) | instid1(VALU_DEP_3)
	v_add_f64_e32 v[12:13], 0xbc82806c9c773320, v[12:13]
	v_fmamk_f64 v[20:21], v[18:19], 0xbc7abc9e3b39803f, v[20:21]
	s_delay_alu instid0(VALU_DEP_1) | instskip(NEXT) | instid1(VALU_DEP_3)
	v_fmaak_f64 v[22:23], s[4:5], v[20:21], 0x3e928af3fca7ab0c
	v_fma_f64 v[16:17], v[10:11], v[12:13], -v[16:17]
	s_delay_alu instid0(VALU_DEP_2) | instskip(NEXT) | instid1(VALU_DEP_1)
	v_fmaak_f64 v[22:23], v[20:21], v[22:23], 0x3ec71dee623fde64
	v_fmaak_f64 v[22:23], v[20:21], v[22:23], 0x3efa01997c89e6b0
	s_delay_alu instid0(VALU_DEP_1) | instskip(NEXT) | instid1(VALU_DEP_1)
	v_fmaak_f64 v[22:23], v[20:21], v[22:23], 0x3f2a01a014761f6e
	v_fmaak_f64 v[22:23], v[20:21], v[22:23], 0x3f56c16c1852b7b0
	s_delay_alu instid0(VALU_DEP_1) | instskip(SKIP_1) | instid1(VALU_DEP_2)
	v_fmaak_f64 v[22:23], v[20:21], v[22:23], 0x3f81111111122322
	v_add_f64_e32 v[16:17], 0x3cb55915fceb588a, v[16:17]
	v_fmaak_f64 v[22:23], v[20:21], v[22:23], 0x3fa55555555502a1
	s_delay_alu instid0(VALU_DEP_1) | instskip(NEXT) | instid1(VALU_DEP_1)
	v_fmaak_f64 v[22:23], v[20:21], v[22:23], 0x3fc5555555555511
	v_fmaak_f64 v[22:23], v[20:21], v[22:23], 0x3fe000000000000b
	s_delay_alu instid0(VALU_DEP_1) | instskip(SKIP_1) | instid1(VALU_DEP_1)
	v_fma_f64 v[22:23], v[20:21], v[22:23], 1.0
	v_fma_f64 v[12:13], v[10:11], v[16:17], -v[12:13]
	v_add_f64_e32 v[12:13], 0x3cb7d68e5f04a2d1, v[12:13]
	s_delay_alu instid0(VALU_DEP_1) | instskip(NEXT) | instid1(VALU_DEP_1)
	v_fma_f64 v[16:17], v[10:11], v[12:13], -v[16:17]
	v_add_f64_e32 v[16:17], 0xbce0efcd8bc4d22a, v[16:17]
	s_delay_alu instid0(VALU_DEP_1) | instskip(NEXT) | instid1(VALU_DEP_1)
	v_fma_f64 v[12:13], v[10:11], v[16:17], -v[12:13]
	v_add_f64_e32 v[12:13], 0xbcf12db5138afbc7, v[12:13]
	s_delay_alu instid0(VALU_DEP_1) | instskip(NEXT) | instid1(VALU_DEP_1)
	v_fma_f64 v[16:17], v[10:11], v[12:13], -v[16:17]
	v_add_f64_e32 v[16:17], 0x3d0776e1762d31e8, v[16:17]
	s_delay_alu instid0(VALU_DEP_1) | instskip(NEXT) | instid1(VALU_DEP_1)
	v_fma_f64 v[12:13], v[10:11], v[16:17], -v[12:13]
	v_add_f64_e32 v[12:13], 0x3d280d3c26b3281e, v[12:13]
	s_delay_alu instid0(VALU_DEP_1) | instskip(NEXT) | instid1(VALU_DEP_1)
	v_fma_f64 v[16:17], v[10:11], v[12:13], -v[16:17]
	v_add_f64_e32 v[16:17], 0xbd17a9482e6d22a0, v[16:17]
	s_delay_alu instid0(VALU_DEP_1) | instskip(NEXT) | instid1(VALU_DEP_1)
	v_fma_f64 v[12:13], v[10:11], v[16:17], -v[12:13]
	v_add_f64_e32 v[12:13], 0xbd5cbc458e73e255, v[12:13]
	s_delay_alu instid0(VALU_DEP_1) | instskip(NEXT) | instid1(VALU_DEP_1)
	v_fma_f64 v[16:17], v[10:11], v[12:13], -v[16:17]
	v_add_f64_e32 v[16:17], 0xbd6953e1076ab493, v[16:17]
	s_delay_alu instid0(VALU_DEP_1) | instskip(NEXT) | instid1(VALU_DEP_1)
	v_fma_f64 v[12:13], v[10:11], v[16:17], -v[12:13]
	v_add_f64_e32 v[12:13], 0x3d81e7d3f6439fa3, v[12:13]
	s_delay_alu instid0(VALU_DEP_1) | instskip(NEXT) | instid1(VALU_DEP_1)
	v_fma_f64 v[16:17], v[10:11], v[12:13], -v[16:17]
	v_add_f64_e32 v[16:17], 0x3daf101f653c457b, v[16:17]
	s_delay_alu instid0(VALU_DEP_1) | instskip(NEXT) | instid1(VALU_DEP_1)
	v_fma_f64 v[12:13], v[10:11], v[16:17], -v[12:13]
	v_add_f64_e32 v[12:13], 0x3dc1e1a1f1587865, v[12:13]
	s_delay_alu instid0(VALU_DEP_1) | instskip(NEXT) | instid1(VALU_DEP_1)
	v_fma_f64 v[16:17], v[10:11], v[12:13], -v[16:17]
	v_add_f64_e32 v[16:17], 0xbdb4dcf9d4504c0c, v[16:17]
	s_delay_alu instid0(VALU_DEP_1) | instskip(NEXT) | instid1(VALU_DEP_1)
	v_fma_f64 v[12:13], v[10:11], v[16:17], -v[12:13]
	v_add_f64_e32 v[12:13], 0xbe0334ca5423dd80, v[12:13]
	s_delay_alu instid0(VALU_DEP_1) | instskip(NEXT) | instid1(VALU_DEP_1)
	v_fma_f64 v[16:17], v[10:11], v[12:13], -v[16:17]
	v_add_f64_e32 v[16:17], 0xbe30790b9ad53528, v[16:17]
	s_delay_alu instid0(VALU_DEP_1) | instskip(NEXT) | instid1(VALU_DEP_1)
	v_fma_f64 v[12:13], v[10:11], v[16:17], -v[12:13]
	v_add_f64_e32 v[12:13], 0xbe5c415394bb46c1, v[12:13]
	s_delay_alu instid0(VALU_DEP_1) | instskip(NEXT) | instid1(VALU_DEP_1)
	v_fma_f64 v[16:17], v[10:11], v[12:13], -v[16:17]
	v_add_f64_e32 v[16:17], 0xbe90dbfd2e9e5443, v[16:17]
	s_delay_alu instid0(VALU_DEP_1) | instskip(NEXT) | instid1(VALU_DEP_1)
	v_fma_f64 v[12:13], v[10:11], v[16:17], -v[12:13]
	v_add_f64_e32 v[12:13], 0xbed048df49ca0373, v[12:13]
	s_delay_alu instid0(VALU_DEP_1) | instskip(NEXT) | instid1(VALU_DEP_1)
	v_fma_f64 v[16:17], v[10:11], v[12:13], -v[16:17]
	v_add_f64_e32 v[16:17], 0xbf1cfd7f804aa9a6, v[16:17]
	s_delay_alu instid0(VALU_DEP_1) | instskip(NEXT) | instid1(VALU_DEP_1)
	v_fma_f64 v[12:13], v[10:11], v[16:17], -v[12:13]
	v_add_f64_e32 v[12:13], 0xbf83fda053fcdb4c, v[12:13]
	s_delay_alu instid0(VALU_DEP_1) | instskip(SKIP_1) | instid1(VALU_DEP_2)
	v_fma_f64 v[10:11], v[10:11], v[12:13], -v[16:17]
	v_fma_f64 v[12:13], v[20:21], v[22:23], 1.0
	v_add_f64_e32 v[10:11], 0x3fe8ea18b55b1514, v[10:11]
	s_delay_alu instid0(VALU_DEP_2) | instskip(NEXT) | instid1(VALU_DEP_2)
	v_ldexp_f64 v[12:13], v[12:13], v15
	v_add_f64_e64 v[16:17], v[10:11], -v[16:17]
	s_delay_alu instid0(VALU_DEP_2) | instskip(NEXT) | instid1(VALU_DEP_3)
	v_cndmask_b32_e32 v13, 0x7ff00000, v13, vcc_lo
	v_cndmask_b32_e32 v12, 0, v12, vcc_lo
                                        ; implicit-def: $vgpr10_vgpr11
	s_and_saveexec_b32 s4, s0
	s_delay_alu instid0(SALU_CYCLE_1)
	s_xor_b32 s0, exec_lo, s4
	s_cbranch_execz .LBB1_33
; %bb.32:
	v_cmp_gt_f64_e64 s4, 0x10000000, |v[2:3]|
	s_delay_alu instid0(VALU_DEP_4) | instskip(NEXT) | instid1(VALU_DEP_2)
	v_mul_f64_e32 v[16:17], 0.5, v[16:17]
	v_cndmask_b32_e64 v10, 0, 0x100, s4
	v_cndmask_b32_e64 v15, 0, 0xffffff80, s4
	s_delay_alu instid0(VALU_DEP_3) | instskip(NEXT) | instid1(VALU_DEP_3)
	v_mul_f64_e32 v[12:13], v[12:13], v[16:17]
	v_ldexp_f64 v[10:11], |v[2:3]|, v10
	s_delay_alu instid0(VALU_DEP_1) | instskip(SKIP_1) | instid1(TRANS32_DEP_1)
	v_rsq_f64_e32 v[18:19], v[10:11]
	v_cmp_class_f64_e64 vcc_lo, v[10:11], 0x260
	v_mul_f64_e32 v[20:21], v[10:11], v[18:19]
	v_mul_f64_e32 v[18:19], 0.5, v[18:19]
	s_delay_alu instid0(VALU_DEP_1) | instskip(NEXT) | instid1(VALU_DEP_1)
	v_fma_f64 v[22:23], -v[18:19], v[20:21], 0.5
	v_fmac_f64_e32 v[20:21], v[20:21], v[22:23]
	v_fmac_f64_e32 v[18:19], v[18:19], v[22:23]
	s_delay_alu instid0(VALU_DEP_2) | instskip(NEXT) | instid1(VALU_DEP_1)
	v_fma_f64 v[22:23], -v[20:21], v[20:21], v[10:11]
	v_fmac_f64_e32 v[20:21], v[22:23], v[18:19]
	s_delay_alu instid0(VALU_DEP_1) | instskip(NEXT) | instid1(VALU_DEP_1)
	v_fma_f64 v[22:23], -v[20:21], v[20:21], v[10:11]
	v_fmac_f64_e32 v[20:21], v[22:23], v[18:19]
	s_delay_alu instid0(VALU_DEP_1) | instskip(NEXT) | instid1(VALU_DEP_1)
	v_ldexp_f64 v[18:19], v[20:21], v15
	v_dual_cndmask_b32 v11, v19, v11 :: v_dual_cndmask_b32 v10, v18, v10
	s_delay_alu instid0(VALU_DEP_1) | instskip(NEXT) | instid1(VALU_DEP_1)
	v_div_scale_f64 v[16:17], null, v[10:11], v[10:11], v[12:13]
	v_rcp_f64_e32 v[18:19], v[16:17]
	v_nop
	s_delay_alu instid0(TRANS32_DEP_1) | instskip(NEXT) | instid1(VALU_DEP_1)
	v_fma_f64 v[20:21], -v[16:17], v[18:19], 1.0
	v_fmac_f64_e32 v[18:19], v[18:19], v[20:21]
	s_delay_alu instid0(VALU_DEP_1) | instskip(NEXT) | instid1(VALU_DEP_1)
	v_fma_f64 v[20:21], -v[16:17], v[18:19], 1.0
	v_fmac_f64_e32 v[18:19], v[18:19], v[20:21]
	v_div_scale_f64 v[20:21], vcc_lo, v[12:13], v[10:11], v[12:13]
	s_delay_alu instid0(VALU_DEP_1) | instskip(NEXT) | instid1(VALU_DEP_1)
	v_mul_f64_e32 v[22:23], v[20:21], v[18:19]
	v_fma_f64 v[16:17], -v[16:17], v[22:23], v[20:21]
	s_delay_alu instid0(VALU_DEP_1) | instskip(NEXT) | instid1(VALU_DEP_1)
	v_div_fmas_f64 v[16:17], v[16:17], v[18:19], v[22:23]
	v_div_fixup_f64 v[10:11], v[16:17], v[10:11], v[12:13]
                                        ; implicit-def: $vgpr16_vgpr17
                                        ; implicit-def: $vgpr12_vgpr13
.LBB1_33:
	s_and_not1_saveexec_b32 s0, s0
	s_cbranch_execz .LBB1_35
; %bb.34:
	v_cmp_gt_f64_e64 s4, 0x10000000, |v[2:3]|
	s_delay_alu instid0(VALU_DEP_1) | instskip(SKIP_1) | instid1(VALU_DEP_2)
	v_cndmask_b32_e64 v10, 0, 0x100, s4
	v_cndmask_b32_e64 v15, 0, 0xffffff80, s4
	v_ldexp_f64 v[2:3], |v[2:3]|, v10
	s_delay_alu instid0(VALU_DEP_1) | instskip(SKIP_1) | instid1(TRANS32_DEP_1)
	v_rsq_f64_e32 v[10:11], v[2:3]
	v_cmp_class_f64_e64 vcc_lo, v[2:3], 0x260
	v_mul_f64_e32 v[18:19], v[2:3], v[10:11]
	v_mul_f64_e32 v[10:11], 0.5, v[10:11]
	s_delay_alu instid0(VALU_DEP_1) | instskip(NEXT) | instid1(VALU_DEP_1)
	v_fma_f64 v[20:21], -v[10:11], v[18:19], 0.5
	v_fmac_f64_e32 v[18:19], v[18:19], v[20:21]
	v_fmac_f64_e32 v[10:11], v[10:11], v[20:21]
	s_delay_alu instid0(VALU_DEP_2) | instskip(NEXT) | instid1(VALU_DEP_1)
	v_fma_f64 v[20:21], -v[18:19], v[18:19], v[2:3]
	v_fmac_f64_e32 v[18:19], v[20:21], v[10:11]
	s_delay_alu instid0(VALU_DEP_1) | instskip(NEXT) | instid1(VALU_DEP_1)
	v_fma_f64 v[20:21], -v[18:19], v[18:19], v[2:3]
	v_fmac_f64_e32 v[18:19], v[20:21], v[10:11]
	v_mul_f64_e32 v[10:11], -0.5, v[16:17]
	s_delay_alu instid0(VALU_DEP_2) | instskip(NEXT) | instid1(VALU_DEP_1)
	v_ldexp_f64 v[16:17], v[18:19], v15
	v_cndmask_b32_e32 v3, v17, v3, vcc_lo
	s_delay_alu instid0(VALU_DEP_3) | instskip(NEXT) | instid1(VALU_DEP_3)
	v_mul_f64_e32 v[10:11], v[12:13], v[10:11]
	v_cndmask_b32_e32 v2, v16, v2, vcc_lo
	s_delay_alu instid0(VALU_DEP_1) | instskip(NEXT) | instid1(VALU_DEP_1)
	v_div_scale_f64 v[12:13], null, v[2:3], v[2:3], v[10:11]
	v_rcp_f64_e32 v[16:17], v[12:13]
	v_nop
	s_delay_alu instid0(TRANS32_DEP_1) | instskip(NEXT) | instid1(VALU_DEP_1)
	v_fma_f64 v[18:19], -v[12:13], v[16:17], 1.0
	v_fmac_f64_e32 v[16:17], v[16:17], v[18:19]
	s_delay_alu instid0(VALU_DEP_1) | instskip(NEXT) | instid1(VALU_DEP_1)
	v_fma_f64 v[18:19], -v[12:13], v[16:17], 1.0
	v_fmac_f64_e32 v[16:17], v[16:17], v[18:19]
	v_div_scale_f64 v[18:19], vcc_lo, v[10:11], v[2:3], v[10:11]
	s_delay_alu instid0(VALU_DEP_1) | instskip(NEXT) | instid1(VALU_DEP_1)
	v_mul_f64_e32 v[20:21], v[18:19], v[16:17]
	v_fma_f64 v[12:13], -v[12:13], v[20:21], v[18:19]
	s_delay_alu instid0(VALU_DEP_1) | instskip(NEXT) | instid1(VALU_DEP_1)
	v_div_fmas_f64 v[12:13], v[12:13], v[16:17], v[20:21]
	v_div_fixup_f64 v[10:11], v[12:13], v[2:3], v[10:11]
.LBB1_35:
	s_or_b32 exec_lo, exec_lo, s0
.LBB1_36:
	s_delay_alu instid0(SALU_CYCLE_1) | instskip(SKIP_2) | instid1(SALU_CYCLE_1)
	s_or_b32 exec_lo, exec_lo, s1
	v_cmp_ge_f64_e64 s0, 0x40200000, |v[4:5]|
	s_and_saveexec_b32 s1, s0
	s_xor_b32 s0, exec_lo, s1
	s_cbranch_execz .LBB1_42
; %bb.37:
	v_fma_f64 v[2:3], |v[4:5]|, 0.5, -2.0
	s_mov_b64 s[4:5], 0x3c499f2a0c3c4014
	s_mov_b32 s1, exec_lo
	s_delay_alu instid0(VALU_DEP_1) | instskip(SKIP_1) | instid1(SALU_CYCLE_1)
	v_fmaak_f64 v[12:13], s[4:5], v[2:3], 0xbc7857d0c38a0576
	s_mov_b64 s[4:5], 0x3ff71547652b82fe
	v_mul_f64_e64 v[18:19], |v[4:5]|, s[4:5]
	s_mov_b64 s[4:5], 0xbfe62e42fefa39ef
	s_delay_alu instid0(VALU_DEP_2) | instskip(NEXT) | instid1(VALU_DEP_1)
	v_fmaak_f64 v[16:17], v[2:3], v[12:13], 0xbc499f2a0c3c4014
	v_add_f64_e32 v[16:17], 0x3ca663e3e593bfac, v[16:17]
	s_delay_alu instid0(VALU_DEP_3) | instskip(NEXT) | instid1(VALU_DEP_2)
	v_rndne_f64_e32 v[18:19], v[18:19]
	v_fma_f64 v[12:13], v[2:3], v[16:17], -v[12:13]
	s_delay_alu instid0(VALU_DEP_2) | instskip(SKIP_2) | instid1(VALU_DEP_3)
	v_fma_f64 v[20:21], v[18:19], s[4:5], |v[4:5]|
	s_mov_b64 s[4:5], 0x3e5ade156a5dcb37
	v_cvt_i32_f64_e32 v15, v[18:19]
	v_add_f64_e32 v[12:13], 0xbcd3eaaa7e0d1573, v[12:13]
	s_delay_alu instid0(VALU_DEP_1) | instskip(NEXT) | instid1(VALU_DEP_1)
	v_fma_f64 v[16:17], v[2:3], v[12:13], -v[16:17]
	v_add_f64_e32 v[16:17], 0x3d011d7f0615290c, v[16:17]
	s_delay_alu instid0(VALU_DEP_1) | instskip(NEXT) | instid1(VALU_DEP_1)
	v_fma_f64 v[12:13], v[2:3], v[16:17], -v[12:13]
	;; [unrolled: 3-line block ×24, first 2 shown]
	v_add_f64_e32 v[12:13], 0xbfc694d10469192e, v[12:13]
	s_delay_alu instid0(VALU_DEP_1) | instskip(SKIP_1) | instid1(VALU_DEP_1)
	v_fma_f64 v[2:3], v[2:3], v[12:13], -v[16:17]
	v_fmamk_f64 v[12:13], v[18:19], 0xbc7abc9e3b39803f, v[20:21]
	v_fmaak_f64 v[20:21], s[4:5], v[12:13], 0x3e928af3fca7ab0c
	s_delay_alu instid0(VALU_DEP_1) | instskip(NEXT) | instid1(VALU_DEP_1)
	v_fmaak_f64 v[20:21], v[12:13], v[20:21], 0x3ec71dee623fde64
	v_fmaak_f64 v[20:21], v[12:13], v[20:21], 0x3efa01997c89e6b0
	s_delay_alu instid0(VALU_DEP_1) | instskip(SKIP_1) | instid1(VALU_DEP_2)
	v_fmaak_f64 v[20:21], v[12:13], v[20:21], 0x3f2a01a014761f6e
	v_add_f64_e32 v[2:3], 0x3fd02a63724a7ffa, v[2:3]
	v_fmaak_f64 v[20:21], v[12:13], v[20:21], 0x3f56c16c1852b7b0
	s_delay_alu instid0(VALU_DEP_2) | instskip(NEXT) | instid1(VALU_DEP_2)
	v_add_f64_e64 v[2:3], v[2:3], -v[16:17]
	v_fmaak_f64 v[16:17], v[12:13], v[20:21], 0x3f81111111122322
	s_delay_alu instid0(VALU_DEP_1) | instskip(NEXT) | instid1(VALU_DEP_1)
	v_fmaak_f64 v[16:17], v[12:13], v[16:17], 0x3fa55555555502a1
	v_fmaak_f64 v[16:17], v[12:13], v[16:17], 0x3fc5555555555511
	s_delay_alu instid0(VALU_DEP_1) | instskip(NEXT) | instid1(VALU_DEP_1)
	v_fmaak_f64 v[16:17], v[12:13], v[16:17], 0x3fe000000000000b
	v_fma_f64 v[16:17], v[12:13], v[16:17], 1.0
	v_mul_f64_e32 v[2:3], 0.5, v[2:3]
	s_delay_alu instid0(VALU_DEP_2) | instskip(NEXT) | instid1(VALU_DEP_2)
	v_fma_f64 v[16:17], v[12:13], v[16:17], 1.0
	v_mul_f64_e64 v[2:3], |v[4:5]|, v[2:3]
	v_cmpx_ngt_f64_e32 0, v[4:5]
	s_xor_b32 s1, exec_lo, s1
	s_cbranch_execz .LBB1_39
; %bb.38:
	s_delay_alu instid0(VALU_DEP_3) | instskip(SKIP_1) | instid1(VALU_DEP_2)
	v_ldexp_f64 v[12:13], v[16:17], v15
	v_cmp_nlt_f64_e64 vcc_lo, 0x40900000, |v[4:5]|
                                        ; implicit-def: $vgpr16_vgpr17
                                        ; implicit-def: $vgpr15
	v_cndmask_b32_e32 v5, 0x7ff00000, v13, vcc_lo
	s_delay_alu instid0(VALU_DEP_3) | instskip(NEXT) | instid1(VALU_DEP_1)
	v_cndmask_b32_e32 v4, 0, v12, vcc_lo
	v_mul_f64_e32 v[12:13], v[4:5], v[2:3]
                                        ; implicit-def: $vgpr4_vgpr5
                                        ; implicit-def: $vgpr2_vgpr3
.LBB1_39:
	s_and_not1_saveexec_b32 s1, s1
	s_cbranch_execz .LBB1_41
; %bb.40:
	s_delay_alu instid0(VALU_DEP_3) | instskip(SKIP_1) | instid1(VALU_DEP_2)
	v_ldexp_f64 v[12:13], -v[16:17], v15
	v_cmp_nlt_f64_e64 vcc_lo, 0x40900000, |v[4:5]|
	v_cndmask_b32_e32 v5, 0xfff00000, v13, vcc_lo
	s_delay_alu instid0(VALU_DEP_3) | instskip(NEXT) | instid1(VALU_DEP_1)
	v_cndmask_b32_e32 v4, 0, v12, vcc_lo
	v_mul_f64_e32 v[12:13], v[4:5], v[2:3]
.LBB1_41:
	s_or_b32 exec_lo, exec_lo, s1
                                        ; implicit-def: $vgpr4_vgpr5
.LBB1_42:
	s_and_not1_saveexec_b32 s1, s0
	s_cbranch_execz .LBB1_48
; %bb.43:
	v_and_b32_e32 v3, 0x7fffffff, v5
	v_mov_b32_e32 v2, v4
	s_mov_b64 s[4:5], 0x3c61556db352e8e6
	v_cmp_ngt_f64_e64 s0, 0, v[4:5]
	s_delay_alu instid0(VALU_DEP_2) | instskip(SKIP_1) | instid1(VALU_DEP_2)
	v_div_scale_f64 v[12:13], null, v[2:3], v[2:3], 0x40400000
	v_div_scale_f64 v[2:3], vcc_lo, 0x40400000, v[2:3], 0x40400000
	v_rcp_f64_e32 v[16:17], v[12:13]
	v_nop
	s_delay_alu instid0(TRANS32_DEP_1) | instskip(NEXT) | instid1(VALU_DEP_1)
	v_fma_f64 v[18:19], -v[12:13], v[16:17], 1.0
	v_fmac_f64_e32 v[16:17], v[16:17], v[18:19]
	s_delay_alu instid0(VALU_DEP_1) | instskip(NEXT) | instid1(VALU_DEP_1)
	v_fma_f64 v[18:19], -v[12:13], v[16:17], 1.0
	v_fmac_f64_e32 v[16:17], v[16:17], v[18:19]
	s_delay_alu instid0(VALU_DEP_1) | instskip(NEXT) | instid1(VALU_DEP_1)
	v_mul_f64_e32 v[18:19], v[2:3], v[16:17]
	v_fma_f64 v[2:3], -v[12:13], v[18:19], v[2:3]
	s_delay_alu instid0(VALU_DEP_1) | instskip(SKIP_1) | instid1(VALU_DEP_2)
	v_div_fmas_f64 v[2:3], v[2:3], v[16:17], v[18:19]
	v_cmp_nlt_f64_e64 vcc_lo, 0x40900000, |v[4:5]|
	v_div_fixup_f64 v[2:3], v[2:3], |v[4:5]|, 0x40400000
	s_delay_alu instid0(VALU_DEP_1) | instskip(NEXT) | instid1(VALU_DEP_1)
	v_add_f64_e32 v[2:3], -2.0, v[2:3]
	v_fmaak_f64 v[12:13], s[4:5], v[2:3], 0x3c545b8aea87b950
	s_mov_b64 s[4:5], 0x3ff71547652b82fe
	s_delay_alu instid0(SALU_CYCLE_1) | instskip(SKIP_1) | instid1(VALU_DEP_2)
	v_mul_f64_e64 v[18:19], |v[4:5]|, s[4:5]
	s_mov_b64 s[4:5], 0xbfe62e42fefa39ef
	v_fmaak_f64 v[16:17], v[2:3], v[12:13], 0xbc61556db352e8e6
	s_delay_alu instid0(VALU_DEP_1) | instskip(NEXT) | instid1(VALU_DEP_3)
	v_add_f64_e32 v[16:17], 0xbc8acea3b2532277, v[16:17]
	v_rndne_f64_e32 v[18:19], v[18:19]
	s_delay_alu instid0(VALU_DEP_2) | instskip(NEXT) | instid1(VALU_DEP_2)
	v_fma_f64 v[12:13], v[2:3], v[16:17], -v[12:13]
	v_fma_f64 v[20:21], v[18:19], s[4:5], |v[4:5]|
	s_mov_b64 s[4:5], 0x3e5ade156a5dcb37
	v_cvt_i32_f64_e32 v15, v[18:19]
	s_delay_alu instid0(VALU_DEP_3) | instskip(NEXT) | instid1(VALU_DEP_3)
	v_add_f64_e32 v[12:13], 0xbc82806c9c773320, v[12:13]
	v_fmamk_f64 v[20:21], v[18:19], 0xbc7abc9e3b39803f, v[20:21]
	s_delay_alu instid0(VALU_DEP_1) | instskip(NEXT) | instid1(VALU_DEP_3)
	v_fmaak_f64 v[22:23], s[4:5], v[20:21], 0x3e928af3fca7ab0c
	v_fma_f64 v[16:17], v[2:3], v[12:13], -v[16:17]
	s_delay_alu instid0(VALU_DEP_2) | instskip(NEXT) | instid1(VALU_DEP_1)
	v_fmaak_f64 v[22:23], v[20:21], v[22:23], 0x3ec71dee623fde64
	v_fmaak_f64 v[22:23], v[20:21], v[22:23], 0x3efa01997c89e6b0
	s_delay_alu instid0(VALU_DEP_1) | instskip(NEXT) | instid1(VALU_DEP_1)
	v_fmaak_f64 v[22:23], v[20:21], v[22:23], 0x3f2a01a014761f6e
	v_fmaak_f64 v[22:23], v[20:21], v[22:23], 0x3f56c16c1852b7b0
	s_delay_alu instid0(VALU_DEP_1) | instskip(SKIP_1) | instid1(VALU_DEP_2)
	v_fmaak_f64 v[22:23], v[20:21], v[22:23], 0x3f81111111122322
	v_add_f64_e32 v[16:17], 0x3cb55915fceb588a, v[16:17]
	v_fmaak_f64 v[22:23], v[20:21], v[22:23], 0x3fa55555555502a1
	s_delay_alu instid0(VALU_DEP_1) | instskip(NEXT) | instid1(VALU_DEP_1)
	v_fmaak_f64 v[22:23], v[20:21], v[22:23], 0x3fc5555555555511
	v_fmaak_f64 v[22:23], v[20:21], v[22:23], 0x3fe000000000000b
	s_delay_alu instid0(VALU_DEP_1) | instskip(SKIP_1) | instid1(VALU_DEP_1)
	v_fma_f64 v[22:23], v[20:21], v[22:23], 1.0
	v_fma_f64 v[12:13], v[2:3], v[16:17], -v[12:13]
	v_add_f64_e32 v[12:13], 0x3cb7d68e5f04a2d1, v[12:13]
	s_delay_alu instid0(VALU_DEP_1) | instskip(NEXT) | instid1(VALU_DEP_1)
	v_fma_f64 v[16:17], v[2:3], v[12:13], -v[16:17]
	v_add_f64_e32 v[16:17], 0xbce0efcd8bc4d22a, v[16:17]
	s_delay_alu instid0(VALU_DEP_1) | instskip(NEXT) | instid1(VALU_DEP_1)
	;; [unrolled: 3-line block ×18, first 2 shown]
	v_fma_f64 v[12:13], v[2:3], v[16:17], -v[12:13]
	v_add_f64_e32 v[12:13], 0xbf83fda053fcdb4c, v[12:13]
	s_delay_alu instid0(VALU_DEP_1) | instskip(SKIP_1) | instid1(VALU_DEP_2)
	v_fma_f64 v[2:3], v[2:3], v[12:13], -v[16:17]
	v_fma_f64 v[12:13], v[20:21], v[22:23], 1.0
	v_add_f64_e32 v[2:3], 0x3fe8ea18b55b1514, v[2:3]
	s_delay_alu instid0(VALU_DEP_2) | instskip(NEXT) | instid1(VALU_DEP_2)
	v_ldexp_f64 v[12:13], v[12:13], v15
	v_add_f64_e64 v[16:17], v[2:3], -v[16:17]
	s_delay_alu instid0(VALU_DEP_2) | instskip(NEXT) | instid1(VALU_DEP_3)
	v_cndmask_b32_e32 v3, 0x7ff00000, v13, vcc_lo
	v_cndmask_b32_e32 v2, 0, v12, vcc_lo
	s_and_saveexec_b32 s4, s0
	s_delay_alu instid0(SALU_CYCLE_1)
	s_xor_b32 s0, exec_lo, s4
	s_cbranch_execz .LBB1_45
; %bb.44:
	v_cmp_gt_f64_e64 s4, 0x10000000, |v[4:5]|
	s_delay_alu instid0(VALU_DEP_1) | instskip(SKIP_1) | instid1(VALU_DEP_2)
	v_cndmask_b32_e64 v12, 0, 0x100, s4
	v_cndmask_b32_e64 v15, 0, 0xffffff80, s4
	v_ldexp_f64 v[4:5], |v[4:5]|, v12
	s_delay_alu instid0(VALU_DEP_1) | instskip(SKIP_1) | instid1(TRANS32_DEP_1)
	v_rsq_f64_e32 v[12:13], v[4:5]
	v_cmp_class_f64_e64 vcc_lo, v[4:5], 0x260
	v_mul_f64_e32 v[18:19], v[4:5], v[12:13]
	v_mul_f64_e32 v[12:13], 0.5, v[12:13]
	s_delay_alu instid0(VALU_DEP_1) | instskip(NEXT) | instid1(VALU_DEP_1)
	v_fma_f64 v[20:21], -v[12:13], v[18:19], 0.5
	v_fmac_f64_e32 v[18:19], v[18:19], v[20:21]
	v_fmac_f64_e32 v[12:13], v[12:13], v[20:21]
	s_delay_alu instid0(VALU_DEP_2) | instskip(NEXT) | instid1(VALU_DEP_1)
	v_fma_f64 v[20:21], -v[18:19], v[18:19], v[4:5]
	v_fmac_f64_e32 v[18:19], v[20:21], v[12:13]
	s_delay_alu instid0(VALU_DEP_1) | instskip(NEXT) | instid1(VALU_DEP_1)
	v_fma_f64 v[20:21], -v[18:19], v[18:19], v[4:5]
	v_fmac_f64_e32 v[18:19], v[20:21], v[12:13]
	v_mul_f64_e32 v[12:13], 0.5, v[16:17]
	s_delay_alu instid0(VALU_DEP_2) | instskip(NEXT) | instid1(VALU_DEP_2)
	v_ldexp_f64 v[16:17], v[18:19], v15
	v_mul_f64_e32 v[2:3], v[2:3], v[12:13]
	s_delay_alu instid0(VALU_DEP_2) | instskip(NEXT) | instid1(VALU_DEP_1)
	v_dual_cndmask_b32 v5, v17, v5 :: v_dual_cndmask_b32 v4, v16, v4
	v_div_scale_f64 v[12:13], null, v[4:5], v[4:5], v[2:3]
	s_delay_alu instid0(VALU_DEP_1) | instskip(SKIP_1) | instid1(TRANS32_DEP_1)
	v_rcp_f64_e32 v[16:17], v[12:13]
	v_nop
	v_fma_f64 v[18:19], -v[12:13], v[16:17], 1.0
	s_delay_alu instid0(VALU_DEP_1) | instskip(NEXT) | instid1(VALU_DEP_1)
	v_fmac_f64_e32 v[16:17], v[16:17], v[18:19]
	v_fma_f64 v[18:19], -v[12:13], v[16:17], 1.0
	s_delay_alu instid0(VALU_DEP_1) | instskip(SKIP_1) | instid1(VALU_DEP_1)
	v_fmac_f64_e32 v[16:17], v[16:17], v[18:19]
	v_div_scale_f64 v[18:19], vcc_lo, v[2:3], v[4:5], v[2:3]
	v_mul_f64_e32 v[20:21], v[18:19], v[16:17]
	s_delay_alu instid0(VALU_DEP_1) | instskip(NEXT) | instid1(VALU_DEP_1)
	v_fma_f64 v[12:13], -v[12:13], v[20:21], v[18:19]
	v_div_fmas_f64 v[12:13], v[12:13], v[16:17], v[20:21]
                                        ; implicit-def: $vgpr16_vgpr17
	s_delay_alu instid0(VALU_DEP_1)
	v_div_fixup_f64 v[12:13], v[12:13], v[4:5], v[2:3]
                                        ; implicit-def: $vgpr4_vgpr5
                                        ; implicit-def: $vgpr2_vgpr3
.LBB1_45:
	s_and_not1_saveexec_b32 s0, s0
	s_cbranch_execz .LBB1_47
; %bb.46:
	v_cmp_gt_f64_e64 s4, 0x10000000, |v[4:5]|
	s_delay_alu instid0(VALU_DEP_1) | instskip(SKIP_1) | instid1(VALU_DEP_2)
	v_cndmask_b32_e64 v12, 0, 0x100, s4
	v_cndmask_b32_e64 v15, 0, 0xffffff80, s4
	v_ldexp_f64 v[4:5], |v[4:5]|, v12
	s_delay_alu instid0(VALU_DEP_1) | instskip(SKIP_1) | instid1(TRANS32_DEP_1)
	v_rsq_f64_e32 v[12:13], v[4:5]
	v_cmp_class_f64_e64 vcc_lo, v[4:5], 0x260
	v_mul_f64_e32 v[18:19], v[4:5], v[12:13]
	v_mul_f64_e32 v[12:13], 0.5, v[12:13]
	s_delay_alu instid0(VALU_DEP_1) | instskip(NEXT) | instid1(VALU_DEP_1)
	v_fma_f64 v[20:21], -v[12:13], v[18:19], 0.5
	v_fmac_f64_e32 v[18:19], v[18:19], v[20:21]
	v_fmac_f64_e32 v[12:13], v[12:13], v[20:21]
	s_delay_alu instid0(VALU_DEP_2) | instskip(NEXT) | instid1(VALU_DEP_1)
	v_fma_f64 v[20:21], -v[18:19], v[18:19], v[4:5]
	v_fmac_f64_e32 v[18:19], v[20:21], v[12:13]
	s_delay_alu instid0(VALU_DEP_1) | instskip(NEXT) | instid1(VALU_DEP_1)
	v_fma_f64 v[20:21], -v[18:19], v[18:19], v[4:5]
	v_fmac_f64_e32 v[18:19], v[20:21], v[12:13]
	v_mul_f64_e32 v[12:13], -0.5, v[16:17]
	s_delay_alu instid0(VALU_DEP_2) | instskip(NEXT) | instid1(VALU_DEP_2)
	v_ldexp_f64 v[16:17], v[18:19], v15
	v_mul_f64_e32 v[2:3], v[2:3], v[12:13]
	s_delay_alu instid0(VALU_DEP_2) | instskip(NEXT) | instid1(VALU_DEP_1)
	v_dual_cndmask_b32 v5, v17, v5 :: v_dual_cndmask_b32 v4, v16, v4
	v_div_scale_f64 v[12:13], null, v[4:5], v[4:5], v[2:3]
	s_delay_alu instid0(VALU_DEP_1) | instskip(SKIP_1) | instid1(TRANS32_DEP_1)
	v_rcp_f64_e32 v[16:17], v[12:13]
	v_nop
	v_fma_f64 v[18:19], -v[12:13], v[16:17], 1.0
	s_delay_alu instid0(VALU_DEP_1) | instskip(NEXT) | instid1(VALU_DEP_1)
	v_fmac_f64_e32 v[16:17], v[16:17], v[18:19]
	v_fma_f64 v[18:19], -v[12:13], v[16:17], 1.0
	s_delay_alu instid0(VALU_DEP_1) | instskip(SKIP_1) | instid1(VALU_DEP_1)
	v_fmac_f64_e32 v[16:17], v[16:17], v[18:19]
	v_div_scale_f64 v[18:19], vcc_lo, v[2:3], v[4:5], v[2:3]
	v_mul_f64_e32 v[20:21], v[18:19], v[16:17]
	s_delay_alu instid0(VALU_DEP_1) | instskip(NEXT) | instid1(VALU_DEP_1)
	v_fma_f64 v[12:13], -v[12:13], v[20:21], v[18:19]
	v_div_fmas_f64 v[12:13], v[12:13], v[16:17], v[20:21]
	s_delay_alu instid0(VALU_DEP_1)
	v_div_fixup_f64 v[12:13], v[12:13], v[4:5], v[2:3]
.LBB1_47:
	s_or_b32 exec_lo, exec_lo, s0
.LBB1_48:
	s_delay_alu instid0(SALU_CYCLE_1) | instskip(SKIP_2) | instid1(VALU_DEP_1)
	s_or_b32 exec_lo, exec_lo, s1
	v_lshl_add_u64 v[0:1], s[2:3], 3, v[0:1]
	v_mov_b32_e32 v15, 0
	v_add_nc_u64_e32 v[0:1], v[0:1], v[14:15]
	s_clause 0x1
	flat_store_b128 v[0:1], v[6:9]
	flat_store_b128 v[0:1], v[10:13] offset:16
	s_wait_dscnt 0x0
	s_set_pc_i64 s[30:31]
.Lfunc_end1:
	.size	_ZN2at6native25elementwise_kernel_helperILb0EZZZNS0_12_GLOBAL__N_130modified_bessel_i1_kernel_cudaERNS_18TensorIteratorBaseEENKUlvE_clEvENKUlvE_clEvEUldE_NS0_6memory8policies10vectorizedILi4ESt5arrayIPcLm2EELi4EEEEEvT0_T1_, .Lfunc_end1-_ZN2at6native25elementwise_kernel_helperILb0EZZZNS0_12_GLOBAL__N_130modified_bessel_i1_kernel_cudaERNS_18TensorIteratorBaseEENKUlvE_clEvENKUlvE_clEvEUldE_NS0_6memory8policies10vectorizedILi4ESt5arrayIPcLm2EELi4EEEEEvT0_T1_
                                        ; -- End function
	.set .L_ZN2at6native25elementwise_kernel_helperILb0EZZZNS0_12_GLOBAL__N_130modified_bessel_i1_kernel_cudaERNS_18TensorIteratorBaseEENKUlvE_clEvENKUlvE_clEvEUldE_NS0_6memory8policies10vectorizedILi4ESt5arrayIPcLm2EELi4EEEEEvT0_T1_.num_vgpr, 32
	.set .L_ZN2at6native25elementwise_kernel_helperILb0EZZZNS0_12_GLOBAL__N_130modified_bessel_i1_kernel_cudaERNS_18TensorIteratorBaseEENKUlvE_clEvENKUlvE_clEvEUldE_NS0_6memory8policies10vectorizedILi4ESt5arrayIPcLm2EELi4EEEEEvT0_T1_.num_agpr, 0
	.set .L_ZN2at6native25elementwise_kernel_helperILb0EZZZNS0_12_GLOBAL__N_130modified_bessel_i1_kernel_cudaERNS_18TensorIteratorBaseEENKUlvE_clEvENKUlvE_clEvEUldE_NS0_6memory8policies10vectorizedILi4ESt5arrayIPcLm2EELi4EEEEEvT0_T1_.numbered_sgpr, 32
	.set .L_ZN2at6native25elementwise_kernel_helperILb0EZZZNS0_12_GLOBAL__N_130modified_bessel_i1_kernel_cudaERNS_18TensorIteratorBaseEENKUlvE_clEvENKUlvE_clEvEUldE_NS0_6memory8policies10vectorizedILi4ESt5arrayIPcLm2EELi4EEEEEvT0_T1_.num_named_barrier, 0
	.set .L_ZN2at6native25elementwise_kernel_helperILb0EZZZNS0_12_GLOBAL__N_130modified_bessel_i1_kernel_cudaERNS_18TensorIteratorBaseEENKUlvE_clEvENKUlvE_clEvEUldE_NS0_6memory8policies10vectorizedILi4ESt5arrayIPcLm2EELi4EEEEEvT0_T1_.private_seg_size, 0
	.set .L_ZN2at6native25elementwise_kernel_helperILb0EZZZNS0_12_GLOBAL__N_130modified_bessel_i1_kernel_cudaERNS_18TensorIteratorBaseEENKUlvE_clEvENKUlvE_clEvEUldE_NS0_6memory8policies10vectorizedILi4ESt5arrayIPcLm2EELi4EEEEEvT0_T1_.uses_vcc, 1
	.set .L_ZN2at6native25elementwise_kernel_helperILb0EZZZNS0_12_GLOBAL__N_130modified_bessel_i1_kernel_cudaERNS_18TensorIteratorBaseEENKUlvE_clEvENKUlvE_clEvEUldE_NS0_6memory8policies10vectorizedILi4ESt5arrayIPcLm2EELi4EEEEEvT0_T1_.uses_flat_scratch, 1
	.set .L_ZN2at6native25elementwise_kernel_helperILb0EZZZNS0_12_GLOBAL__N_130modified_bessel_i1_kernel_cudaERNS_18TensorIteratorBaseEENKUlvE_clEvENKUlvE_clEvEUldE_NS0_6memory8policies10vectorizedILi4ESt5arrayIPcLm2EELi4EEEEEvT0_T1_.has_dyn_sized_stack, 0
	.set .L_ZN2at6native25elementwise_kernel_helperILb0EZZZNS0_12_GLOBAL__N_130modified_bessel_i1_kernel_cudaERNS_18TensorIteratorBaseEENKUlvE_clEvENKUlvE_clEvEUldE_NS0_6memory8policies10vectorizedILi4ESt5arrayIPcLm2EELi4EEEEEvT0_T1_.has_recursion, 0
	.set .L_ZN2at6native25elementwise_kernel_helperILb0EZZZNS0_12_GLOBAL__N_130modified_bessel_i1_kernel_cudaERNS_18TensorIteratorBaseEENKUlvE_clEvENKUlvE_clEvEUldE_NS0_6memory8policies10vectorizedILi4ESt5arrayIPcLm2EELi4EEEEEvT0_T1_.has_indirect_call, 0
	.section	.AMDGPU.csdata,"",@progbits
; Function info:
; codeLenInByte = 10632
; TotalNumSgprs: 34
; NumVgprs: 32
; ScratchSize: 0
; MemoryBound: 0
	.section	.text._ZN2at6native29vectorized_elementwise_kernelILi16EZZZNS0_12_GLOBAL__N_130modified_bessel_i1_kernel_cudaERNS_18TensorIteratorBaseEENKUlvE_clEvENKUlvE_clEvEUldE_St5arrayIPcLm2EEEEviT0_T1_,"axG",@progbits,_ZN2at6native29vectorized_elementwise_kernelILi16EZZZNS0_12_GLOBAL__N_130modified_bessel_i1_kernel_cudaERNS_18TensorIteratorBaseEENKUlvE_clEvENKUlvE_clEvEUldE_St5arrayIPcLm2EEEEviT0_T1_,comdat
	.globl	_ZN2at6native29vectorized_elementwise_kernelILi16EZZZNS0_12_GLOBAL__N_130modified_bessel_i1_kernel_cudaERNS_18TensorIteratorBaseEENKUlvE_clEvENKUlvE_clEvEUldE_St5arrayIPcLm2EEEEviT0_T1_ ; -- Begin function _ZN2at6native29vectorized_elementwise_kernelILi16EZZZNS0_12_GLOBAL__N_130modified_bessel_i1_kernel_cudaERNS_18TensorIteratorBaseEENKUlvE_clEvENKUlvE_clEvEUldE_St5arrayIPcLm2EEEEviT0_T1_
	.p2align	8
	.type	_ZN2at6native29vectorized_elementwise_kernelILi16EZZZNS0_12_GLOBAL__N_130modified_bessel_i1_kernel_cudaERNS_18TensorIteratorBaseEENKUlvE_clEvENKUlvE_clEvEUldE_St5arrayIPcLm2EEEEviT0_T1_,@function
_ZN2at6native29vectorized_elementwise_kernelILi16EZZZNS0_12_GLOBAL__N_130modified_bessel_i1_kernel_cudaERNS_18TensorIteratorBaseEENKUlvE_clEvENKUlvE_clEvEUldE_St5arrayIPcLm2EEEEviT0_T1_: ; @_ZN2at6native29vectorized_elementwise_kernelILi16EZZZNS0_12_GLOBAL__N_130modified_bessel_i1_kernel_cudaERNS_18TensorIteratorBaseEENKUlvE_clEvENKUlvE_clEvEUldE_St5arrayIPcLm2EEEEviT0_T1_
; %bb.0:
	s_clause 0x1
	s_load_b32 s2, s[0:1], 0x0
	s_load_b128 s[8:11], s[0:1], 0x8
	s_wait_xcnt 0x0
	s_bfe_u32 s0, ttmp6, 0x4000c
	s_and_b32 s1, ttmp6, 15
	s_add_co_i32 s0, s0, 1
	s_getreg_b32 s3, hwreg(HW_REG_IB_STS2, 6, 4)
	s_mul_i32 s0, ttmp9, s0
	v_mov_b32_e32 v31, v0
	s_add_co_i32 s1, s1, s0
	s_cmp_eq_u32 s3, 0
	s_mov_b32 s32, 0
	s_cselect_b32 s0, ttmp9, s1
	s_delay_alu instid0(SALU_CYCLE_1)
	s_lshl_b32 s0, s0, 10
	s_wait_kmcnt 0x0
	s_sub_co_i32 s6, s2, s0
	s_mov_b32 s0, -1
	s_cmp_gt_i32 s6, 0x3ff
	s_cbranch_scc1 .LBB2_3
; %bb.1:
	s_and_not1_b32 vcc_lo, exec_lo, s0
	s_cbranch_vccz .LBB2_4
.LBB2_2:
	s_endpgm
.LBB2_3:
	v_dual_mov_b32 v0, s8 :: v_dual_mov_b32 v1, s9
	v_dual_mov_b32 v2, s10 :: v_dual_mov_b32 v3, s11
	s_get_pc_i64 s[0:1]
	s_add_nc_u64 s[0:1], s[0:1], _ZN2at6native25elementwise_kernel_helperILb0EZZZNS0_12_GLOBAL__N_130modified_bessel_i1_kernel_cudaERNS_18TensorIteratorBaseEENKUlvE_clEvENKUlvE_clEvEUldE_NS0_6memory8policies10vectorizedILi4ESt5arrayIPcLm2EELi4EEEEEvT0_T1_@rel64+4
	s_delay_alu instid0(SALU_CYCLE_1)
	s_swap_pc_i64 s[30:31], s[0:1]
	s_cbranch_execnz .LBB2_2
.LBB2_4:
	v_dual_mov_b32 v0, s8 :: v_dual_mov_b32 v1, s9
	v_dual_mov_b32 v2, s10 :: v_dual_mov_b32 v3, s11
	v_mov_b32_e32 v4, s6
	s_get_pc_i64 s[0:1]
	s_add_nc_u64 s[0:1], s[0:1], _ZN2at6native25elementwise_kernel_helperILb0EZZZNS0_12_GLOBAL__N_130modified_bessel_i1_kernel_cudaERNS_18TensorIteratorBaseEENKUlvE_clEvENKUlvE_clEvEUldE_NS0_6memory8policies11unroll_baseILi256ESt5arrayIPcLm2EE23TrivialOffsetCalculatorILi1EjESF_NS8_15LoadWithoutCastENS8_16StoreWithoutCastELi4ELi1EEEEEvT0_T1_@rel64+4
	s_delay_alu instid0(SALU_CYCLE_1)
	s_swap_pc_i64 s[30:31], s[0:1]
	s_endpgm
	.section	.rodata,"a",@progbits
	.p2align	6, 0x0
	.amdhsa_kernel _ZN2at6native29vectorized_elementwise_kernelILi16EZZZNS0_12_GLOBAL__N_130modified_bessel_i1_kernel_cudaERNS_18TensorIteratorBaseEENKUlvE_clEvENKUlvE_clEvEUldE_St5arrayIPcLm2EEEEviT0_T1_
		.amdhsa_group_segment_fixed_size 0
		.amdhsa_private_segment_fixed_size 0
		.amdhsa_kernarg_size 24
		.amdhsa_user_sgpr_count 2
		.amdhsa_user_sgpr_dispatch_ptr 0
		.amdhsa_user_sgpr_queue_ptr 0
		.amdhsa_user_sgpr_kernarg_segment_ptr 1
		.amdhsa_user_sgpr_dispatch_id 0
		.amdhsa_user_sgpr_kernarg_preload_length 0
		.amdhsa_user_sgpr_kernarg_preload_offset 0
		.amdhsa_user_sgpr_private_segment_size 0
		.amdhsa_wavefront_size32 1
		.amdhsa_uses_dynamic_stack 0
		.amdhsa_enable_private_segment 0
		.amdhsa_system_sgpr_workgroup_id_x 1
		.amdhsa_system_sgpr_workgroup_id_y 0
		.amdhsa_system_sgpr_workgroup_id_z 0
		.amdhsa_system_sgpr_workgroup_info 0
		.amdhsa_system_vgpr_workitem_id 0
		.amdhsa_next_free_vgpr 32
		.amdhsa_next_free_sgpr 33
		.amdhsa_named_barrier_count 0
		.amdhsa_reserve_vcc 1
		.amdhsa_float_round_mode_32 0
		.amdhsa_float_round_mode_16_64 0
		.amdhsa_float_denorm_mode_32 3
		.amdhsa_float_denorm_mode_16_64 3
		.amdhsa_fp16_overflow 0
		.amdhsa_memory_ordered 1
		.amdhsa_forward_progress 1
		.amdhsa_inst_pref_size 2
		.amdhsa_round_robin_scheduling 0
		.amdhsa_exception_fp_ieee_invalid_op 0
		.amdhsa_exception_fp_denorm_src 0
		.amdhsa_exception_fp_ieee_div_zero 0
		.amdhsa_exception_fp_ieee_overflow 0
		.amdhsa_exception_fp_ieee_underflow 0
		.amdhsa_exception_fp_ieee_inexact 0
		.amdhsa_exception_int_div_zero 0
	.end_amdhsa_kernel
	.section	.text._ZN2at6native29vectorized_elementwise_kernelILi16EZZZNS0_12_GLOBAL__N_130modified_bessel_i1_kernel_cudaERNS_18TensorIteratorBaseEENKUlvE_clEvENKUlvE_clEvEUldE_St5arrayIPcLm2EEEEviT0_T1_,"axG",@progbits,_ZN2at6native29vectorized_elementwise_kernelILi16EZZZNS0_12_GLOBAL__N_130modified_bessel_i1_kernel_cudaERNS_18TensorIteratorBaseEENKUlvE_clEvENKUlvE_clEvEUldE_St5arrayIPcLm2EEEEviT0_T1_,comdat
.Lfunc_end2:
	.size	_ZN2at6native29vectorized_elementwise_kernelILi16EZZZNS0_12_GLOBAL__N_130modified_bessel_i1_kernel_cudaERNS_18TensorIteratorBaseEENKUlvE_clEvENKUlvE_clEvEUldE_St5arrayIPcLm2EEEEviT0_T1_, .Lfunc_end2-_ZN2at6native29vectorized_elementwise_kernelILi16EZZZNS0_12_GLOBAL__N_130modified_bessel_i1_kernel_cudaERNS_18TensorIteratorBaseEENKUlvE_clEvENKUlvE_clEvEUldE_St5arrayIPcLm2EEEEviT0_T1_
                                        ; -- End function
	.set _ZN2at6native29vectorized_elementwise_kernelILi16EZZZNS0_12_GLOBAL__N_130modified_bessel_i1_kernel_cudaERNS_18TensorIteratorBaseEENKUlvE_clEvENKUlvE_clEvEUldE_St5arrayIPcLm2EEEEviT0_T1_.num_vgpr, max(32, .L_ZN2at6native25elementwise_kernel_helperILb0EZZZNS0_12_GLOBAL__N_130modified_bessel_i1_kernel_cudaERNS_18TensorIteratorBaseEENKUlvE_clEvENKUlvE_clEvEUldE_NS0_6memory8policies10vectorizedILi4ESt5arrayIPcLm2EELi4EEEEEvT0_T1_.num_vgpr, .L_ZN2at6native25elementwise_kernel_helperILb0EZZZNS0_12_GLOBAL__N_130modified_bessel_i1_kernel_cudaERNS_18TensorIteratorBaseEENKUlvE_clEvENKUlvE_clEvEUldE_NS0_6memory8policies11unroll_baseILi256ESt5arrayIPcLm2EE23TrivialOffsetCalculatorILi1EjESF_NS8_15LoadWithoutCastENS8_16StoreWithoutCastELi4ELi1EEEEEvT0_T1_.num_vgpr)
	.set _ZN2at6native29vectorized_elementwise_kernelILi16EZZZNS0_12_GLOBAL__N_130modified_bessel_i1_kernel_cudaERNS_18TensorIteratorBaseEENKUlvE_clEvENKUlvE_clEvEUldE_St5arrayIPcLm2EEEEviT0_T1_.num_agpr, max(0, .L_ZN2at6native25elementwise_kernel_helperILb0EZZZNS0_12_GLOBAL__N_130modified_bessel_i1_kernel_cudaERNS_18TensorIteratorBaseEENKUlvE_clEvENKUlvE_clEvEUldE_NS0_6memory8policies10vectorizedILi4ESt5arrayIPcLm2EELi4EEEEEvT0_T1_.num_agpr, .L_ZN2at6native25elementwise_kernel_helperILb0EZZZNS0_12_GLOBAL__N_130modified_bessel_i1_kernel_cudaERNS_18TensorIteratorBaseEENKUlvE_clEvENKUlvE_clEvEUldE_NS0_6memory8policies11unroll_baseILi256ESt5arrayIPcLm2EE23TrivialOffsetCalculatorILi1EjESF_NS8_15LoadWithoutCastENS8_16StoreWithoutCastELi4ELi1EEEEEvT0_T1_.num_agpr)
	.set _ZN2at6native29vectorized_elementwise_kernelILi16EZZZNS0_12_GLOBAL__N_130modified_bessel_i1_kernel_cudaERNS_18TensorIteratorBaseEENKUlvE_clEvENKUlvE_clEvEUldE_St5arrayIPcLm2EEEEviT0_T1_.numbered_sgpr, max(33, .L_ZN2at6native25elementwise_kernel_helperILb0EZZZNS0_12_GLOBAL__N_130modified_bessel_i1_kernel_cudaERNS_18TensorIteratorBaseEENKUlvE_clEvENKUlvE_clEvEUldE_NS0_6memory8policies10vectorizedILi4ESt5arrayIPcLm2EELi4EEEEEvT0_T1_.numbered_sgpr, .L_ZN2at6native25elementwise_kernel_helperILb0EZZZNS0_12_GLOBAL__N_130modified_bessel_i1_kernel_cudaERNS_18TensorIteratorBaseEENKUlvE_clEvENKUlvE_clEvEUldE_NS0_6memory8policies11unroll_baseILi256ESt5arrayIPcLm2EE23TrivialOffsetCalculatorILi1EjESF_NS8_15LoadWithoutCastENS8_16StoreWithoutCastELi4ELi1EEEEEvT0_T1_.numbered_sgpr)
	.set _ZN2at6native29vectorized_elementwise_kernelILi16EZZZNS0_12_GLOBAL__N_130modified_bessel_i1_kernel_cudaERNS_18TensorIteratorBaseEENKUlvE_clEvENKUlvE_clEvEUldE_St5arrayIPcLm2EEEEviT0_T1_.num_named_barrier, max(0, .L_ZN2at6native25elementwise_kernel_helperILb0EZZZNS0_12_GLOBAL__N_130modified_bessel_i1_kernel_cudaERNS_18TensorIteratorBaseEENKUlvE_clEvENKUlvE_clEvEUldE_NS0_6memory8policies10vectorizedILi4ESt5arrayIPcLm2EELi4EEEEEvT0_T1_.num_named_barrier, .L_ZN2at6native25elementwise_kernel_helperILb0EZZZNS0_12_GLOBAL__N_130modified_bessel_i1_kernel_cudaERNS_18TensorIteratorBaseEENKUlvE_clEvENKUlvE_clEvEUldE_NS0_6memory8policies11unroll_baseILi256ESt5arrayIPcLm2EE23TrivialOffsetCalculatorILi1EjESF_NS8_15LoadWithoutCastENS8_16StoreWithoutCastELi4ELi1EEEEEvT0_T1_.num_named_barrier)
	.set _ZN2at6native29vectorized_elementwise_kernelILi16EZZZNS0_12_GLOBAL__N_130modified_bessel_i1_kernel_cudaERNS_18TensorIteratorBaseEENKUlvE_clEvENKUlvE_clEvEUldE_St5arrayIPcLm2EEEEviT0_T1_.private_seg_size, 0+max(.L_ZN2at6native25elementwise_kernel_helperILb0EZZZNS0_12_GLOBAL__N_130modified_bessel_i1_kernel_cudaERNS_18TensorIteratorBaseEENKUlvE_clEvENKUlvE_clEvEUldE_NS0_6memory8policies10vectorizedILi4ESt5arrayIPcLm2EELi4EEEEEvT0_T1_.private_seg_size, .L_ZN2at6native25elementwise_kernel_helperILb0EZZZNS0_12_GLOBAL__N_130modified_bessel_i1_kernel_cudaERNS_18TensorIteratorBaseEENKUlvE_clEvENKUlvE_clEvEUldE_NS0_6memory8policies11unroll_baseILi256ESt5arrayIPcLm2EE23TrivialOffsetCalculatorILi1EjESF_NS8_15LoadWithoutCastENS8_16StoreWithoutCastELi4ELi1EEEEEvT0_T1_.private_seg_size)
	.set _ZN2at6native29vectorized_elementwise_kernelILi16EZZZNS0_12_GLOBAL__N_130modified_bessel_i1_kernel_cudaERNS_18TensorIteratorBaseEENKUlvE_clEvENKUlvE_clEvEUldE_St5arrayIPcLm2EEEEviT0_T1_.uses_vcc, or(1, .L_ZN2at6native25elementwise_kernel_helperILb0EZZZNS0_12_GLOBAL__N_130modified_bessel_i1_kernel_cudaERNS_18TensorIteratorBaseEENKUlvE_clEvENKUlvE_clEvEUldE_NS0_6memory8policies10vectorizedILi4ESt5arrayIPcLm2EELi4EEEEEvT0_T1_.uses_vcc, .L_ZN2at6native25elementwise_kernel_helperILb0EZZZNS0_12_GLOBAL__N_130modified_bessel_i1_kernel_cudaERNS_18TensorIteratorBaseEENKUlvE_clEvENKUlvE_clEvEUldE_NS0_6memory8policies11unroll_baseILi256ESt5arrayIPcLm2EE23TrivialOffsetCalculatorILi1EjESF_NS8_15LoadWithoutCastENS8_16StoreWithoutCastELi4ELi1EEEEEvT0_T1_.uses_vcc)
	.set _ZN2at6native29vectorized_elementwise_kernelILi16EZZZNS0_12_GLOBAL__N_130modified_bessel_i1_kernel_cudaERNS_18TensorIteratorBaseEENKUlvE_clEvENKUlvE_clEvEUldE_St5arrayIPcLm2EEEEviT0_T1_.uses_flat_scratch, or(0, .L_ZN2at6native25elementwise_kernel_helperILb0EZZZNS0_12_GLOBAL__N_130modified_bessel_i1_kernel_cudaERNS_18TensorIteratorBaseEENKUlvE_clEvENKUlvE_clEvEUldE_NS0_6memory8policies10vectorizedILi4ESt5arrayIPcLm2EELi4EEEEEvT0_T1_.uses_flat_scratch, .L_ZN2at6native25elementwise_kernel_helperILb0EZZZNS0_12_GLOBAL__N_130modified_bessel_i1_kernel_cudaERNS_18TensorIteratorBaseEENKUlvE_clEvENKUlvE_clEvEUldE_NS0_6memory8policies11unroll_baseILi256ESt5arrayIPcLm2EE23TrivialOffsetCalculatorILi1EjESF_NS8_15LoadWithoutCastENS8_16StoreWithoutCastELi4ELi1EEEEEvT0_T1_.uses_flat_scratch)
	.set _ZN2at6native29vectorized_elementwise_kernelILi16EZZZNS0_12_GLOBAL__N_130modified_bessel_i1_kernel_cudaERNS_18TensorIteratorBaseEENKUlvE_clEvENKUlvE_clEvEUldE_St5arrayIPcLm2EEEEviT0_T1_.has_dyn_sized_stack, or(0, .L_ZN2at6native25elementwise_kernel_helperILb0EZZZNS0_12_GLOBAL__N_130modified_bessel_i1_kernel_cudaERNS_18TensorIteratorBaseEENKUlvE_clEvENKUlvE_clEvEUldE_NS0_6memory8policies10vectorizedILi4ESt5arrayIPcLm2EELi4EEEEEvT0_T1_.has_dyn_sized_stack, .L_ZN2at6native25elementwise_kernel_helperILb0EZZZNS0_12_GLOBAL__N_130modified_bessel_i1_kernel_cudaERNS_18TensorIteratorBaseEENKUlvE_clEvENKUlvE_clEvEUldE_NS0_6memory8policies11unroll_baseILi256ESt5arrayIPcLm2EE23TrivialOffsetCalculatorILi1EjESF_NS8_15LoadWithoutCastENS8_16StoreWithoutCastELi4ELi1EEEEEvT0_T1_.has_dyn_sized_stack)
	.set _ZN2at6native29vectorized_elementwise_kernelILi16EZZZNS0_12_GLOBAL__N_130modified_bessel_i1_kernel_cudaERNS_18TensorIteratorBaseEENKUlvE_clEvENKUlvE_clEvEUldE_St5arrayIPcLm2EEEEviT0_T1_.has_recursion, or(0, .L_ZN2at6native25elementwise_kernel_helperILb0EZZZNS0_12_GLOBAL__N_130modified_bessel_i1_kernel_cudaERNS_18TensorIteratorBaseEENKUlvE_clEvENKUlvE_clEvEUldE_NS0_6memory8policies10vectorizedILi4ESt5arrayIPcLm2EELi4EEEEEvT0_T1_.has_recursion, .L_ZN2at6native25elementwise_kernel_helperILb0EZZZNS0_12_GLOBAL__N_130modified_bessel_i1_kernel_cudaERNS_18TensorIteratorBaseEENKUlvE_clEvENKUlvE_clEvEUldE_NS0_6memory8policies11unroll_baseILi256ESt5arrayIPcLm2EE23TrivialOffsetCalculatorILi1EjESF_NS8_15LoadWithoutCastENS8_16StoreWithoutCastELi4ELi1EEEEEvT0_T1_.has_recursion)
	.set _ZN2at6native29vectorized_elementwise_kernelILi16EZZZNS0_12_GLOBAL__N_130modified_bessel_i1_kernel_cudaERNS_18TensorIteratorBaseEENKUlvE_clEvENKUlvE_clEvEUldE_St5arrayIPcLm2EEEEviT0_T1_.has_indirect_call, or(0, .L_ZN2at6native25elementwise_kernel_helperILb0EZZZNS0_12_GLOBAL__N_130modified_bessel_i1_kernel_cudaERNS_18TensorIteratorBaseEENKUlvE_clEvENKUlvE_clEvEUldE_NS0_6memory8policies10vectorizedILi4ESt5arrayIPcLm2EELi4EEEEEvT0_T1_.has_indirect_call, .L_ZN2at6native25elementwise_kernel_helperILb0EZZZNS0_12_GLOBAL__N_130modified_bessel_i1_kernel_cudaERNS_18TensorIteratorBaseEENKUlvE_clEvENKUlvE_clEvEUldE_NS0_6memory8policies11unroll_baseILi256ESt5arrayIPcLm2EE23TrivialOffsetCalculatorILi1EjESF_NS8_15LoadWithoutCastENS8_16StoreWithoutCastELi4ELi1EEEEEvT0_T1_.has_indirect_call)
	.section	.AMDGPU.csdata,"",@progbits
; Kernel info:
; codeLenInByte = 204
; TotalNumSgprs: 35
; NumVgprs: 32
; ScratchSize: 0
; MemoryBound: 0
; FloatMode: 240
; IeeeMode: 1
; LDSByteSize: 0 bytes/workgroup (compile time only)
; SGPRBlocks: 0
; VGPRBlocks: 1
; NumSGPRsForWavesPerEU: 35
; NumVGPRsForWavesPerEU: 32
; NamedBarCnt: 0
; Occupancy: 16
; WaveLimiterHint : 0
; COMPUTE_PGM_RSRC2:SCRATCH_EN: 0
; COMPUTE_PGM_RSRC2:USER_SGPR: 2
; COMPUTE_PGM_RSRC2:TRAP_HANDLER: 0
; COMPUTE_PGM_RSRC2:TGID_X_EN: 1
; COMPUTE_PGM_RSRC2:TGID_Y_EN: 0
; COMPUTE_PGM_RSRC2:TGID_Z_EN: 0
; COMPUTE_PGM_RSRC2:TIDIG_COMP_CNT: 0
	.section	.text._ZN2at6native29vectorized_elementwise_kernelILi8EZZZNS0_12_GLOBAL__N_130modified_bessel_i1_kernel_cudaERNS_18TensorIteratorBaseEENKUlvE_clEvENKUlvE_clEvEUldE_St5arrayIPcLm2EEEEviT0_T1_,"axG",@progbits,_ZN2at6native29vectorized_elementwise_kernelILi8EZZZNS0_12_GLOBAL__N_130modified_bessel_i1_kernel_cudaERNS_18TensorIteratorBaseEENKUlvE_clEvENKUlvE_clEvEUldE_St5arrayIPcLm2EEEEviT0_T1_,comdat
	.globl	_ZN2at6native29vectorized_elementwise_kernelILi8EZZZNS0_12_GLOBAL__N_130modified_bessel_i1_kernel_cudaERNS_18TensorIteratorBaseEENKUlvE_clEvENKUlvE_clEvEUldE_St5arrayIPcLm2EEEEviT0_T1_ ; -- Begin function _ZN2at6native29vectorized_elementwise_kernelILi8EZZZNS0_12_GLOBAL__N_130modified_bessel_i1_kernel_cudaERNS_18TensorIteratorBaseEENKUlvE_clEvENKUlvE_clEvEUldE_St5arrayIPcLm2EEEEviT0_T1_
	.p2align	8
	.type	_ZN2at6native29vectorized_elementwise_kernelILi8EZZZNS0_12_GLOBAL__N_130modified_bessel_i1_kernel_cudaERNS_18TensorIteratorBaseEENKUlvE_clEvENKUlvE_clEvEUldE_St5arrayIPcLm2EEEEviT0_T1_,@function
_ZN2at6native29vectorized_elementwise_kernelILi8EZZZNS0_12_GLOBAL__N_130modified_bessel_i1_kernel_cudaERNS_18TensorIteratorBaseEENKUlvE_clEvENKUlvE_clEvEUldE_St5arrayIPcLm2EEEEviT0_T1_: ; @_ZN2at6native29vectorized_elementwise_kernelILi8EZZZNS0_12_GLOBAL__N_130modified_bessel_i1_kernel_cudaERNS_18TensorIteratorBaseEENKUlvE_clEvENKUlvE_clEvEUldE_St5arrayIPcLm2EEEEviT0_T1_
; %bb.0:
	s_clause 0x1
	s_load_b32 s2, s[0:1], 0x0
	s_load_b128 s[8:11], s[0:1], 0x8
	s_wait_xcnt 0x0
	s_bfe_u32 s0, ttmp6, 0x4000c
	s_and_b32 s1, ttmp6, 15
	s_add_co_i32 s0, s0, 1
	s_getreg_b32 s3, hwreg(HW_REG_IB_STS2, 6, 4)
	s_mul_i32 s0, ttmp9, s0
	v_mov_b32_e32 v31, v0
	s_add_co_i32 s1, s1, s0
	s_cmp_eq_u32 s3, 0
	s_mov_b32 s32, 0
	s_cselect_b32 s0, ttmp9, s1
	s_delay_alu instid0(SALU_CYCLE_1)
	s_lshl_b32 s0, s0, 10
	s_wait_kmcnt 0x0
	s_sub_co_i32 s6, s2, s0
	s_mov_b32 s0, -1
	s_cmp_gt_i32 s6, 0x3ff
	s_cbranch_scc1 .LBB3_3
; %bb.1:
	s_and_not1_b32 vcc_lo, exec_lo, s0
	s_cbranch_vccz .LBB3_4
.LBB3_2:
	s_endpgm
.LBB3_3:
	v_dual_mov_b32 v0, s8 :: v_dual_mov_b32 v1, s9
	v_dual_mov_b32 v2, s10 :: v_dual_mov_b32 v3, s11
	s_get_pc_i64 s[0:1]
	s_add_nc_u64 s[0:1], s[0:1], _ZN2at6native25elementwise_kernel_helperILb0EZZZNS0_12_GLOBAL__N_130modified_bessel_i1_kernel_cudaERNS_18TensorIteratorBaseEENKUlvE_clEvENKUlvE_clEvEUldE_NS0_6memory8policies10vectorizedILi4ESt5arrayIPcLm2EELi4EEEEEvT0_T1_@rel64+4
	s_delay_alu instid0(SALU_CYCLE_1)
	s_swap_pc_i64 s[30:31], s[0:1]
	s_cbranch_execnz .LBB3_2
.LBB3_4:
	v_dual_mov_b32 v0, s8 :: v_dual_mov_b32 v1, s9
	v_dual_mov_b32 v2, s10 :: v_dual_mov_b32 v3, s11
	v_mov_b32_e32 v4, s6
	s_get_pc_i64 s[0:1]
	s_add_nc_u64 s[0:1], s[0:1], _ZN2at6native25elementwise_kernel_helperILb0EZZZNS0_12_GLOBAL__N_130modified_bessel_i1_kernel_cudaERNS_18TensorIteratorBaseEENKUlvE_clEvENKUlvE_clEvEUldE_NS0_6memory8policies11unroll_baseILi256ESt5arrayIPcLm2EE23TrivialOffsetCalculatorILi1EjESF_NS8_15LoadWithoutCastENS8_16StoreWithoutCastELi4ELi1EEEEEvT0_T1_@rel64+4
	s_delay_alu instid0(SALU_CYCLE_1)
	s_swap_pc_i64 s[30:31], s[0:1]
	s_endpgm
	.section	.rodata,"a",@progbits
	.p2align	6, 0x0
	.amdhsa_kernel _ZN2at6native29vectorized_elementwise_kernelILi8EZZZNS0_12_GLOBAL__N_130modified_bessel_i1_kernel_cudaERNS_18TensorIteratorBaseEENKUlvE_clEvENKUlvE_clEvEUldE_St5arrayIPcLm2EEEEviT0_T1_
		.amdhsa_group_segment_fixed_size 0
		.amdhsa_private_segment_fixed_size 0
		.amdhsa_kernarg_size 24
		.amdhsa_user_sgpr_count 2
		.amdhsa_user_sgpr_dispatch_ptr 0
		.amdhsa_user_sgpr_queue_ptr 0
		.amdhsa_user_sgpr_kernarg_segment_ptr 1
		.amdhsa_user_sgpr_dispatch_id 0
		.amdhsa_user_sgpr_kernarg_preload_length 0
		.amdhsa_user_sgpr_kernarg_preload_offset 0
		.amdhsa_user_sgpr_private_segment_size 0
		.amdhsa_wavefront_size32 1
		.amdhsa_uses_dynamic_stack 0
		.amdhsa_enable_private_segment 0
		.amdhsa_system_sgpr_workgroup_id_x 1
		.amdhsa_system_sgpr_workgroup_id_y 0
		.amdhsa_system_sgpr_workgroup_id_z 0
		.amdhsa_system_sgpr_workgroup_info 0
		.amdhsa_system_vgpr_workitem_id 0
		.amdhsa_next_free_vgpr 32
		.amdhsa_next_free_sgpr 33
		.amdhsa_named_barrier_count 0
		.amdhsa_reserve_vcc 1
		.amdhsa_float_round_mode_32 0
		.amdhsa_float_round_mode_16_64 0
		.amdhsa_float_denorm_mode_32 3
		.amdhsa_float_denorm_mode_16_64 3
		.amdhsa_fp16_overflow 0
		.amdhsa_memory_ordered 1
		.amdhsa_forward_progress 1
		.amdhsa_inst_pref_size 2
		.amdhsa_round_robin_scheduling 0
		.amdhsa_exception_fp_ieee_invalid_op 0
		.amdhsa_exception_fp_denorm_src 0
		.amdhsa_exception_fp_ieee_div_zero 0
		.amdhsa_exception_fp_ieee_overflow 0
		.amdhsa_exception_fp_ieee_underflow 0
		.amdhsa_exception_fp_ieee_inexact 0
		.amdhsa_exception_int_div_zero 0
	.end_amdhsa_kernel
	.section	.text._ZN2at6native29vectorized_elementwise_kernelILi8EZZZNS0_12_GLOBAL__N_130modified_bessel_i1_kernel_cudaERNS_18TensorIteratorBaseEENKUlvE_clEvENKUlvE_clEvEUldE_St5arrayIPcLm2EEEEviT0_T1_,"axG",@progbits,_ZN2at6native29vectorized_elementwise_kernelILi8EZZZNS0_12_GLOBAL__N_130modified_bessel_i1_kernel_cudaERNS_18TensorIteratorBaseEENKUlvE_clEvENKUlvE_clEvEUldE_St5arrayIPcLm2EEEEviT0_T1_,comdat
.Lfunc_end3:
	.size	_ZN2at6native29vectorized_elementwise_kernelILi8EZZZNS0_12_GLOBAL__N_130modified_bessel_i1_kernel_cudaERNS_18TensorIteratorBaseEENKUlvE_clEvENKUlvE_clEvEUldE_St5arrayIPcLm2EEEEviT0_T1_, .Lfunc_end3-_ZN2at6native29vectorized_elementwise_kernelILi8EZZZNS0_12_GLOBAL__N_130modified_bessel_i1_kernel_cudaERNS_18TensorIteratorBaseEENKUlvE_clEvENKUlvE_clEvEUldE_St5arrayIPcLm2EEEEviT0_T1_
                                        ; -- End function
	.set _ZN2at6native29vectorized_elementwise_kernelILi8EZZZNS0_12_GLOBAL__N_130modified_bessel_i1_kernel_cudaERNS_18TensorIteratorBaseEENKUlvE_clEvENKUlvE_clEvEUldE_St5arrayIPcLm2EEEEviT0_T1_.num_vgpr, max(32, .L_ZN2at6native25elementwise_kernel_helperILb0EZZZNS0_12_GLOBAL__N_130modified_bessel_i1_kernel_cudaERNS_18TensorIteratorBaseEENKUlvE_clEvENKUlvE_clEvEUldE_NS0_6memory8policies10vectorizedILi4ESt5arrayIPcLm2EELi4EEEEEvT0_T1_.num_vgpr, .L_ZN2at6native25elementwise_kernel_helperILb0EZZZNS0_12_GLOBAL__N_130modified_bessel_i1_kernel_cudaERNS_18TensorIteratorBaseEENKUlvE_clEvENKUlvE_clEvEUldE_NS0_6memory8policies11unroll_baseILi256ESt5arrayIPcLm2EE23TrivialOffsetCalculatorILi1EjESF_NS8_15LoadWithoutCastENS8_16StoreWithoutCastELi4ELi1EEEEEvT0_T1_.num_vgpr)
	.set _ZN2at6native29vectorized_elementwise_kernelILi8EZZZNS0_12_GLOBAL__N_130modified_bessel_i1_kernel_cudaERNS_18TensorIteratorBaseEENKUlvE_clEvENKUlvE_clEvEUldE_St5arrayIPcLm2EEEEviT0_T1_.num_agpr, max(0, .L_ZN2at6native25elementwise_kernel_helperILb0EZZZNS0_12_GLOBAL__N_130modified_bessel_i1_kernel_cudaERNS_18TensorIteratorBaseEENKUlvE_clEvENKUlvE_clEvEUldE_NS0_6memory8policies10vectorizedILi4ESt5arrayIPcLm2EELi4EEEEEvT0_T1_.num_agpr, .L_ZN2at6native25elementwise_kernel_helperILb0EZZZNS0_12_GLOBAL__N_130modified_bessel_i1_kernel_cudaERNS_18TensorIteratorBaseEENKUlvE_clEvENKUlvE_clEvEUldE_NS0_6memory8policies11unroll_baseILi256ESt5arrayIPcLm2EE23TrivialOffsetCalculatorILi1EjESF_NS8_15LoadWithoutCastENS8_16StoreWithoutCastELi4ELi1EEEEEvT0_T1_.num_agpr)
	.set _ZN2at6native29vectorized_elementwise_kernelILi8EZZZNS0_12_GLOBAL__N_130modified_bessel_i1_kernel_cudaERNS_18TensorIteratorBaseEENKUlvE_clEvENKUlvE_clEvEUldE_St5arrayIPcLm2EEEEviT0_T1_.numbered_sgpr, max(33, .L_ZN2at6native25elementwise_kernel_helperILb0EZZZNS0_12_GLOBAL__N_130modified_bessel_i1_kernel_cudaERNS_18TensorIteratorBaseEENKUlvE_clEvENKUlvE_clEvEUldE_NS0_6memory8policies10vectorizedILi4ESt5arrayIPcLm2EELi4EEEEEvT0_T1_.numbered_sgpr, .L_ZN2at6native25elementwise_kernel_helperILb0EZZZNS0_12_GLOBAL__N_130modified_bessel_i1_kernel_cudaERNS_18TensorIteratorBaseEENKUlvE_clEvENKUlvE_clEvEUldE_NS0_6memory8policies11unroll_baseILi256ESt5arrayIPcLm2EE23TrivialOffsetCalculatorILi1EjESF_NS8_15LoadWithoutCastENS8_16StoreWithoutCastELi4ELi1EEEEEvT0_T1_.numbered_sgpr)
	.set _ZN2at6native29vectorized_elementwise_kernelILi8EZZZNS0_12_GLOBAL__N_130modified_bessel_i1_kernel_cudaERNS_18TensorIteratorBaseEENKUlvE_clEvENKUlvE_clEvEUldE_St5arrayIPcLm2EEEEviT0_T1_.num_named_barrier, max(0, .L_ZN2at6native25elementwise_kernel_helperILb0EZZZNS0_12_GLOBAL__N_130modified_bessel_i1_kernel_cudaERNS_18TensorIteratorBaseEENKUlvE_clEvENKUlvE_clEvEUldE_NS0_6memory8policies10vectorizedILi4ESt5arrayIPcLm2EELi4EEEEEvT0_T1_.num_named_barrier, .L_ZN2at6native25elementwise_kernel_helperILb0EZZZNS0_12_GLOBAL__N_130modified_bessel_i1_kernel_cudaERNS_18TensorIteratorBaseEENKUlvE_clEvENKUlvE_clEvEUldE_NS0_6memory8policies11unroll_baseILi256ESt5arrayIPcLm2EE23TrivialOffsetCalculatorILi1EjESF_NS8_15LoadWithoutCastENS8_16StoreWithoutCastELi4ELi1EEEEEvT0_T1_.num_named_barrier)
	.set _ZN2at6native29vectorized_elementwise_kernelILi8EZZZNS0_12_GLOBAL__N_130modified_bessel_i1_kernel_cudaERNS_18TensorIteratorBaseEENKUlvE_clEvENKUlvE_clEvEUldE_St5arrayIPcLm2EEEEviT0_T1_.private_seg_size, 0+max(.L_ZN2at6native25elementwise_kernel_helperILb0EZZZNS0_12_GLOBAL__N_130modified_bessel_i1_kernel_cudaERNS_18TensorIteratorBaseEENKUlvE_clEvENKUlvE_clEvEUldE_NS0_6memory8policies10vectorizedILi4ESt5arrayIPcLm2EELi4EEEEEvT0_T1_.private_seg_size, .L_ZN2at6native25elementwise_kernel_helperILb0EZZZNS0_12_GLOBAL__N_130modified_bessel_i1_kernel_cudaERNS_18TensorIteratorBaseEENKUlvE_clEvENKUlvE_clEvEUldE_NS0_6memory8policies11unroll_baseILi256ESt5arrayIPcLm2EE23TrivialOffsetCalculatorILi1EjESF_NS8_15LoadWithoutCastENS8_16StoreWithoutCastELi4ELi1EEEEEvT0_T1_.private_seg_size)
	.set _ZN2at6native29vectorized_elementwise_kernelILi8EZZZNS0_12_GLOBAL__N_130modified_bessel_i1_kernel_cudaERNS_18TensorIteratorBaseEENKUlvE_clEvENKUlvE_clEvEUldE_St5arrayIPcLm2EEEEviT0_T1_.uses_vcc, or(1, .L_ZN2at6native25elementwise_kernel_helperILb0EZZZNS0_12_GLOBAL__N_130modified_bessel_i1_kernel_cudaERNS_18TensorIteratorBaseEENKUlvE_clEvENKUlvE_clEvEUldE_NS0_6memory8policies10vectorizedILi4ESt5arrayIPcLm2EELi4EEEEEvT0_T1_.uses_vcc, .L_ZN2at6native25elementwise_kernel_helperILb0EZZZNS0_12_GLOBAL__N_130modified_bessel_i1_kernel_cudaERNS_18TensorIteratorBaseEENKUlvE_clEvENKUlvE_clEvEUldE_NS0_6memory8policies11unroll_baseILi256ESt5arrayIPcLm2EE23TrivialOffsetCalculatorILi1EjESF_NS8_15LoadWithoutCastENS8_16StoreWithoutCastELi4ELi1EEEEEvT0_T1_.uses_vcc)
	.set _ZN2at6native29vectorized_elementwise_kernelILi8EZZZNS0_12_GLOBAL__N_130modified_bessel_i1_kernel_cudaERNS_18TensorIteratorBaseEENKUlvE_clEvENKUlvE_clEvEUldE_St5arrayIPcLm2EEEEviT0_T1_.uses_flat_scratch, or(0, .L_ZN2at6native25elementwise_kernel_helperILb0EZZZNS0_12_GLOBAL__N_130modified_bessel_i1_kernel_cudaERNS_18TensorIteratorBaseEENKUlvE_clEvENKUlvE_clEvEUldE_NS0_6memory8policies10vectorizedILi4ESt5arrayIPcLm2EELi4EEEEEvT0_T1_.uses_flat_scratch, .L_ZN2at6native25elementwise_kernel_helperILb0EZZZNS0_12_GLOBAL__N_130modified_bessel_i1_kernel_cudaERNS_18TensorIteratorBaseEENKUlvE_clEvENKUlvE_clEvEUldE_NS0_6memory8policies11unroll_baseILi256ESt5arrayIPcLm2EE23TrivialOffsetCalculatorILi1EjESF_NS8_15LoadWithoutCastENS8_16StoreWithoutCastELi4ELi1EEEEEvT0_T1_.uses_flat_scratch)
	.set _ZN2at6native29vectorized_elementwise_kernelILi8EZZZNS0_12_GLOBAL__N_130modified_bessel_i1_kernel_cudaERNS_18TensorIteratorBaseEENKUlvE_clEvENKUlvE_clEvEUldE_St5arrayIPcLm2EEEEviT0_T1_.has_dyn_sized_stack, or(0, .L_ZN2at6native25elementwise_kernel_helperILb0EZZZNS0_12_GLOBAL__N_130modified_bessel_i1_kernel_cudaERNS_18TensorIteratorBaseEENKUlvE_clEvENKUlvE_clEvEUldE_NS0_6memory8policies10vectorizedILi4ESt5arrayIPcLm2EELi4EEEEEvT0_T1_.has_dyn_sized_stack, .L_ZN2at6native25elementwise_kernel_helperILb0EZZZNS0_12_GLOBAL__N_130modified_bessel_i1_kernel_cudaERNS_18TensorIteratorBaseEENKUlvE_clEvENKUlvE_clEvEUldE_NS0_6memory8policies11unroll_baseILi256ESt5arrayIPcLm2EE23TrivialOffsetCalculatorILi1EjESF_NS8_15LoadWithoutCastENS8_16StoreWithoutCastELi4ELi1EEEEEvT0_T1_.has_dyn_sized_stack)
	.set _ZN2at6native29vectorized_elementwise_kernelILi8EZZZNS0_12_GLOBAL__N_130modified_bessel_i1_kernel_cudaERNS_18TensorIteratorBaseEENKUlvE_clEvENKUlvE_clEvEUldE_St5arrayIPcLm2EEEEviT0_T1_.has_recursion, or(0, .L_ZN2at6native25elementwise_kernel_helperILb0EZZZNS0_12_GLOBAL__N_130modified_bessel_i1_kernel_cudaERNS_18TensorIteratorBaseEENKUlvE_clEvENKUlvE_clEvEUldE_NS0_6memory8policies10vectorizedILi4ESt5arrayIPcLm2EELi4EEEEEvT0_T1_.has_recursion, .L_ZN2at6native25elementwise_kernel_helperILb0EZZZNS0_12_GLOBAL__N_130modified_bessel_i1_kernel_cudaERNS_18TensorIteratorBaseEENKUlvE_clEvENKUlvE_clEvEUldE_NS0_6memory8policies11unroll_baseILi256ESt5arrayIPcLm2EE23TrivialOffsetCalculatorILi1EjESF_NS8_15LoadWithoutCastENS8_16StoreWithoutCastELi4ELi1EEEEEvT0_T1_.has_recursion)
	.set _ZN2at6native29vectorized_elementwise_kernelILi8EZZZNS0_12_GLOBAL__N_130modified_bessel_i1_kernel_cudaERNS_18TensorIteratorBaseEENKUlvE_clEvENKUlvE_clEvEUldE_St5arrayIPcLm2EEEEviT0_T1_.has_indirect_call, or(0, .L_ZN2at6native25elementwise_kernel_helperILb0EZZZNS0_12_GLOBAL__N_130modified_bessel_i1_kernel_cudaERNS_18TensorIteratorBaseEENKUlvE_clEvENKUlvE_clEvEUldE_NS0_6memory8policies10vectorizedILi4ESt5arrayIPcLm2EELi4EEEEEvT0_T1_.has_indirect_call, .L_ZN2at6native25elementwise_kernel_helperILb0EZZZNS0_12_GLOBAL__N_130modified_bessel_i1_kernel_cudaERNS_18TensorIteratorBaseEENKUlvE_clEvENKUlvE_clEvEUldE_NS0_6memory8policies11unroll_baseILi256ESt5arrayIPcLm2EE23TrivialOffsetCalculatorILi1EjESF_NS8_15LoadWithoutCastENS8_16StoreWithoutCastELi4ELi1EEEEEvT0_T1_.has_indirect_call)
	.section	.AMDGPU.csdata,"",@progbits
; Kernel info:
; codeLenInByte = 204
; TotalNumSgprs: 35
; NumVgprs: 32
; ScratchSize: 0
; MemoryBound: 0
; FloatMode: 240
; IeeeMode: 1
; LDSByteSize: 0 bytes/workgroup (compile time only)
; SGPRBlocks: 0
; VGPRBlocks: 1
; NumSGPRsForWavesPerEU: 35
; NumVGPRsForWavesPerEU: 32
; NamedBarCnt: 0
; Occupancy: 16
; WaveLimiterHint : 0
; COMPUTE_PGM_RSRC2:SCRATCH_EN: 0
; COMPUTE_PGM_RSRC2:USER_SGPR: 2
; COMPUTE_PGM_RSRC2:TRAP_HANDLER: 0
; COMPUTE_PGM_RSRC2:TGID_X_EN: 1
; COMPUTE_PGM_RSRC2:TGID_Y_EN: 0
; COMPUTE_PGM_RSRC2:TGID_Z_EN: 0
; COMPUTE_PGM_RSRC2:TIDIG_COMP_CNT: 0
	.section	.text._ZN2at6native29vectorized_elementwise_kernelILi4EZZZNS0_12_GLOBAL__N_130modified_bessel_i1_kernel_cudaERNS_18TensorIteratorBaseEENKUlvE_clEvENKUlvE_clEvEUldE_St5arrayIPcLm2EEEEviT0_T1_,"axG",@progbits,_ZN2at6native29vectorized_elementwise_kernelILi4EZZZNS0_12_GLOBAL__N_130modified_bessel_i1_kernel_cudaERNS_18TensorIteratorBaseEENKUlvE_clEvENKUlvE_clEvEUldE_St5arrayIPcLm2EEEEviT0_T1_,comdat
	.globl	_ZN2at6native29vectorized_elementwise_kernelILi4EZZZNS0_12_GLOBAL__N_130modified_bessel_i1_kernel_cudaERNS_18TensorIteratorBaseEENKUlvE_clEvENKUlvE_clEvEUldE_St5arrayIPcLm2EEEEviT0_T1_ ; -- Begin function _ZN2at6native29vectorized_elementwise_kernelILi4EZZZNS0_12_GLOBAL__N_130modified_bessel_i1_kernel_cudaERNS_18TensorIteratorBaseEENKUlvE_clEvENKUlvE_clEvEUldE_St5arrayIPcLm2EEEEviT0_T1_
	.p2align	8
	.type	_ZN2at6native29vectorized_elementwise_kernelILi4EZZZNS0_12_GLOBAL__N_130modified_bessel_i1_kernel_cudaERNS_18TensorIteratorBaseEENKUlvE_clEvENKUlvE_clEvEUldE_St5arrayIPcLm2EEEEviT0_T1_,@function
_ZN2at6native29vectorized_elementwise_kernelILi4EZZZNS0_12_GLOBAL__N_130modified_bessel_i1_kernel_cudaERNS_18TensorIteratorBaseEENKUlvE_clEvENKUlvE_clEvEUldE_St5arrayIPcLm2EEEEviT0_T1_: ; @_ZN2at6native29vectorized_elementwise_kernelILi4EZZZNS0_12_GLOBAL__N_130modified_bessel_i1_kernel_cudaERNS_18TensorIteratorBaseEENKUlvE_clEvENKUlvE_clEvEUldE_St5arrayIPcLm2EEEEviT0_T1_
; %bb.0:
	s_clause 0x1
	s_load_b32 s2, s[0:1], 0x0
	s_load_b128 s[8:11], s[0:1], 0x8
	s_wait_xcnt 0x0
	s_bfe_u32 s0, ttmp6, 0x4000c
	s_and_b32 s1, ttmp6, 15
	s_add_co_i32 s0, s0, 1
	s_getreg_b32 s3, hwreg(HW_REG_IB_STS2, 6, 4)
	s_mul_i32 s0, ttmp9, s0
	v_mov_b32_e32 v31, v0
	s_add_co_i32 s1, s1, s0
	s_cmp_eq_u32 s3, 0
	s_mov_b32 s32, 0
	s_cselect_b32 s0, ttmp9, s1
	s_delay_alu instid0(SALU_CYCLE_1)
	s_lshl_b32 s0, s0, 10
	s_wait_kmcnt 0x0
	s_sub_co_i32 s6, s2, s0
	s_mov_b32 s0, -1
	s_cmp_gt_i32 s6, 0x3ff
	s_cbranch_scc1 .LBB4_3
; %bb.1:
	s_and_not1_b32 vcc_lo, exec_lo, s0
	s_cbranch_vccz .LBB4_4
.LBB4_2:
	s_endpgm
.LBB4_3:
	v_dual_mov_b32 v0, s8 :: v_dual_mov_b32 v1, s9
	v_dual_mov_b32 v2, s10 :: v_dual_mov_b32 v3, s11
	s_get_pc_i64 s[0:1]
	s_add_nc_u64 s[0:1], s[0:1], _ZN2at6native25elementwise_kernel_helperILb0EZZZNS0_12_GLOBAL__N_130modified_bessel_i1_kernel_cudaERNS_18TensorIteratorBaseEENKUlvE_clEvENKUlvE_clEvEUldE_NS0_6memory8policies10vectorizedILi4ESt5arrayIPcLm2EELi4EEEEEvT0_T1_@rel64+4
	s_delay_alu instid0(SALU_CYCLE_1)
	s_swap_pc_i64 s[30:31], s[0:1]
	s_cbranch_execnz .LBB4_2
.LBB4_4:
	v_dual_mov_b32 v0, s8 :: v_dual_mov_b32 v1, s9
	v_dual_mov_b32 v2, s10 :: v_dual_mov_b32 v3, s11
	v_mov_b32_e32 v4, s6
	s_get_pc_i64 s[0:1]
	s_add_nc_u64 s[0:1], s[0:1], _ZN2at6native25elementwise_kernel_helperILb0EZZZNS0_12_GLOBAL__N_130modified_bessel_i1_kernel_cudaERNS_18TensorIteratorBaseEENKUlvE_clEvENKUlvE_clEvEUldE_NS0_6memory8policies11unroll_baseILi256ESt5arrayIPcLm2EE23TrivialOffsetCalculatorILi1EjESF_NS8_15LoadWithoutCastENS8_16StoreWithoutCastELi4ELi1EEEEEvT0_T1_@rel64+4
	s_delay_alu instid0(SALU_CYCLE_1)
	s_swap_pc_i64 s[30:31], s[0:1]
	s_endpgm
	.section	.rodata,"a",@progbits
	.p2align	6, 0x0
	.amdhsa_kernel _ZN2at6native29vectorized_elementwise_kernelILi4EZZZNS0_12_GLOBAL__N_130modified_bessel_i1_kernel_cudaERNS_18TensorIteratorBaseEENKUlvE_clEvENKUlvE_clEvEUldE_St5arrayIPcLm2EEEEviT0_T1_
		.amdhsa_group_segment_fixed_size 0
		.amdhsa_private_segment_fixed_size 0
		.amdhsa_kernarg_size 24
		.amdhsa_user_sgpr_count 2
		.amdhsa_user_sgpr_dispatch_ptr 0
		.amdhsa_user_sgpr_queue_ptr 0
		.amdhsa_user_sgpr_kernarg_segment_ptr 1
		.amdhsa_user_sgpr_dispatch_id 0
		.amdhsa_user_sgpr_kernarg_preload_length 0
		.amdhsa_user_sgpr_kernarg_preload_offset 0
		.amdhsa_user_sgpr_private_segment_size 0
		.amdhsa_wavefront_size32 1
		.amdhsa_uses_dynamic_stack 0
		.amdhsa_enable_private_segment 0
		.amdhsa_system_sgpr_workgroup_id_x 1
		.amdhsa_system_sgpr_workgroup_id_y 0
		.amdhsa_system_sgpr_workgroup_id_z 0
		.amdhsa_system_sgpr_workgroup_info 0
		.amdhsa_system_vgpr_workitem_id 0
		.amdhsa_next_free_vgpr 32
		.amdhsa_next_free_sgpr 33
		.amdhsa_named_barrier_count 0
		.amdhsa_reserve_vcc 1
		.amdhsa_float_round_mode_32 0
		.amdhsa_float_round_mode_16_64 0
		.amdhsa_float_denorm_mode_32 3
		.amdhsa_float_denorm_mode_16_64 3
		.amdhsa_fp16_overflow 0
		.amdhsa_memory_ordered 1
		.amdhsa_forward_progress 1
		.amdhsa_inst_pref_size 2
		.amdhsa_round_robin_scheduling 0
		.amdhsa_exception_fp_ieee_invalid_op 0
		.amdhsa_exception_fp_denorm_src 0
		.amdhsa_exception_fp_ieee_div_zero 0
		.amdhsa_exception_fp_ieee_overflow 0
		.amdhsa_exception_fp_ieee_underflow 0
		.amdhsa_exception_fp_ieee_inexact 0
		.amdhsa_exception_int_div_zero 0
	.end_amdhsa_kernel
	.section	.text._ZN2at6native29vectorized_elementwise_kernelILi4EZZZNS0_12_GLOBAL__N_130modified_bessel_i1_kernel_cudaERNS_18TensorIteratorBaseEENKUlvE_clEvENKUlvE_clEvEUldE_St5arrayIPcLm2EEEEviT0_T1_,"axG",@progbits,_ZN2at6native29vectorized_elementwise_kernelILi4EZZZNS0_12_GLOBAL__N_130modified_bessel_i1_kernel_cudaERNS_18TensorIteratorBaseEENKUlvE_clEvENKUlvE_clEvEUldE_St5arrayIPcLm2EEEEviT0_T1_,comdat
.Lfunc_end4:
	.size	_ZN2at6native29vectorized_elementwise_kernelILi4EZZZNS0_12_GLOBAL__N_130modified_bessel_i1_kernel_cudaERNS_18TensorIteratorBaseEENKUlvE_clEvENKUlvE_clEvEUldE_St5arrayIPcLm2EEEEviT0_T1_, .Lfunc_end4-_ZN2at6native29vectorized_elementwise_kernelILi4EZZZNS0_12_GLOBAL__N_130modified_bessel_i1_kernel_cudaERNS_18TensorIteratorBaseEENKUlvE_clEvENKUlvE_clEvEUldE_St5arrayIPcLm2EEEEviT0_T1_
                                        ; -- End function
	.set _ZN2at6native29vectorized_elementwise_kernelILi4EZZZNS0_12_GLOBAL__N_130modified_bessel_i1_kernel_cudaERNS_18TensorIteratorBaseEENKUlvE_clEvENKUlvE_clEvEUldE_St5arrayIPcLm2EEEEviT0_T1_.num_vgpr, max(32, .L_ZN2at6native25elementwise_kernel_helperILb0EZZZNS0_12_GLOBAL__N_130modified_bessel_i1_kernel_cudaERNS_18TensorIteratorBaseEENKUlvE_clEvENKUlvE_clEvEUldE_NS0_6memory8policies10vectorizedILi4ESt5arrayIPcLm2EELi4EEEEEvT0_T1_.num_vgpr, .L_ZN2at6native25elementwise_kernel_helperILb0EZZZNS0_12_GLOBAL__N_130modified_bessel_i1_kernel_cudaERNS_18TensorIteratorBaseEENKUlvE_clEvENKUlvE_clEvEUldE_NS0_6memory8policies11unroll_baseILi256ESt5arrayIPcLm2EE23TrivialOffsetCalculatorILi1EjESF_NS8_15LoadWithoutCastENS8_16StoreWithoutCastELi4ELi1EEEEEvT0_T1_.num_vgpr)
	.set _ZN2at6native29vectorized_elementwise_kernelILi4EZZZNS0_12_GLOBAL__N_130modified_bessel_i1_kernel_cudaERNS_18TensorIteratorBaseEENKUlvE_clEvENKUlvE_clEvEUldE_St5arrayIPcLm2EEEEviT0_T1_.num_agpr, max(0, .L_ZN2at6native25elementwise_kernel_helperILb0EZZZNS0_12_GLOBAL__N_130modified_bessel_i1_kernel_cudaERNS_18TensorIteratorBaseEENKUlvE_clEvENKUlvE_clEvEUldE_NS0_6memory8policies10vectorizedILi4ESt5arrayIPcLm2EELi4EEEEEvT0_T1_.num_agpr, .L_ZN2at6native25elementwise_kernel_helperILb0EZZZNS0_12_GLOBAL__N_130modified_bessel_i1_kernel_cudaERNS_18TensorIteratorBaseEENKUlvE_clEvENKUlvE_clEvEUldE_NS0_6memory8policies11unroll_baseILi256ESt5arrayIPcLm2EE23TrivialOffsetCalculatorILi1EjESF_NS8_15LoadWithoutCastENS8_16StoreWithoutCastELi4ELi1EEEEEvT0_T1_.num_agpr)
	.set _ZN2at6native29vectorized_elementwise_kernelILi4EZZZNS0_12_GLOBAL__N_130modified_bessel_i1_kernel_cudaERNS_18TensorIteratorBaseEENKUlvE_clEvENKUlvE_clEvEUldE_St5arrayIPcLm2EEEEviT0_T1_.numbered_sgpr, max(33, .L_ZN2at6native25elementwise_kernel_helperILb0EZZZNS0_12_GLOBAL__N_130modified_bessel_i1_kernel_cudaERNS_18TensorIteratorBaseEENKUlvE_clEvENKUlvE_clEvEUldE_NS0_6memory8policies10vectorizedILi4ESt5arrayIPcLm2EELi4EEEEEvT0_T1_.numbered_sgpr, .L_ZN2at6native25elementwise_kernel_helperILb0EZZZNS0_12_GLOBAL__N_130modified_bessel_i1_kernel_cudaERNS_18TensorIteratorBaseEENKUlvE_clEvENKUlvE_clEvEUldE_NS0_6memory8policies11unroll_baseILi256ESt5arrayIPcLm2EE23TrivialOffsetCalculatorILi1EjESF_NS8_15LoadWithoutCastENS8_16StoreWithoutCastELi4ELi1EEEEEvT0_T1_.numbered_sgpr)
	.set _ZN2at6native29vectorized_elementwise_kernelILi4EZZZNS0_12_GLOBAL__N_130modified_bessel_i1_kernel_cudaERNS_18TensorIteratorBaseEENKUlvE_clEvENKUlvE_clEvEUldE_St5arrayIPcLm2EEEEviT0_T1_.num_named_barrier, max(0, .L_ZN2at6native25elementwise_kernel_helperILb0EZZZNS0_12_GLOBAL__N_130modified_bessel_i1_kernel_cudaERNS_18TensorIteratorBaseEENKUlvE_clEvENKUlvE_clEvEUldE_NS0_6memory8policies10vectorizedILi4ESt5arrayIPcLm2EELi4EEEEEvT0_T1_.num_named_barrier, .L_ZN2at6native25elementwise_kernel_helperILb0EZZZNS0_12_GLOBAL__N_130modified_bessel_i1_kernel_cudaERNS_18TensorIteratorBaseEENKUlvE_clEvENKUlvE_clEvEUldE_NS0_6memory8policies11unroll_baseILi256ESt5arrayIPcLm2EE23TrivialOffsetCalculatorILi1EjESF_NS8_15LoadWithoutCastENS8_16StoreWithoutCastELi4ELi1EEEEEvT0_T1_.num_named_barrier)
	.set _ZN2at6native29vectorized_elementwise_kernelILi4EZZZNS0_12_GLOBAL__N_130modified_bessel_i1_kernel_cudaERNS_18TensorIteratorBaseEENKUlvE_clEvENKUlvE_clEvEUldE_St5arrayIPcLm2EEEEviT0_T1_.private_seg_size, 0+max(.L_ZN2at6native25elementwise_kernel_helperILb0EZZZNS0_12_GLOBAL__N_130modified_bessel_i1_kernel_cudaERNS_18TensorIteratorBaseEENKUlvE_clEvENKUlvE_clEvEUldE_NS0_6memory8policies10vectorizedILi4ESt5arrayIPcLm2EELi4EEEEEvT0_T1_.private_seg_size, .L_ZN2at6native25elementwise_kernel_helperILb0EZZZNS0_12_GLOBAL__N_130modified_bessel_i1_kernel_cudaERNS_18TensorIteratorBaseEENKUlvE_clEvENKUlvE_clEvEUldE_NS0_6memory8policies11unroll_baseILi256ESt5arrayIPcLm2EE23TrivialOffsetCalculatorILi1EjESF_NS8_15LoadWithoutCastENS8_16StoreWithoutCastELi4ELi1EEEEEvT0_T1_.private_seg_size)
	.set _ZN2at6native29vectorized_elementwise_kernelILi4EZZZNS0_12_GLOBAL__N_130modified_bessel_i1_kernel_cudaERNS_18TensorIteratorBaseEENKUlvE_clEvENKUlvE_clEvEUldE_St5arrayIPcLm2EEEEviT0_T1_.uses_vcc, or(1, .L_ZN2at6native25elementwise_kernel_helperILb0EZZZNS0_12_GLOBAL__N_130modified_bessel_i1_kernel_cudaERNS_18TensorIteratorBaseEENKUlvE_clEvENKUlvE_clEvEUldE_NS0_6memory8policies10vectorizedILi4ESt5arrayIPcLm2EELi4EEEEEvT0_T1_.uses_vcc, .L_ZN2at6native25elementwise_kernel_helperILb0EZZZNS0_12_GLOBAL__N_130modified_bessel_i1_kernel_cudaERNS_18TensorIteratorBaseEENKUlvE_clEvENKUlvE_clEvEUldE_NS0_6memory8policies11unroll_baseILi256ESt5arrayIPcLm2EE23TrivialOffsetCalculatorILi1EjESF_NS8_15LoadWithoutCastENS8_16StoreWithoutCastELi4ELi1EEEEEvT0_T1_.uses_vcc)
	.set _ZN2at6native29vectorized_elementwise_kernelILi4EZZZNS0_12_GLOBAL__N_130modified_bessel_i1_kernel_cudaERNS_18TensorIteratorBaseEENKUlvE_clEvENKUlvE_clEvEUldE_St5arrayIPcLm2EEEEviT0_T1_.uses_flat_scratch, or(0, .L_ZN2at6native25elementwise_kernel_helperILb0EZZZNS0_12_GLOBAL__N_130modified_bessel_i1_kernel_cudaERNS_18TensorIteratorBaseEENKUlvE_clEvENKUlvE_clEvEUldE_NS0_6memory8policies10vectorizedILi4ESt5arrayIPcLm2EELi4EEEEEvT0_T1_.uses_flat_scratch, .L_ZN2at6native25elementwise_kernel_helperILb0EZZZNS0_12_GLOBAL__N_130modified_bessel_i1_kernel_cudaERNS_18TensorIteratorBaseEENKUlvE_clEvENKUlvE_clEvEUldE_NS0_6memory8policies11unroll_baseILi256ESt5arrayIPcLm2EE23TrivialOffsetCalculatorILi1EjESF_NS8_15LoadWithoutCastENS8_16StoreWithoutCastELi4ELi1EEEEEvT0_T1_.uses_flat_scratch)
	.set _ZN2at6native29vectorized_elementwise_kernelILi4EZZZNS0_12_GLOBAL__N_130modified_bessel_i1_kernel_cudaERNS_18TensorIteratorBaseEENKUlvE_clEvENKUlvE_clEvEUldE_St5arrayIPcLm2EEEEviT0_T1_.has_dyn_sized_stack, or(0, .L_ZN2at6native25elementwise_kernel_helperILb0EZZZNS0_12_GLOBAL__N_130modified_bessel_i1_kernel_cudaERNS_18TensorIteratorBaseEENKUlvE_clEvENKUlvE_clEvEUldE_NS0_6memory8policies10vectorizedILi4ESt5arrayIPcLm2EELi4EEEEEvT0_T1_.has_dyn_sized_stack, .L_ZN2at6native25elementwise_kernel_helperILb0EZZZNS0_12_GLOBAL__N_130modified_bessel_i1_kernel_cudaERNS_18TensorIteratorBaseEENKUlvE_clEvENKUlvE_clEvEUldE_NS0_6memory8policies11unroll_baseILi256ESt5arrayIPcLm2EE23TrivialOffsetCalculatorILi1EjESF_NS8_15LoadWithoutCastENS8_16StoreWithoutCastELi4ELi1EEEEEvT0_T1_.has_dyn_sized_stack)
	.set _ZN2at6native29vectorized_elementwise_kernelILi4EZZZNS0_12_GLOBAL__N_130modified_bessel_i1_kernel_cudaERNS_18TensorIteratorBaseEENKUlvE_clEvENKUlvE_clEvEUldE_St5arrayIPcLm2EEEEviT0_T1_.has_recursion, or(0, .L_ZN2at6native25elementwise_kernel_helperILb0EZZZNS0_12_GLOBAL__N_130modified_bessel_i1_kernel_cudaERNS_18TensorIteratorBaseEENKUlvE_clEvENKUlvE_clEvEUldE_NS0_6memory8policies10vectorizedILi4ESt5arrayIPcLm2EELi4EEEEEvT0_T1_.has_recursion, .L_ZN2at6native25elementwise_kernel_helperILb0EZZZNS0_12_GLOBAL__N_130modified_bessel_i1_kernel_cudaERNS_18TensorIteratorBaseEENKUlvE_clEvENKUlvE_clEvEUldE_NS0_6memory8policies11unroll_baseILi256ESt5arrayIPcLm2EE23TrivialOffsetCalculatorILi1EjESF_NS8_15LoadWithoutCastENS8_16StoreWithoutCastELi4ELi1EEEEEvT0_T1_.has_recursion)
	.set _ZN2at6native29vectorized_elementwise_kernelILi4EZZZNS0_12_GLOBAL__N_130modified_bessel_i1_kernel_cudaERNS_18TensorIteratorBaseEENKUlvE_clEvENKUlvE_clEvEUldE_St5arrayIPcLm2EEEEviT0_T1_.has_indirect_call, or(0, .L_ZN2at6native25elementwise_kernel_helperILb0EZZZNS0_12_GLOBAL__N_130modified_bessel_i1_kernel_cudaERNS_18TensorIteratorBaseEENKUlvE_clEvENKUlvE_clEvEUldE_NS0_6memory8policies10vectorizedILi4ESt5arrayIPcLm2EELi4EEEEEvT0_T1_.has_indirect_call, .L_ZN2at6native25elementwise_kernel_helperILb0EZZZNS0_12_GLOBAL__N_130modified_bessel_i1_kernel_cudaERNS_18TensorIteratorBaseEENKUlvE_clEvENKUlvE_clEvEUldE_NS0_6memory8policies11unroll_baseILi256ESt5arrayIPcLm2EE23TrivialOffsetCalculatorILi1EjESF_NS8_15LoadWithoutCastENS8_16StoreWithoutCastELi4ELi1EEEEEvT0_T1_.has_indirect_call)
	.section	.AMDGPU.csdata,"",@progbits
; Kernel info:
; codeLenInByte = 204
; TotalNumSgprs: 35
; NumVgprs: 32
; ScratchSize: 0
; MemoryBound: 0
; FloatMode: 240
; IeeeMode: 1
; LDSByteSize: 0 bytes/workgroup (compile time only)
; SGPRBlocks: 0
; VGPRBlocks: 1
; NumSGPRsForWavesPerEU: 35
; NumVGPRsForWavesPerEU: 32
; NamedBarCnt: 0
; Occupancy: 16
; WaveLimiterHint : 0
; COMPUTE_PGM_RSRC2:SCRATCH_EN: 0
; COMPUTE_PGM_RSRC2:USER_SGPR: 2
; COMPUTE_PGM_RSRC2:TRAP_HANDLER: 0
; COMPUTE_PGM_RSRC2:TGID_X_EN: 1
; COMPUTE_PGM_RSRC2:TGID_Y_EN: 0
; COMPUTE_PGM_RSRC2:TGID_Z_EN: 0
; COMPUTE_PGM_RSRC2:TIDIG_COMP_CNT: 0
	.section	.text._ZN2at6native29vectorized_elementwise_kernelILi2EZZZNS0_12_GLOBAL__N_130modified_bessel_i1_kernel_cudaERNS_18TensorIteratorBaseEENKUlvE_clEvENKUlvE_clEvEUldE_St5arrayIPcLm2EEEEviT0_T1_,"axG",@progbits,_ZN2at6native29vectorized_elementwise_kernelILi2EZZZNS0_12_GLOBAL__N_130modified_bessel_i1_kernel_cudaERNS_18TensorIteratorBaseEENKUlvE_clEvENKUlvE_clEvEUldE_St5arrayIPcLm2EEEEviT0_T1_,comdat
	.globl	_ZN2at6native29vectorized_elementwise_kernelILi2EZZZNS0_12_GLOBAL__N_130modified_bessel_i1_kernel_cudaERNS_18TensorIteratorBaseEENKUlvE_clEvENKUlvE_clEvEUldE_St5arrayIPcLm2EEEEviT0_T1_ ; -- Begin function _ZN2at6native29vectorized_elementwise_kernelILi2EZZZNS0_12_GLOBAL__N_130modified_bessel_i1_kernel_cudaERNS_18TensorIteratorBaseEENKUlvE_clEvENKUlvE_clEvEUldE_St5arrayIPcLm2EEEEviT0_T1_
	.p2align	8
	.type	_ZN2at6native29vectorized_elementwise_kernelILi2EZZZNS0_12_GLOBAL__N_130modified_bessel_i1_kernel_cudaERNS_18TensorIteratorBaseEENKUlvE_clEvENKUlvE_clEvEUldE_St5arrayIPcLm2EEEEviT0_T1_,@function
_ZN2at6native29vectorized_elementwise_kernelILi2EZZZNS0_12_GLOBAL__N_130modified_bessel_i1_kernel_cudaERNS_18TensorIteratorBaseEENKUlvE_clEvENKUlvE_clEvEUldE_St5arrayIPcLm2EEEEviT0_T1_: ; @_ZN2at6native29vectorized_elementwise_kernelILi2EZZZNS0_12_GLOBAL__N_130modified_bessel_i1_kernel_cudaERNS_18TensorIteratorBaseEENKUlvE_clEvENKUlvE_clEvEUldE_St5arrayIPcLm2EEEEviT0_T1_
; %bb.0:
	s_clause 0x1
	s_load_b32 s2, s[0:1], 0x0
	s_load_b128 s[4:7], s[0:1], 0x8
	s_wait_xcnt 0x0
	s_bfe_u32 s0, ttmp6, 0x4000c
	s_and_b32 s1, ttmp6, 15
	s_add_co_i32 s0, s0, 1
	s_getreg_b32 s3, hwreg(HW_REG_IB_STS2, 6, 4)
	s_mul_i32 s0, ttmp9, s0
	s_mov_b32 s32, 0
	s_add_co_i32 s1, s1, s0
	s_cmp_eq_u32 s3, 0
	s_cselect_b32 s0, ttmp9, s1
	s_mov_b32 s1, -1
	s_lshl_b32 s0, s0, 10
	s_wait_kmcnt 0x0
	s_sub_co_i32 s8, s2, s0
	s_delay_alu instid0(SALU_CYCLE_1)
	s_cmp_gt_i32 s8, 0x3ff
	s_cbranch_scc1 .LBB5_3
; %bb.1:
	s_and_b32 vcc_lo, exec_lo, s1
	s_cbranch_vccnz .LBB5_52
.LBB5_2:
	s_sendmsg sendmsg(MSG_DEALLOC_VGPRS)
	s_endpgm
.LBB5_3:
	s_ashr_i32 s1, s0, 31
                                        ; implicit-def: $vgpr6_vgpr7
	s_delay_alu instid0(SALU_CYCLE_1) | instskip(NEXT) | instid1(SALU_CYCLE_1)
	s_lshl_b64 s[2:3], s[0:1], 3
	s_add_nc_u64 s[0:1], s[6:7], s[2:3]
	s_clause 0x1
	global_load_b128 v[8:11], v0, s[0:1] scale_offset
	global_load_b128 v[2:5], v0, s[0:1] offset:4096 scale_offset
	s_wait_loadcnt 0x1
	s_wait_xcnt 0x0
	v_cmp_ge_f64_e64 s0, 0x40200000, |v[8:9]|
	s_and_saveexec_b32 s1, s0
	s_delay_alu instid0(SALU_CYCLE_1)
	s_xor_b32 s0, exec_lo, s1
	s_cbranch_execz .LBB5_9
; %bb.4:
	v_fma_f64 v[6:7], |v[8:9]|, 0.5, -2.0
	s_mov_b64 s[10:11], 0x3c499f2a0c3c4014
	s_mov_b32 s1, exec_lo
	s_delay_alu instid0(VALU_DEP_1) | instskip(SKIP_1) | instid1(SALU_CYCLE_1)
	v_fmaak_f64 v[12:13], s[10:11], v[6:7], 0xbc7857d0c38a0576
	s_mov_b64 s[10:11], 0x3ff71547652b82fe
	v_mul_f64_e64 v[16:17], |v[8:9]|, s[10:11]
	s_mov_b64 s[10:11], 0xbfe62e42fefa39ef
	s_delay_alu instid0(VALU_DEP_2) | instskip(NEXT) | instid1(VALU_DEP_1)
	v_fmaak_f64 v[14:15], v[6:7], v[12:13], 0xbc499f2a0c3c4014
	v_add_f64_e32 v[14:15], 0x3ca663e3e593bfac, v[14:15]
	s_delay_alu instid0(VALU_DEP_3) | instskip(NEXT) | instid1(VALU_DEP_2)
	v_rndne_f64_e32 v[16:17], v[16:17]
	v_fma_f64 v[12:13], v[6:7], v[14:15], -v[12:13]
	s_delay_alu instid0(VALU_DEP_2) | instskip(SKIP_2) | instid1(VALU_DEP_3)
	v_fma_f64 v[18:19], v[16:17], s[10:11], |v[8:9]|
	s_mov_b64 s[10:11], 0x3e5ade156a5dcb37
	v_cvt_i32_f64_e32 v1, v[16:17]
	v_add_f64_e32 v[12:13], 0xbcd3eaaa7e0d1573, v[12:13]
	s_delay_alu instid0(VALU_DEP_1) | instskip(NEXT) | instid1(VALU_DEP_1)
	v_fma_f64 v[14:15], v[6:7], v[12:13], -v[14:15]
	v_add_f64_e32 v[14:15], 0x3d011d7f0615290c, v[14:15]
	s_delay_alu instid0(VALU_DEP_1) | instskip(NEXT) | instid1(VALU_DEP_1)
	v_fma_f64 v[12:13], v[6:7], v[14:15], -v[12:13]
	;; [unrolled: 3-line block ×24, first 2 shown]
	v_add_f64_e32 v[12:13], 0xbfc694d10469192e, v[12:13]
	s_delay_alu instid0(VALU_DEP_1) | instskip(SKIP_1) | instid1(VALU_DEP_1)
	v_fma_f64 v[6:7], v[6:7], v[12:13], -v[14:15]
	v_fmamk_f64 v[12:13], v[16:17], 0xbc7abc9e3b39803f, v[18:19]
	v_fmaak_f64 v[18:19], s[10:11], v[12:13], 0x3e928af3fca7ab0c
	s_delay_alu instid0(VALU_DEP_1) | instskip(NEXT) | instid1(VALU_DEP_1)
	v_fmaak_f64 v[18:19], v[12:13], v[18:19], 0x3ec71dee623fde64
	v_fmaak_f64 v[18:19], v[12:13], v[18:19], 0x3efa01997c89e6b0
	s_delay_alu instid0(VALU_DEP_1) | instskip(SKIP_1) | instid1(VALU_DEP_2)
	v_fmaak_f64 v[18:19], v[12:13], v[18:19], 0x3f2a01a014761f6e
	v_add_f64_e32 v[6:7], 0x3fd02a63724a7ffa, v[6:7]
	v_fmaak_f64 v[18:19], v[12:13], v[18:19], 0x3f56c16c1852b7b0
	s_delay_alu instid0(VALU_DEP_2) | instskip(NEXT) | instid1(VALU_DEP_2)
	v_add_f64_e64 v[6:7], v[6:7], -v[14:15]
	v_fmaak_f64 v[14:15], v[12:13], v[18:19], 0x3f81111111122322
	s_delay_alu instid0(VALU_DEP_1) | instskip(NEXT) | instid1(VALU_DEP_1)
	v_fmaak_f64 v[14:15], v[12:13], v[14:15], 0x3fa55555555502a1
	v_fmaak_f64 v[14:15], v[12:13], v[14:15], 0x3fc5555555555511
	s_delay_alu instid0(VALU_DEP_1) | instskip(NEXT) | instid1(VALU_DEP_1)
	v_fmaak_f64 v[14:15], v[12:13], v[14:15], 0x3fe000000000000b
	v_fma_f64 v[14:15], v[12:13], v[14:15], 1.0
	v_mul_f64_e32 v[6:7], 0.5, v[6:7]
	s_delay_alu instid0(VALU_DEP_2) | instskip(NEXT) | instid1(VALU_DEP_2)
	v_fma_f64 v[14:15], v[12:13], v[14:15], 1.0
	v_mul_f64_e64 v[12:13], |v[8:9]|, v[6:7]
                                        ; implicit-def: $vgpr6_vgpr7
	v_cmpx_ngt_f64_e32 0, v[8:9]
	s_xor_b32 s1, exec_lo, s1
	s_cbranch_execz .LBB5_6
; %bb.5:
	s_delay_alu instid0(VALU_DEP_3) | instskip(SKIP_1) | instid1(VALU_DEP_2)
	v_ldexp_f64 v[6:7], v[14:15], v1
	v_cmp_nlt_f64_e64 vcc_lo, 0x40900000, |v[8:9]|
                                        ; implicit-def: $vgpr14_vgpr15
                                        ; implicit-def: $vgpr1
	v_cndmask_b32_e32 v7, 0x7ff00000, v7, vcc_lo
	s_delay_alu instid0(VALU_DEP_3) | instskip(NEXT) | instid1(VALU_DEP_1)
	v_cndmask_b32_e32 v6, 0, v6, vcc_lo
	v_mul_f64_e32 v[6:7], v[6:7], v[12:13]
                                        ; implicit-def: $vgpr12_vgpr13
.LBB5_6:
	s_and_not1_saveexec_b32 s1, s1
	s_cbranch_execz .LBB5_8
; %bb.7:
	s_delay_alu instid0(VALU_DEP_3) | instskip(SKIP_1) | instid1(VALU_DEP_2)
	v_ldexp_f64 v[6:7], -v[14:15], v1
	v_cmp_nlt_f64_e64 vcc_lo, 0x40900000, |v[8:9]|
	v_cndmask_b32_e32 v7, 0xfff00000, v7, vcc_lo
	s_delay_alu instid0(VALU_DEP_3) | instskip(NEXT) | instid1(VALU_DEP_1)
	v_cndmask_b32_e32 v6, 0, v6, vcc_lo
	v_mul_f64_e32 v[6:7], v[6:7], v[12:13]
.LBB5_8:
	s_or_b32 exec_lo, exec_lo, s1
.LBB5_9:
	s_and_not1_saveexec_b32 s1, s0
	s_cbranch_execz .LBB5_15
; %bb.10:
	v_and_b32_e32 v7, 0x7fffffff, v9
	v_mov_b32_e32 v6, v8
	s_mov_b64 s[10:11], 0x3c61556db352e8e6
	v_cmp_ngt_f64_e64 s0, 0, v[8:9]
	s_delay_alu instid0(VALU_DEP_2) | instskip(SKIP_1) | instid1(VALU_DEP_2)
	v_div_scale_f64 v[12:13], null, v[6:7], v[6:7], 0x40400000
	v_div_scale_f64 v[6:7], vcc_lo, 0x40400000, v[6:7], 0x40400000
	v_rcp_f64_e32 v[14:15], v[12:13]
	v_nop
	s_delay_alu instid0(TRANS32_DEP_1) | instskip(NEXT) | instid1(VALU_DEP_1)
	v_fma_f64 v[16:17], -v[12:13], v[14:15], 1.0
	v_fmac_f64_e32 v[14:15], v[14:15], v[16:17]
	s_delay_alu instid0(VALU_DEP_1) | instskip(NEXT) | instid1(VALU_DEP_1)
	v_fma_f64 v[16:17], -v[12:13], v[14:15], 1.0
	v_fmac_f64_e32 v[14:15], v[14:15], v[16:17]
	s_delay_alu instid0(VALU_DEP_1) | instskip(NEXT) | instid1(VALU_DEP_1)
	v_mul_f64_e32 v[16:17], v[6:7], v[14:15]
	v_fma_f64 v[6:7], -v[12:13], v[16:17], v[6:7]
	s_delay_alu instid0(VALU_DEP_1) | instskip(SKIP_1) | instid1(VALU_DEP_2)
	v_div_fmas_f64 v[6:7], v[6:7], v[14:15], v[16:17]
	v_cmp_nlt_f64_e64 vcc_lo, 0x40900000, |v[8:9]|
	v_div_fixup_f64 v[6:7], v[6:7], |v[8:9]|, 0x40400000
	s_delay_alu instid0(VALU_DEP_1) | instskip(NEXT) | instid1(VALU_DEP_1)
	v_add_f64_e32 v[6:7], -2.0, v[6:7]
	v_fmaak_f64 v[12:13], s[10:11], v[6:7], 0x3c545b8aea87b950
	s_mov_b64 s[10:11], 0x3ff71547652b82fe
	s_delay_alu instid0(SALU_CYCLE_1) | instskip(SKIP_1) | instid1(VALU_DEP_2)
	v_mul_f64_e64 v[16:17], |v[8:9]|, s[10:11]
	s_mov_b64 s[10:11], 0xbfe62e42fefa39ef
	v_fmaak_f64 v[14:15], v[6:7], v[12:13], 0xbc61556db352e8e6
	s_delay_alu instid0(VALU_DEP_1) | instskip(NEXT) | instid1(VALU_DEP_3)
	v_add_f64_e32 v[14:15], 0xbc8acea3b2532277, v[14:15]
	v_rndne_f64_e32 v[16:17], v[16:17]
	s_delay_alu instid0(VALU_DEP_2) | instskip(NEXT) | instid1(VALU_DEP_2)
	v_fma_f64 v[12:13], v[6:7], v[14:15], -v[12:13]
	v_fma_f64 v[18:19], v[16:17], s[10:11], |v[8:9]|
	s_mov_b64 s[10:11], 0x3e5ade156a5dcb37
	v_cvt_i32_f64_e32 v1, v[16:17]
	s_delay_alu instid0(VALU_DEP_3) | instskip(NEXT) | instid1(VALU_DEP_3)
	v_add_f64_e32 v[12:13], 0xbc82806c9c773320, v[12:13]
	v_fmamk_f64 v[18:19], v[16:17], 0xbc7abc9e3b39803f, v[18:19]
	s_delay_alu instid0(VALU_DEP_1) | instskip(NEXT) | instid1(VALU_DEP_3)
	v_fmaak_f64 v[20:21], s[10:11], v[18:19], 0x3e928af3fca7ab0c
	v_fma_f64 v[14:15], v[6:7], v[12:13], -v[14:15]
	s_delay_alu instid0(VALU_DEP_2) | instskip(NEXT) | instid1(VALU_DEP_1)
	v_fmaak_f64 v[20:21], v[18:19], v[20:21], 0x3ec71dee623fde64
	v_fmaak_f64 v[20:21], v[18:19], v[20:21], 0x3efa01997c89e6b0
	s_delay_alu instid0(VALU_DEP_1) | instskip(NEXT) | instid1(VALU_DEP_1)
	v_fmaak_f64 v[20:21], v[18:19], v[20:21], 0x3f2a01a014761f6e
	v_fmaak_f64 v[20:21], v[18:19], v[20:21], 0x3f56c16c1852b7b0
	s_delay_alu instid0(VALU_DEP_1) | instskip(SKIP_1) | instid1(VALU_DEP_2)
	v_fmaak_f64 v[20:21], v[18:19], v[20:21], 0x3f81111111122322
	v_add_f64_e32 v[14:15], 0x3cb55915fceb588a, v[14:15]
	v_fmaak_f64 v[20:21], v[18:19], v[20:21], 0x3fa55555555502a1
	s_delay_alu instid0(VALU_DEP_1) | instskip(NEXT) | instid1(VALU_DEP_1)
	v_fmaak_f64 v[20:21], v[18:19], v[20:21], 0x3fc5555555555511
	v_fmaak_f64 v[20:21], v[18:19], v[20:21], 0x3fe000000000000b
	s_delay_alu instid0(VALU_DEP_1) | instskip(SKIP_1) | instid1(VALU_DEP_1)
	v_fma_f64 v[20:21], v[18:19], v[20:21], 1.0
	v_fma_f64 v[12:13], v[6:7], v[14:15], -v[12:13]
	v_add_f64_e32 v[12:13], 0x3cb7d68e5f04a2d1, v[12:13]
	s_delay_alu instid0(VALU_DEP_1) | instskip(NEXT) | instid1(VALU_DEP_1)
	v_fma_f64 v[14:15], v[6:7], v[12:13], -v[14:15]
	v_add_f64_e32 v[14:15], 0xbce0efcd8bc4d22a, v[14:15]
	s_delay_alu instid0(VALU_DEP_1) | instskip(NEXT) | instid1(VALU_DEP_1)
	;; [unrolled: 3-line block ×18, first 2 shown]
	v_fma_f64 v[12:13], v[6:7], v[14:15], -v[12:13]
	v_add_f64_e32 v[12:13], 0xbf83fda053fcdb4c, v[12:13]
	s_delay_alu instid0(VALU_DEP_1) | instskip(SKIP_1) | instid1(VALU_DEP_2)
	v_fma_f64 v[6:7], v[6:7], v[12:13], -v[14:15]
	v_fma_f64 v[12:13], v[18:19], v[20:21], 1.0
	v_add_f64_e32 v[6:7], 0x3fe8ea18b55b1514, v[6:7]
	s_delay_alu instid0(VALU_DEP_2) | instskip(NEXT) | instid1(VALU_DEP_2)
	v_ldexp_f64 v[12:13], v[12:13], v1
	v_add_f64_e64 v[14:15], v[6:7], -v[14:15]
	s_delay_alu instid0(VALU_DEP_2) | instskip(NEXT) | instid1(VALU_DEP_3)
	v_cndmask_b32_e32 v13, 0x7ff00000, v13, vcc_lo
	v_cndmask_b32_e32 v12, 0, v12, vcc_lo
                                        ; implicit-def: $vgpr6_vgpr7
	s_and_saveexec_b32 s9, s0
	s_delay_alu instid0(SALU_CYCLE_1)
	s_xor_b32 s0, exec_lo, s9
	s_cbranch_execz .LBB5_12
; %bb.11:
	v_cmp_gt_f64_e64 s9, 0x10000000, |v[8:9]|
	s_delay_alu instid0(VALU_DEP_4) | instskip(NEXT) | instid1(VALU_DEP_2)
	v_mul_f64_e32 v[14:15], 0.5, v[14:15]
	v_cndmask_b32_e64 v1, 0, 0x100, s9
	s_delay_alu instid0(VALU_DEP_2) | instskip(NEXT) | instid1(VALU_DEP_2)
	v_mul_f64_e32 v[12:13], v[12:13], v[14:15]
	v_ldexp_f64 v[6:7], |v[8:9]|, v1
	v_cndmask_b32_e64 v1, 0, 0xffffff80, s9
	s_delay_alu instid0(VALU_DEP_2) | instskip(SKIP_1) | instid1(TRANS32_DEP_1)
	v_rsq_f64_e32 v[16:17], v[6:7]
	v_cmp_class_f64_e64 vcc_lo, v[6:7], 0x260
	v_mul_f64_e32 v[18:19], v[6:7], v[16:17]
	v_mul_f64_e32 v[16:17], 0.5, v[16:17]
	s_delay_alu instid0(VALU_DEP_1) | instskip(NEXT) | instid1(VALU_DEP_1)
	v_fma_f64 v[20:21], -v[16:17], v[18:19], 0.5
	v_fmac_f64_e32 v[18:19], v[18:19], v[20:21]
	v_fmac_f64_e32 v[16:17], v[16:17], v[20:21]
	s_delay_alu instid0(VALU_DEP_2) | instskip(NEXT) | instid1(VALU_DEP_1)
	v_fma_f64 v[20:21], -v[18:19], v[18:19], v[6:7]
	v_fmac_f64_e32 v[18:19], v[20:21], v[16:17]
	s_delay_alu instid0(VALU_DEP_1) | instskip(NEXT) | instid1(VALU_DEP_1)
	v_fma_f64 v[20:21], -v[18:19], v[18:19], v[6:7]
	v_fmac_f64_e32 v[18:19], v[20:21], v[16:17]
	s_delay_alu instid0(VALU_DEP_1) | instskip(NEXT) | instid1(VALU_DEP_1)
	v_ldexp_f64 v[16:17], v[18:19], v1
	v_dual_cndmask_b32 v7, v17, v7 :: v_dual_cndmask_b32 v6, v16, v6
	s_delay_alu instid0(VALU_DEP_1) | instskip(NEXT) | instid1(VALU_DEP_1)
	v_div_scale_f64 v[14:15], null, v[6:7], v[6:7], v[12:13]
	v_rcp_f64_e32 v[16:17], v[14:15]
	v_nop
	s_delay_alu instid0(TRANS32_DEP_1) | instskip(NEXT) | instid1(VALU_DEP_1)
	v_fma_f64 v[18:19], -v[14:15], v[16:17], 1.0
	v_fmac_f64_e32 v[16:17], v[16:17], v[18:19]
	s_delay_alu instid0(VALU_DEP_1) | instskip(NEXT) | instid1(VALU_DEP_1)
	v_fma_f64 v[18:19], -v[14:15], v[16:17], 1.0
	v_fmac_f64_e32 v[16:17], v[16:17], v[18:19]
	v_div_scale_f64 v[18:19], vcc_lo, v[12:13], v[6:7], v[12:13]
	s_delay_alu instid0(VALU_DEP_1) | instskip(NEXT) | instid1(VALU_DEP_1)
	v_mul_f64_e32 v[20:21], v[18:19], v[16:17]
	v_fma_f64 v[14:15], -v[14:15], v[20:21], v[18:19]
	s_delay_alu instid0(VALU_DEP_1) | instskip(NEXT) | instid1(VALU_DEP_1)
	v_div_fmas_f64 v[14:15], v[14:15], v[16:17], v[20:21]
	v_div_fixup_f64 v[6:7], v[14:15], v[6:7], v[12:13]
                                        ; implicit-def: $vgpr14_vgpr15
                                        ; implicit-def: $vgpr12_vgpr13
.LBB5_12:
	s_and_not1_saveexec_b32 s0, s0
	s_cbranch_execz .LBB5_14
; %bb.13:
	v_cmp_gt_f64_e64 s9, 0x10000000, |v[8:9]|
	s_delay_alu instid0(VALU_DEP_1) | instskip(NEXT) | instid1(VALU_DEP_1)
	v_cndmask_b32_e64 v1, 0, 0x100, s9
	v_ldexp_f64 v[6:7], |v[8:9]|, v1
	v_cndmask_b32_e64 v1, 0, 0xffffff80, s9
	s_delay_alu instid0(VALU_DEP_2) | instskip(SKIP_1) | instid1(TRANS32_DEP_1)
	v_rsq_f64_e32 v[8:9], v[6:7]
	v_cmp_class_f64_e64 vcc_lo, v[6:7], 0x260
	v_mul_f64_e32 v[16:17], v[6:7], v[8:9]
	v_mul_f64_e32 v[8:9], 0.5, v[8:9]
	s_delay_alu instid0(VALU_DEP_1) | instskip(NEXT) | instid1(VALU_DEP_1)
	v_fma_f64 v[18:19], -v[8:9], v[16:17], 0.5
	v_fmac_f64_e32 v[16:17], v[16:17], v[18:19]
	v_fmac_f64_e32 v[8:9], v[8:9], v[18:19]
	s_delay_alu instid0(VALU_DEP_2) | instskip(NEXT) | instid1(VALU_DEP_1)
	v_fma_f64 v[18:19], -v[16:17], v[16:17], v[6:7]
	v_fmac_f64_e32 v[16:17], v[18:19], v[8:9]
	s_delay_alu instid0(VALU_DEP_1) | instskip(NEXT) | instid1(VALU_DEP_1)
	v_fma_f64 v[18:19], -v[16:17], v[16:17], v[6:7]
	v_fmac_f64_e32 v[16:17], v[18:19], v[8:9]
	v_mul_f64_e32 v[8:9], -0.5, v[14:15]
	s_delay_alu instid0(VALU_DEP_2) | instskip(NEXT) | instid1(VALU_DEP_1)
	v_ldexp_f64 v[14:15], v[16:17], v1
	v_dual_mul_f64 v[8:9], v[12:13], v[8:9] :: v_dual_cndmask_b32 v7, v15, v7, vcc_lo
	s_delay_alu instid0(VALU_DEP_2) | instskip(NEXT) | instid1(VALU_DEP_1)
	v_cndmask_b32_e32 v6, v14, v6, vcc_lo
	v_div_scale_f64 v[12:13], null, v[6:7], v[6:7], v[8:9]
	s_delay_alu instid0(VALU_DEP_1) | instskip(SKIP_1) | instid1(TRANS32_DEP_1)
	v_rcp_f64_e32 v[14:15], v[12:13]
	v_nop
	v_fma_f64 v[16:17], -v[12:13], v[14:15], 1.0
	s_delay_alu instid0(VALU_DEP_1) | instskip(NEXT) | instid1(VALU_DEP_1)
	v_fmac_f64_e32 v[14:15], v[14:15], v[16:17]
	v_fma_f64 v[16:17], -v[12:13], v[14:15], 1.0
	s_delay_alu instid0(VALU_DEP_1) | instskip(SKIP_1) | instid1(VALU_DEP_1)
	v_fmac_f64_e32 v[14:15], v[14:15], v[16:17]
	v_div_scale_f64 v[16:17], vcc_lo, v[8:9], v[6:7], v[8:9]
	v_mul_f64_e32 v[18:19], v[16:17], v[14:15]
	s_delay_alu instid0(VALU_DEP_1) | instskip(NEXT) | instid1(VALU_DEP_1)
	v_fma_f64 v[12:13], -v[12:13], v[18:19], v[16:17]
	v_div_fmas_f64 v[12:13], v[12:13], v[14:15], v[18:19]
	s_delay_alu instid0(VALU_DEP_1)
	v_div_fixup_f64 v[6:7], v[12:13], v[6:7], v[8:9]
.LBB5_14:
	s_or_b32 exec_lo, exec_lo, s0
.LBB5_15:
	s_delay_alu instid0(SALU_CYCLE_1) | instskip(SKIP_2) | instid1(SALU_CYCLE_1)
	s_or_b32 exec_lo, exec_lo, s1
	v_cmp_ge_f64_e64 s0, 0x40200000, |v[10:11]|
	s_and_saveexec_b32 s1, s0
	s_xor_b32 s0, exec_lo, s1
	s_cbranch_execz .LBB5_21
; %bb.16:
	v_fma_f64 v[8:9], |v[10:11]|, 0.5, -2.0
	s_mov_b64 s[10:11], 0x3c499f2a0c3c4014
	s_mov_b32 s1, exec_lo
	s_delay_alu instid0(VALU_DEP_1) | instskip(SKIP_1) | instid1(SALU_CYCLE_1)
	v_fmaak_f64 v[12:13], s[10:11], v[8:9], 0xbc7857d0c38a0576
	s_mov_b64 s[10:11], 0x3ff71547652b82fe
	v_mul_f64_e64 v[16:17], |v[10:11]|, s[10:11]
	s_mov_b64 s[10:11], 0xbfe62e42fefa39ef
	s_delay_alu instid0(VALU_DEP_2) | instskip(NEXT) | instid1(VALU_DEP_1)
	v_fmaak_f64 v[14:15], v[8:9], v[12:13], 0xbc499f2a0c3c4014
	v_add_f64_e32 v[14:15], 0x3ca663e3e593bfac, v[14:15]
	s_delay_alu instid0(VALU_DEP_3) | instskip(NEXT) | instid1(VALU_DEP_2)
	v_rndne_f64_e32 v[16:17], v[16:17]
	v_fma_f64 v[12:13], v[8:9], v[14:15], -v[12:13]
	s_delay_alu instid0(VALU_DEP_2) | instskip(SKIP_2) | instid1(VALU_DEP_3)
	v_fma_f64 v[18:19], v[16:17], s[10:11], |v[10:11]|
	s_mov_b64 s[10:11], 0x3e5ade156a5dcb37
	v_cvt_i32_f64_e32 v1, v[16:17]
	v_add_f64_e32 v[12:13], 0xbcd3eaaa7e0d1573, v[12:13]
	s_delay_alu instid0(VALU_DEP_1) | instskip(NEXT) | instid1(VALU_DEP_1)
	v_fma_f64 v[14:15], v[8:9], v[12:13], -v[14:15]
	v_add_f64_e32 v[14:15], 0x3d011d7f0615290c, v[14:15]
	s_delay_alu instid0(VALU_DEP_1) | instskip(NEXT) | instid1(VALU_DEP_1)
	v_fma_f64 v[12:13], v[8:9], v[14:15], -v[12:13]
	;; [unrolled: 3-line block ×24, first 2 shown]
	v_add_f64_e32 v[12:13], 0xbfc694d10469192e, v[12:13]
	s_delay_alu instid0(VALU_DEP_1) | instskip(SKIP_1) | instid1(VALU_DEP_1)
	v_fma_f64 v[8:9], v[8:9], v[12:13], -v[14:15]
	v_fmamk_f64 v[12:13], v[16:17], 0xbc7abc9e3b39803f, v[18:19]
	v_fmaak_f64 v[18:19], s[10:11], v[12:13], 0x3e928af3fca7ab0c
	s_delay_alu instid0(VALU_DEP_1) | instskip(NEXT) | instid1(VALU_DEP_1)
	v_fmaak_f64 v[18:19], v[12:13], v[18:19], 0x3ec71dee623fde64
	v_fmaak_f64 v[18:19], v[12:13], v[18:19], 0x3efa01997c89e6b0
	s_delay_alu instid0(VALU_DEP_1) | instskip(SKIP_1) | instid1(VALU_DEP_2)
	v_fmaak_f64 v[18:19], v[12:13], v[18:19], 0x3f2a01a014761f6e
	v_add_f64_e32 v[8:9], 0x3fd02a63724a7ffa, v[8:9]
	v_fmaak_f64 v[18:19], v[12:13], v[18:19], 0x3f56c16c1852b7b0
	s_delay_alu instid0(VALU_DEP_2) | instskip(NEXT) | instid1(VALU_DEP_2)
	v_add_f64_e64 v[8:9], v[8:9], -v[14:15]
	v_fmaak_f64 v[14:15], v[12:13], v[18:19], 0x3f81111111122322
	s_delay_alu instid0(VALU_DEP_1) | instskip(NEXT) | instid1(VALU_DEP_1)
	v_fmaak_f64 v[14:15], v[12:13], v[14:15], 0x3fa55555555502a1
	v_fmaak_f64 v[14:15], v[12:13], v[14:15], 0x3fc5555555555511
	s_delay_alu instid0(VALU_DEP_1) | instskip(NEXT) | instid1(VALU_DEP_1)
	v_fmaak_f64 v[14:15], v[12:13], v[14:15], 0x3fe000000000000b
	v_fma_f64 v[14:15], v[12:13], v[14:15], 1.0
	v_mul_f64_e32 v[8:9], 0.5, v[8:9]
	s_delay_alu instid0(VALU_DEP_2) | instskip(NEXT) | instid1(VALU_DEP_2)
	v_fma_f64 v[14:15], v[12:13], v[14:15], 1.0
	v_mul_f64_e64 v[12:13], |v[10:11]|, v[8:9]
	v_cmpx_ngt_f64_e32 0, v[10:11]
	s_xor_b32 s1, exec_lo, s1
	s_cbranch_execz .LBB5_18
; %bb.17:
	s_delay_alu instid0(VALU_DEP_3) | instskip(SKIP_1) | instid1(VALU_DEP_2)
	v_ldexp_f64 v[8:9], v[14:15], v1
	v_cmp_nlt_f64_e64 vcc_lo, 0x40900000, |v[10:11]|
                                        ; implicit-def: $vgpr14_vgpr15
                                        ; implicit-def: $vgpr1
                                        ; implicit-def: $vgpr10_vgpr11
	v_cndmask_b32_e32 v9, 0x7ff00000, v9, vcc_lo
	s_delay_alu instid0(VALU_DEP_3) | instskip(NEXT) | instid1(VALU_DEP_1)
	v_cndmask_b32_e32 v8, 0, v8, vcc_lo
	v_mul_f64_e32 v[8:9], v[8:9], v[12:13]
                                        ; implicit-def: $vgpr12_vgpr13
.LBB5_18:
	s_and_not1_saveexec_b32 s1, s1
	s_cbranch_execz .LBB5_20
; %bb.19:
	s_delay_alu instid0(VALU_DEP_3) | instskip(SKIP_1) | instid1(VALU_DEP_2)
	v_ldexp_f64 v[8:9], -v[14:15], v1
	v_cmp_nlt_f64_e64 vcc_lo, 0x40900000, |v[10:11]|
	v_cndmask_b32_e32 v9, 0xfff00000, v9, vcc_lo
	s_delay_alu instid0(VALU_DEP_3) | instskip(NEXT) | instid1(VALU_DEP_1)
	v_cndmask_b32_e32 v8, 0, v8, vcc_lo
	v_mul_f64_e32 v[8:9], v[8:9], v[12:13]
.LBB5_20:
	s_or_b32 exec_lo, exec_lo, s1
                                        ; implicit-def: $vgpr10_vgpr11
.LBB5_21:
	s_and_not1_saveexec_b32 s1, s0
	s_cbranch_execz .LBB5_27
; %bb.22:
	v_and_b32_e32 v9, 0x7fffffff, v11
	v_mov_b32_e32 v8, v10
	s_mov_b64 s[10:11], 0x3c61556db352e8e6
	v_cmp_ngt_f64_e64 s0, 0, v[10:11]
	s_delay_alu instid0(VALU_DEP_2) | instskip(SKIP_1) | instid1(VALU_DEP_2)
	v_div_scale_f64 v[12:13], null, v[8:9], v[8:9], 0x40400000
	v_div_scale_f64 v[8:9], vcc_lo, 0x40400000, v[8:9], 0x40400000
	v_rcp_f64_e32 v[14:15], v[12:13]
	v_nop
	s_delay_alu instid0(TRANS32_DEP_1) | instskip(NEXT) | instid1(VALU_DEP_1)
	v_fma_f64 v[16:17], -v[12:13], v[14:15], 1.0
	v_fmac_f64_e32 v[14:15], v[14:15], v[16:17]
	s_delay_alu instid0(VALU_DEP_1) | instskip(NEXT) | instid1(VALU_DEP_1)
	v_fma_f64 v[16:17], -v[12:13], v[14:15], 1.0
	v_fmac_f64_e32 v[14:15], v[14:15], v[16:17]
	s_delay_alu instid0(VALU_DEP_1) | instskip(NEXT) | instid1(VALU_DEP_1)
	v_mul_f64_e32 v[16:17], v[8:9], v[14:15]
	v_fma_f64 v[8:9], -v[12:13], v[16:17], v[8:9]
	s_delay_alu instid0(VALU_DEP_1) | instskip(SKIP_1) | instid1(VALU_DEP_2)
	v_div_fmas_f64 v[8:9], v[8:9], v[14:15], v[16:17]
	v_cmp_nlt_f64_e64 vcc_lo, 0x40900000, |v[10:11]|
	v_div_fixup_f64 v[8:9], v[8:9], |v[10:11]|, 0x40400000
	s_delay_alu instid0(VALU_DEP_1) | instskip(NEXT) | instid1(VALU_DEP_1)
	v_add_f64_e32 v[8:9], -2.0, v[8:9]
	v_fmaak_f64 v[12:13], s[10:11], v[8:9], 0x3c545b8aea87b950
	s_mov_b64 s[10:11], 0x3ff71547652b82fe
	s_delay_alu instid0(SALU_CYCLE_1) | instskip(SKIP_1) | instid1(VALU_DEP_2)
	v_mul_f64_e64 v[16:17], |v[10:11]|, s[10:11]
	s_mov_b64 s[10:11], 0xbfe62e42fefa39ef
	v_fmaak_f64 v[14:15], v[8:9], v[12:13], 0xbc61556db352e8e6
	s_delay_alu instid0(VALU_DEP_1) | instskip(NEXT) | instid1(VALU_DEP_3)
	v_add_f64_e32 v[14:15], 0xbc8acea3b2532277, v[14:15]
	v_rndne_f64_e32 v[16:17], v[16:17]
	s_delay_alu instid0(VALU_DEP_2) | instskip(NEXT) | instid1(VALU_DEP_2)
	v_fma_f64 v[12:13], v[8:9], v[14:15], -v[12:13]
	v_fma_f64 v[18:19], v[16:17], s[10:11], |v[10:11]|
	s_mov_b64 s[10:11], 0x3e5ade156a5dcb37
	v_cvt_i32_f64_e32 v1, v[16:17]
	s_delay_alu instid0(VALU_DEP_3) | instskip(NEXT) | instid1(VALU_DEP_3)
	v_add_f64_e32 v[12:13], 0xbc82806c9c773320, v[12:13]
	v_fmamk_f64 v[18:19], v[16:17], 0xbc7abc9e3b39803f, v[18:19]
	s_delay_alu instid0(VALU_DEP_1) | instskip(NEXT) | instid1(VALU_DEP_3)
	v_fmaak_f64 v[20:21], s[10:11], v[18:19], 0x3e928af3fca7ab0c
	v_fma_f64 v[14:15], v[8:9], v[12:13], -v[14:15]
	s_delay_alu instid0(VALU_DEP_2) | instskip(NEXT) | instid1(VALU_DEP_1)
	v_fmaak_f64 v[20:21], v[18:19], v[20:21], 0x3ec71dee623fde64
	v_fmaak_f64 v[20:21], v[18:19], v[20:21], 0x3efa01997c89e6b0
	s_delay_alu instid0(VALU_DEP_1) | instskip(NEXT) | instid1(VALU_DEP_1)
	v_fmaak_f64 v[20:21], v[18:19], v[20:21], 0x3f2a01a014761f6e
	v_fmaak_f64 v[20:21], v[18:19], v[20:21], 0x3f56c16c1852b7b0
	s_delay_alu instid0(VALU_DEP_1) | instskip(SKIP_1) | instid1(VALU_DEP_2)
	v_fmaak_f64 v[20:21], v[18:19], v[20:21], 0x3f81111111122322
	v_add_f64_e32 v[14:15], 0x3cb55915fceb588a, v[14:15]
	v_fmaak_f64 v[20:21], v[18:19], v[20:21], 0x3fa55555555502a1
	s_delay_alu instid0(VALU_DEP_1) | instskip(NEXT) | instid1(VALU_DEP_1)
	v_fmaak_f64 v[20:21], v[18:19], v[20:21], 0x3fc5555555555511
	v_fmaak_f64 v[20:21], v[18:19], v[20:21], 0x3fe000000000000b
	s_delay_alu instid0(VALU_DEP_1) | instskip(SKIP_1) | instid1(VALU_DEP_1)
	v_fma_f64 v[20:21], v[18:19], v[20:21], 1.0
	v_fma_f64 v[12:13], v[8:9], v[14:15], -v[12:13]
	v_add_f64_e32 v[12:13], 0x3cb7d68e5f04a2d1, v[12:13]
	s_delay_alu instid0(VALU_DEP_1) | instskip(NEXT) | instid1(VALU_DEP_1)
	v_fma_f64 v[14:15], v[8:9], v[12:13], -v[14:15]
	v_add_f64_e32 v[14:15], 0xbce0efcd8bc4d22a, v[14:15]
	s_delay_alu instid0(VALU_DEP_1) | instskip(NEXT) | instid1(VALU_DEP_1)
	;; [unrolled: 3-line block ×18, first 2 shown]
	v_fma_f64 v[12:13], v[8:9], v[14:15], -v[12:13]
	v_add_f64_e32 v[12:13], 0xbf83fda053fcdb4c, v[12:13]
	s_delay_alu instid0(VALU_DEP_1) | instskip(SKIP_1) | instid1(VALU_DEP_2)
	v_fma_f64 v[8:9], v[8:9], v[12:13], -v[14:15]
	v_fma_f64 v[12:13], v[18:19], v[20:21], 1.0
	v_add_f64_e32 v[8:9], 0x3fe8ea18b55b1514, v[8:9]
	s_delay_alu instid0(VALU_DEP_2) | instskip(NEXT) | instid1(VALU_DEP_2)
	v_ldexp_f64 v[12:13], v[12:13], v1
	v_add_f64_e64 v[14:15], v[8:9], -v[14:15]
	s_delay_alu instid0(VALU_DEP_2) | instskip(NEXT) | instid1(VALU_DEP_3)
	v_cndmask_b32_e32 v13, 0x7ff00000, v13, vcc_lo
	v_cndmask_b32_e32 v12, 0, v12, vcc_lo
	s_and_saveexec_b32 s9, s0
	s_delay_alu instid0(SALU_CYCLE_1)
	s_xor_b32 s0, exec_lo, s9
	s_cbranch_execz .LBB5_24
; %bb.23:
	v_cmp_gt_f64_e64 s9, 0x10000000, |v[10:11]|
	s_delay_alu instid0(VALU_DEP_1) | instskip(NEXT) | instid1(VALU_DEP_1)
	v_cndmask_b32_e64 v1, 0, 0x100, s9
	v_ldexp_f64 v[8:9], |v[10:11]|, v1
	v_cndmask_b32_e64 v1, 0, 0xffffff80, s9
	s_delay_alu instid0(VALU_DEP_2) | instskip(SKIP_1) | instid1(TRANS32_DEP_1)
	v_rsq_f64_e32 v[10:11], v[8:9]
	v_cmp_class_f64_e64 vcc_lo, v[8:9], 0x260
	v_mul_f64_e32 v[16:17], v[8:9], v[10:11]
	v_mul_f64_e32 v[10:11], 0.5, v[10:11]
	s_delay_alu instid0(VALU_DEP_1) | instskip(NEXT) | instid1(VALU_DEP_1)
	v_fma_f64 v[18:19], -v[10:11], v[16:17], 0.5
	v_fmac_f64_e32 v[16:17], v[16:17], v[18:19]
	v_fmac_f64_e32 v[10:11], v[10:11], v[18:19]
	s_delay_alu instid0(VALU_DEP_2) | instskip(NEXT) | instid1(VALU_DEP_1)
	v_fma_f64 v[18:19], -v[16:17], v[16:17], v[8:9]
	v_fmac_f64_e32 v[16:17], v[18:19], v[10:11]
	s_delay_alu instid0(VALU_DEP_1) | instskip(NEXT) | instid1(VALU_DEP_1)
	v_fma_f64 v[18:19], -v[16:17], v[16:17], v[8:9]
	v_fmac_f64_e32 v[16:17], v[18:19], v[10:11]
	v_mul_f64_e32 v[10:11], 0.5, v[14:15]
	s_delay_alu instid0(VALU_DEP_2) | instskip(NEXT) | instid1(VALU_DEP_1)
	v_ldexp_f64 v[14:15], v[16:17], v1
	v_dual_mul_f64 v[10:11], v[12:13], v[10:11] :: v_dual_cndmask_b32 v9, v15, v9, vcc_lo
	s_delay_alu instid0(VALU_DEP_2) | instskip(NEXT) | instid1(VALU_DEP_1)
	v_cndmask_b32_e32 v8, v14, v8, vcc_lo
	v_div_scale_f64 v[12:13], null, v[8:9], v[8:9], v[10:11]
	s_delay_alu instid0(VALU_DEP_1) | instskip(SKIP_1) | instid1(TRANS32_DEP_1)
	v_rcp_f64_e32 v[14:15], v[12:13]
	v_nop
	v_fma_f64 v[16:17], -v[12:13], v[14:15], 1.0
	s_delay_alu instid0(VALU_DEP_1) | instskip(NEXT) | instid1(VALU_DEP_1)
	v_fmac_f64_e32 v[14:15], v[14:15], v[16:17]
	v_fma_f64 v[16:17], -v[12:13], v[14:15], 1.0
	s_delay_alu instid0(VALU_DEP_1) | instskip(SKIP_1) | instid1(VALU_DEP_1)
	v_fmac_f64_e32 v[14:15], v[14:15], v[16:17]
	v_div_scale_f64 v[16:17], vcc_lo, v[10:11], v[8:9], v[10:11]
	v_mul_f64_e32 v[18:19], v[16:17], v[14:15]
	s_delay_alu instid0(VALU_DEP_1) | instskip(NEXT) | instid1(VALU_DEP_1)
	v_fma_f64 v[12:13], -v[12:13], v[18:19], v[16:17]
	v_div_fmas_f64 v[12:13], v[12:13], v[14:15], v[18:19]
                                        ; implicit-def: $vgpr14_vgpr15
	s_delay_alu instid0(VALU_DEP_1)
	v_div_fixup_f64 v[8:9], v[12:13], v[8:9], v[10:11]
                                        ; implicit-def: $vgpr10_vgpr11
                                        ; implicit-def: $vgpr12_vgpr13
.LBB5_24:
	s_and_not1_saveexec_b32 s0, s0
	s_cbranch_execz .LBB5_26
; %bb.25:
	v_cmp_gt_f64_e64 s9, 0x10000000, |v[10:11]|
	s_delay_alu instid0(VALU_DEP_1) | instskip(NEXT) | instid1(VALU_DEP_1)
	v_cndmask_b32_e64 v1, 0, 0x100, s9
	v_ldexp_f64 v[8:9], |v[10:11]|, v1
	v_cndmask_b32_e64 v1, 0, 0xffffff80, s9
	s_delay_alu instid0(VALU_DEP_2) | instskip(SKIP_1) | instid1(TRANS32_DEP_1)
	v_rsq_f64_e32 v[10:11], v[8:9]
	v_cmp_class_f64_e64 vcc_lo, v[8:9], 0x260
	v_mul_f64_e32 v[16:17], v[8:9], v[10:11]
	v_mul_f64_e32 v[10:11], 0.5, v[10:11]
	s_delay_alu instid0(VALU_DEP_1) | instskip(NEXT) | instid1(VALU_DEP_1)
	v_fma_f64 v[18:19], -v[10:11], v[16:17], 0.5
	v_fmac_f64_e32 v[16:17], v[16:17], v[18:19]
	v_fmac_f64_e32 v[10:11], v[10:11], v[18:19]
	s_delay_alu instid0(VALU_DEP_2) | instskip(NEXT) | instid1(VALU_DEP_1)
	v_fma_f64 v[18:19], -v[16:17], v[16:17], v[8:9]
	v_fmac_f64_e32 v[16:17], v[18:19], v[10:11]
	s_delay_alu instid0(VALU_DEP_1) | instskip(NEXT) | instid1(VALU_DEP_1)
	v_fma_f64 v[18:19], -v[16:17], v[16:17], v[8:9]
	v_fmac_f64_e32 v[16:17], v[18:19], v[10:11]
	v_mul_f64_e32 v[10:11], -0.5, v[14:15]
	s_delay_alu instid0(VALU_DEP_2) | instskip(NEXT) | instid1(VALU_DEP_1)
	v_ldexp_f64 v[14:15], v[16:17], v1
	v_dual_mul_f64 v[10:11], v[12:13], v[10:11] :: v_dual_cndmask_b32 v9, v15, v9, vcc_lo
	s_delay_alu instid0(VALU_DEP_2) | instskip(NEXT) | instid1(VALU_DEP_1)
	v_cndmask_b32_e32 v8, v14, v8, vcc_lo
	v_div_scale_f64 v[12:13], null, v[8:9], v[8:9], v[10:11]
	s_delay_alu instid0(VALU_DEP_1) | instskip(SKIP_1) | instid1(TRANS32_DEP_1)
	v_rcp_f64_e32 v[14:15], v[12:13]
	v_nop
	v_fma_f64 v[16:17], -v[12:13], v[14:15], 1.0
	s_delay_alu instid0(VALU_DEP_1) | instskip(NEXT) | instid1(VALU_DEP_1)
	v_fmac_f64_e32 v[14:15], v[14:15], v[16:17]
	v_fma_f64 v[16:17], -v[12:13], v[14:15], 1.0
	s_delay_alu instid0(VALU_DEP_1) | instskip(SKIP_1) | instid1(VALU_DEP_1)
	v_fmac_f64_e32 v[14:15], v[14:15], v[16:17]
	v_div_scale_f64 v[16:17], vcc_lo, v[10:11], v[8:9], v[10:11]
	v_mul_f64_e32 v[18:19], v[16:17], v[14:15]
	s_delay_alu instid0(VALU_DEP_1) | instskip(NEXT) | instid1(VALU_DEP_1)
	v_fma_f64 v[12:13], -v[12:13], v[18:19], v[16:17]
	v_div_fmas_f64 v[12:13], v[12:13], v[14:15], v[18:19]
	s_delay_alu instid0(VALU_DEP_1)
	v_div_fixup_f64 v[8:9], v[12:13], v[8:9], v[10:11]
.LBB5_26:
	s_or_b32 exec_lo, exec_lo, s0
.LBB5_27:
	s_delay_alu instid0(SALU_CYCLE_1) | instskip(SKIP_3) | instid1(SALU_CYCLE_1)
	s_or_b32 exec_lo, exec_lo, s1
	s_wait_loadcnt 0x0
	v_cmp_ge_f64_e64 s0, 0x40200000, |v[2:3]|
                                        ; implicit-def: $vgpr10_vgpr11
	s_and_saveexec_b32 s1, s0
	s_xor_b32 s0, exec_lo, s1
	s_cbranch_execz .LBB5_33
; %bb.28:
	v_fma_f64 v[10:11], |v[2:3]|, 0.5, -2.0
	s_mov_b64 s[10:11], 0x3c499f2a0c3c4014
	s_mov_b32 s1, exec_lo
	s_delay_alu instid0(VALU_DEP_1) | instskip(SKIP_1) | instid1(SALU_CYCLE_1)
	v_fmaak_f64 v[12:13], s[10:11], v[10:11], 0xbc7857d0c38a0576
	s_mov_b64 s[10:11], 0x3ff71547652b82fe
	v_mul_f64_e64 v[16:17], |v[2:3]|, s[10:11]
	s_mov_b64 s[10:11], 0xbfe62e42fefa39ef
	s_delay_alu instid0(VALU_DEP_2) | instskip(NEXT) | instid1(VALU_DEP_1)
	v_fmaak_f64 v[14:15], v[10:11], v[12:13], 0xbc499f2a0c3c4014
	v_add_f64_e32 v[14:15], 0x3ca663e3e593bfac, v[14:15]
	s_delay_alu instid0(VALU_DEP_3) | instskip(NEXT) | instid1(VALU_DEP_2)
	v_rndne_f64_e32 v[16:17], v[16:17]
	v_fma_f64 v[12:13], v[10:11], v[14:15], -v[12:13]
	s_delay_alu instid0(VALU_DEP_2) | instskip(SKIP_2) | instid1(VALU_DEP_3)
	v_fma_f64 v[18:19], v[16:17], s[10:11], |v[2:3]|
	s_mov_b64 s[10:11], 0x3e5ade156a5dcb37
	v_cvt_i32_f64_e32 v1, v[16:17]
	v_add_f64_e32 v[12:13], 0xbcd3eaaa7e0d1573, v[12:13]
	s_delay_alu instid0(VALU_DEP_1) | instskip(NEXT) | instid1(VALU_DEP_1)
	v_fma_f64 v[14:15], v[10:11], v[12:13], -v[14:15]
	v_add_f64_e32 v[14:15], 0x3d011d7f0615290c, v[14:15]
	s_delay_alu instid0(VALU_DEP_1) | instskip(NEXT) | instid1(VALU_DEP_1)
	v_fma_f64 v[12:13], v[10:11], v[14:15], -v[12:13]
	;; [unrolled: 3-line block ×24, first 2 shown]
	v_add_f64_e32 v[12:13], 0xbfc694d10469192e, v[12:13]
	s_delay_alu instid0(VALU_DEP_1) | instskip(SKIP_1) | instid1(VALU_DEP_1)
	v_fma_f64 v[10:11], v[10:11], v[12:13], -v[14:15]
	v_fmamk_f64 v[12:13], v[16:17], 0xbc7abc9e3b39803f, v[18:19]
	v_fmaak_f64 v[18:19], s[10:11], v[12:13], 0x3e928af3fca7ab0c
	s_delay_alu instid0(VALU_DEP_1) | instskip(NEXT) | instid1(VALU_DEP_1)
	v_fmaak_f64 v[18:19], v[12:13], v[18:19], 0x3ec71dee623fde64
	v_fmaak_f64 v[18:19], v[12:13], v[18:19], 0x3efa01997c89e6b0
	s_delay_alu instid0(VALU_DEP_1) | instskip(SKIP_1) | instid1(VALU_DEP_2)
	v_fmaak_f64 v[18:19], v[12:13], v[18:19], 0x3f2a01a014761f6e
	v_add_f64_e32 v[10:11], 0x3fd02a63724a7ffa, v[10:11]
	v_fmaak_f64 v[18:19], v[12:13], v[18:19], 0x3f56c16c1852b7b0
	s_delay_alu instid0(VALU_DEP_2) | instskip(NEXT) | instid1(VALU_DEP_2)
	v_add_f64_e64 v[10:11], v[10:11], -v[14:15]
	v_fmaak_f64 v[14:15], v[12:13], v[18:19], 0x3f81111111122322
	s_delay_alu instid0(VALU_DEP_1) | instskip(NEXT) | instid1(VALU_DEP_1)
	v_fmaak_f64 v[14:15], v[12:13], v[14:15], 0x3fa55555555502a1
	v_fmaak_f64 v[14:15], v[12:13], v[14:15], 0x3fc5555555555511
	s_delay_alu instid0(VALU_DEP_1) | instskip(NEXT) | instid1(VALU_DEP_1)
	v_fmaak_f64 v[14:15], v[12:13], v[14:15], 0x3fe000000000000b
	v_fma_f64 v[14:15], v[12:13], v[14:15], 1.0
	v_mul_f64_e32 v[10:11], 0.5, v[10:11]
	s_delay_alu instid0(VALU_DEP_2) | instskip(NEXT) | instid1(VALU_DEP_2)
	v_fma_f64 v[14:15], v[12:13], v[14:15], 1.0
	v_mul_f64_e64 v[12:13], |v[2:3]|, v[10:11]
                                        ; implicit-def: $vgpr10_vgpr11
	v_cmpx_ngt_f64_e32 0, v[2:3]
	s_xor_b32 s1, exec_lo, s1
	s_cbranch_execz .LBB5_30
; %bb.29:
	s_delay_alu instid0(VALU_DEP_3) | instskip(SKIP_1) | instid1(VALU_DEP_2)
	v_ldexp_f64 v[10:11], v[14:15], v1
	v_cmp_nlt_f64_e64 vcc_lo, 0x40900000, |v[2:3]|
                                        ; implicit-def: $vgpr14_vgpr15
                                        ; implicit-def: $vgpr1
	v_cndmask_b32_e32 v11, 0x7ff00000, v11, vcc_lo
	s_delay_alu instid0(VALU_DEP_3) | instskip(NEXT) | instid1(VALU_DEP_1)
	v_cndmask_b32_e32 v10, 0, v10, vcc_lo
	v_mul_f64_e32 v[10:11], v[10:11], v[12:13]
                                        ; implicit-def: $vgpr12_vgpr13
.LBB5_30:
	s_and_not1_saveexec_b32 s1, s1
	s_cbranch_execz .LBB5_32
; %bb.31:
	s_delay_alu instid0(VALU_DEP_3) | instskip(SKIP_1) | instid1(VALU_DEP_2)
	v_ldexp_f64 v[10:11], -v[14:15], v1
	v_cmp_nlt_f64_e64 vcc_lo, 0x40900000, |v[2:3]|
	v_cndmask_b32_e32 v11, 0xfff00000, v11, vcc_lo
	s_delay_alu instid0(VALU_DEP_3) | instskip(NEXT) | instid1(VALU_DEP_1)
	v_cndmask_b32_e32 v10, 0, v10, vcc_lo
	v_mul_f64_e32 v[10:11], v[10:11], v[12:13]
.LBB5_32:
	s_or_b32 exec_lo, exec_lo, s1
.LBB5_33:
	s_and_not1_saveexec_b32 s1, s0
	s_cbranch_execz .LBB5_39
; %bb.34:
	v_and_b32_e32 v11, 0x7fffffff, v3
	v_mov_b32_e32 v10, v2
	s_mov_b64 s[10:11], 0x3c61556db352e8e6
	v_cmp_ngt_f64_e64 s0, 0, v[2:3]
	s_delay_alu instid0(VALU_DEP_2) | instskip(SKIP_1) | instid1(VALU_DEP_2)
	v_div_scale_f64 v[12:13], null, v[10:11], v[10:11], 0x40400000
	v_div_scale_f64 v[10:11], vcc_lo, 0x40400000, v[10:11], 0x40400000
	v_rcp_f64_e32 v[14:15], v[12:13]
	v_nop
	s_delay_alu instid0(TRANS32_DEP_1) | instskip(NEXT) | instid1(VALU_DEP_1)
	v_fma_f64 v[16:17], -v[12:13], v[14:15], 1.0
	v_fmac_f64_e32 v[14:15], v[14:15], v[16:17]
	s_delay_alu instid0(VALU_DEP_1) | instskip(NEXT) | instid1(VALU_DEP_1)
	v_fma_f64 v[16:17], -v[12:13], v[14:15], 1.0
	v_fmac_f64_e32 v[14:15], v[14:15], v[16:17]
	s_delay_alu instid0(VALU_DEP_1) | instskip(NEXT) | instid1(VALU_DEP_1)
	v_mul_f64_e32 v[16:17], v[10:11], v[14:15]
	v_fma_f64 v[10:11], -v[12:13], v[16:17], v[10:11]
	s_delay_alu instid0(VALU_DEP_1) | instskip(SKIP_1) | instid1(VALU_DEP_2)
	v_div_fmas_f64 v[10:11], v[10:11], v[14:15], v[16:17]
	v_cmp_nlt_f64_e64 vcc_lo, 0x40900000, |v[2:3]|
	v_div_fixup_f64 v[10:11], v[10:11], |v[2:3]|, 0x40400000
	s_delay_alu instid0(VALU_DEP_1) | instskip(NEXT) | instid1(VALU_DEP_1)
	v_add_f64_e32 v[10:11], -2.0, v[10:11]
	v_fmaak_f64 v[12:13], s[10:11], v[10:11], 0x3c545b8aea87b950
	s_mov_b64 s[10:11], 0x3ff71547652b82fe
	s_delay_alu instid0(SALU_CYCLE_1) | instskip(SKIP_1) | instid1(VALU_DEP_2)
	v_mul_f64_e64 v[16:17], |v[2:3]|, s[10:11]
	s_mov_b64 s[10:11], 0xbfe62e42fefa39ef
	v_fmaak_f64 v[14:15], v[10:11], v[12:13], 0xbc61556db352e8e6
	s_delay_alu instid0(VALU_DEP_1) | instskip(NEXT) | instid1(VALU_DEP_3)
	v_add_f64_e32 v[14:15], 0xbc8acea3b2532277, v[14:15]
	v_rndne_f64_e32 v[16:17], v[16:17]
	s_delay_alu instid0(VALU_DEP_2) | instskip(NEXT) | instid1(VALU_DEP_2)
	v_fma_f64 v[12:13], v[10:11], v[14:15], -v[12:13]
	v_fma_f64 v[18:19], v[16:17], s[10:11], |v[2:3]|
	s_mov_b64 s[10:11], 0x3e5ade156a5dcb37
	v_cvt_i32_f64_e32 v1, v[16:17]
	s_delay_alu instid0(VALU_DEP_3) | instskip(NEXT) | instid1(VALU_DEP_3)
	v_add_f64_e32 v[12:13], 0xbc82806c9c773320, v[12:13]
	v_fmamk_f64 v[18:19], v[16:17], 0xbc7abc9e3b39803f, v[18:19]
	s_delay_alu instid0(VALU_DEP_1) | instskip(NEXT) | instid1(VALU_DEP_3)
	v_fmaak_f64 v[20:21], s[10:11], v[18:19], 0x3e928af3fca7ab0c
	v_fma_f64 v[14:15], v[10:11], v[12:13], -v[14:15]
	s_delay_alu instid0(VALU_DEP_2) | instskip(NEXT) | instid1(VALU_DEP_1)
	v_fmaak_f64 v[20:21], v[18:19], v[20:21], 0x3ec71dee623fde64
	v_fmaak_f64 v[20:21], v[18:19], v[20:21], 0x3efa01997c89e6b0
	s_delay_alu instid0(VALU_DEP_1) | instskip(NEXT) | instid1(VALU_DEP_1)
	v_fmaak_f64 v[20:21], v[18:19], v[20:21], 0x3f2a01a014761f6e
	v_fmaak_f64 v[20:21], v[18:19], v[20:21], 0x3f56c16c1852b7b0
	s_delay_alu instid0(VALU_DEP_1) | instskip(SKIP_1) | instid1(VALU_DEP_2)
	v_fmaak_f64 v[20:21], v[18:19], v[20:21], 0x3f81111111122322
	v_add_f64_e32 v[14:15], 0x3cb55915fceb588a, v[14:15]
	v_fmaak_f64 v[20:21], v[18:19], v[20:21], 0x3fa55555555502a1
	s_delay_alu instid0(VALU_DEP_1) | instskip(NEXT) | instid1(VALU_DEP_1)
	v_fmaak_f64 v[20:21], v[18:19], v[20:21], 0x3fc5555555555511
	v_fmaak_f64 v[20:21], v[18:19], v[20:21], 0x3fe000000000000b
	s_delay_alu instid0(VALU_DEP_1) | instskip(SKIP_1) | instid1(VALU_DEP_1)
	v_fma_f64 v[20:21], v[18:19], v[20:21], 1.0
	v_fma_f64 v[12:13], v[10:11], v[14:15], -v[12:13]
	v_add_f64_e32 v[12:13], 0x3cb7d68e5f04a2d1, v[12:13]
	s_delay_alu instid0(VALU_DEP_1) | instskip(NEXT) | instid1(VALU_DEP_1)
	v_fma_f64 v[14:15], v[10:11], v[12:13], -v[14:15]
	v_add_f64_e32 v[14:15], 0xbce0efcd8bc4d22a, v[14:15]
	s_delay_alu instid0(VALU_DEP_1) | instskip(NEXT) | instid1(VALU_DEP_1)
	;; [unrolled: 3-line block ×18, first 2 shown]
	v_fma_f64 v[12:13], v[10:11], v[14:15], -v[12:13]
	v_add_f64_e32 v[12:13], 0xbf83fda053fcdb4c, v[12:13]
	s_delay_alu instid0(VALU_DEP_1) | instskip(SKIP_1) | instid1(VALU_DEP_2)
	v_fma_f64 v[10:11], v[10:11], v[12:13], -v[14:15]
	v_fma_f64 v[12:13], v[18:19], v[20:21], 1.0
	v_add_f64_e32 v[10:11], 0x3fe8ea18b55b1514, v[10:11]
	s_delay_alu instid0(VALU_DEP_2) | instskip(NEXT) | instid1(VALU_DEP_2)
	v_ldexp_f64 v[12:13], v[12:13], v1
	v_add_f64_e64 v[14:15], v[10:11], -v[14:15]
	s_delay_alu instid0(VALU_DEP_2) | instskip(NEXT) | instid1(VALU_DEP_3)
	v_cndmask_b32_e32 v13, 0x7ff00000, v13, vcc_lo
	v_cndmask_b32_e32 v12, 0, v12, vcc_lo
                                        ; implicit-def: $vgpr10_vgpr11
	s_and_saveexec_b32 s9, s0
	s_delay_alu instid0(SALU_CYCLE_1)
	s_xor_b32 s0, exec_lo, s9
	s_cbranch_execz .LBB5_36
; %bb.35:
	v_cmp_gt_f64_e64 s9, 0x10000000, |v[2:3]|
	s_delay_alu instid0(VALU_DEP_4) | instskip(NEXT) | instid1(VALU_DEP_2)
	v_mul_f64_e32 v[14:15], 0.5, v[14:15]
	v_cndmask_b32_e64 v1, 0, 0x100, s9
	s_delay_alu instid0(VALU_DEP_2) | instskip(NEXT) | instid1(VALU_DEP_2)
	v_mul_f64_e32 v[12:13], v[12:13], v[14:15]
	v_ldexp_f64 v[10:11], |v[2:3]|, v1
	v_cndmask_b32_e64 v1, 0, 0xffffff80, s9
	s_delay_alu instid0(VALU_DEP_2) | instskip(SKIP_1) | instid1(TRANS32_DEP_1)
	v_rsq_f64_e32 v[16:17], v[10:11]
	v_cmp_class_f64_e64 vcc_lo, v[10:11], 0x260
	v_mul_f64_e32 v[18:19], v[10:11], v[16:17]
	v_mul_f64_e32 v[16:17], 0.5, v[16:17]
	s_delay_alu instid0(VALU_DEP_1) | instskip(NEXT) | instid1(VALU_DEP_1)
	v_fma_f64 v[20:21], -v[16:17], v[18:19], 0.5
	v_fmac_f64_e32 v[18:19], v[18:19], v[20:21]
	v_fmac_f64_e32 v[16:17], v[16:17], v[20:21]
	s_delay_alu instid0(VALU_DEP_2) | instskip(NEXT) | instid1(VALU_DEP_1)
	v_fma_f64 v[20:21], -v[18:19], v[18:19], v[10:11]
	v_fmac_f64_e32 v[18:19], v[20:21], v[16:17]
	s_delay_alu instid0(VALU_DEP_1) | instskip(NEXT) | instid1(VALU_DEP_1)
	v_fma_f64 v[20:21], -v[18:19], v[18:19], v[10:11]
	v_fmac_f64_e32 v[18:19], v[20:21], v[16:17]
	s_delay_alu instid0(VALU_DEP_1) | instskip(NEXT) | instid1(VALU_DEP_1)
	v_ldexp_f64 v[16:17], v[18:19], v1
	v_dual_cndmask_b32 v11, v17, v11 :: v_dual_cndmask_b32 v10, v16, v10
	s_delay_alu instid0(VALU_DEP_1) | instskip(NEXT) | instid1(VALU_DEP_1)
	v_div_scale_f64 v[14:15], null, v[10:11], v[10:11], v[12:13]
	v_rcp_f64_e32 v[16:17], v[14:15]
	v_nop
	s_delay_alu instid0(TRANS32_DEP_1) | instskip(NEXT) | instid1(VALU_DEP_1)
	v_fma_f64 v[18:19], -v[14:15], v[16:17], 1.0
	v_fmac_f64_e32 v[16:17], v[16:17], v[18:19]
	s_delay_alu instid0(VALU_DEP_1) | instskip(NEXT) | instid1(VALU_DEP_1)
	v_fma_f64 v[18:19], -v[14:15], v[16:17], 1.0
	v_fmac_f64_e32 v[16:17], v[16:17], v[18:19]
	v_div_scale_f64 v[18:19], vcc_lo, v[12:13], v[10:11], v[12:13]
	s_delay_alu instid0(VALU_DEP_1) | instskip(NEXT) | instid1(VALU_DEP_1)
	v_mul_f64_e32 v[20:21], v[18:19], v[16:17]
	v_fma_f64 v[14:15], -v[14:15], v[20:21], v[18:19]
	s_delay_alu instid0(VALU_DEP_1) | instskip(NEXT) | instid1(VALU_DEP_1)
	v_div_fmas_f64 v[14:15], v[14:15], v[16:17], v[20:21]
	v_div_fixup_f64 v[10:11], v[14:15], v[10:11], v[12:13]
                                        ; implicit-def: $vgpr14_vgpr15
                                        ; implicit-def: $vgpr12_vgpr13
.LBB5_36:
	s_and_not1_saveexec_b32 s0, s0
	s_cbranch_execz .LBB5_38
; %bb.37:
	v_cmp_gt_f64_e64 s9, 0x10000000, |v[2:3]|
	s_delay_alu instid0(VALU_DEP_1) | instskip(NEXT) | instid1(VALU_DEP_1)
	v_cndmask_b32_e64 v1, 0, 0x100, s9
	v_ldexp_f64 v[2:3], |v[2:3]|, v1
	v_cndmask_b32_e64 v1, 0, 0xffffff80, s9
	s_delay_alu instid0(VALU_DEP_2) | instskip(SKIP_1) | instid1(TRANS32_DEP_1)
	v_rsq_f64_e32 v[10:11], v[2:3]
	v_cmp_class_f64_e64 vcc_lo, v[2:3], 0x260
	v_mul_f64_e32 v[16:17], v[2:3], v[10:11]
	v_mul_f64_e32 v[10:11], 0.5, v[10:11]
	s_delay_alu instid0(VALU_DEP_1) | instskip(NEXT) | instid1(VALU_DEP_1)
	v_fma_f64 v[18:19], -v[10:11], v[16:17], 0.5
	v_fmac_f64_e32 v[16:17], v[16:17], v[18:19]
	v_fmac_f64_e32 v[10:11], v[10:11], v[18:19]
	s_delay_alu instid0(VALU_DEP_2) | instskip(NEXT) | instid1(VALU_DEP_1)
	v_fma_f64 v[18:19], -v[16:17], v[16:17], v[2:3]
	v_fmac_f64_e32 v[16:17], v[18:19], v[10:11]
	s_delay_alu instid0(VALU_DEP_1) | instskip(NEXT) | instid1(VALU_DEP_1)
	v_fma_f64 v[18:19], -v[16:17], v[16:17], v[2:3]
	v_fmac_f64_e32 v[16:17], v[18:19], v[10:11]
	v_mul_f64_e32 v[10:11], -0.5, v[14:15]
	s_delay_alu instid0(VALU_DEP_2) | instskip(NEXT) | instid1(VALU_DEP_2)
	v_ldexp_f64 v[14:15], v[16:17], v1
	v_mul_f64_e32 v[10:11], v[12:13], v[10:11]
	s_delay_alu instid0(VALU_DEP_2) | instskip(NEXT) | instid1(VALU_DEP_1)
	v_dual_cndmask_b32 v3, v15, v3 :: v_dual_cndmask_b32 v2, v14, v2
	v_div_scale_f64 v[12:13], null, v[2:3], v[2:3], v[10:11]
	s_delay_alu instid0(VALU_DEP_1) | instskip(SKIP_1) | instid1(TRANS32_DEP_1)
	v_rcp_f64_e32 v[14:15], v[12:13]
	v_nop
	v_fma_f64 v[16:17], -v[12:13], v[14:15], 1.0
	s_delay_alu instid0(VALU_DEP_1) | instskip(NEXT) | instid1(VALU_DEP_1)
	v_fmac_f64_e32 v[14:15], v[14:15], v[16:17]
	v_fma_f64 v[16:17], -v[12:13], v[14:15], 1.0
	s_delay_alu instid0(VALU_DEP_1) | instskip(SKIP_1) | instid1(VALU_DEP_1)
	v_fmac_f64_e32 v[14:15], v[14:15], v[16:17]
	v_div_scale_f64 v[16:17], vcc_lo, v[10:11], v[2:3], v[10:11]
	v_mul_f64_e32 v[18:19], v[16:17], v[14:15]
	s_delay_alu instid0(VALU_DEP_1) | instskip(NEXT) | instid1(VALU_DEP_1)
	v_fma_f64 v[12:13], -v[12:13], v[18:19], v[16:17]
	v_div_fmas_f64 v[12:13], v[12:13], v[14:15], v[18:19]
	s_delay_alu instid0(VALU_DEP_1)
	v_div_fixup_f64 v[10:11], v[12:13], v[2:3], v[10:11]
.LBB5_38:
	s_or_b32 exec_lo, exec_lo, s0
.LBB5_39:
	s_delay_alu instid0(SALU_CYCLE_1) | instskip(SKIP_2) | instid1(SALU_CYCLE_1)
	s_or_b32 exec_lo, exec_lo, s1
	v_cmp_ge_f64_e64 s0, 0x40200000, |v[4:5]|
	s_and_saveexec_b32 s1, s0
	s_xor_b32 s0, exec_lo, s1
	s_cbranch_execz .LBB5_45
; %bb.40:
	v_fma_f64 v[2:3], |v[4:5]|, 0.5, -2.0
	s_mov_b64 s[10:11], 0x3c499f2a0c3c4014
	s_mov_b32 s1, exec_lo
	s_delay_alu instid0(VALU_DEP_1) | instskip(SKIP_1) | instid1(SALU_CYCLE_1)
	v_fmaak_f64 v[12:13], s[10:11], v[2:3], 0xbc7857d0c38a0576
	s_mov_b64 s[10:11], 0x3ff71547652b82fe
	v_mul_f64_e64 v[16:17], |v[4:5]|, s[10:11]
	s_mov_b64 s[10:11], 0xbfe62e42fefa39ef
	s_delay_alu instid0(VALU_DEP_2) | instskip(NEXT) | instid1(VALU_DEP_1)
	v_fmaak_f64 v[14:15], v[2:3], v[12:13], 0xbc499f2a0c3c4014
	v_add_f64_e32 v[14:15], 0x3ca663e3e593bfac, v[14:15]
	s_delay_alu instid0(VALU_DEP_3) | instskip(NEXT) | instid1(VALU_DEP_2)
	v_rndne_f64_e32 v[16:17], v[16:17]
	v_fma_f64 v[12:13], v[2:3], v[14:15], -v[12:13]
	s_delay_alu instid0(VALU_DEP_2) | instskip(SKIP_2) | instid1(VALU_DEP_3)
	v_fma_f64 v[18:19], v[16:17], s[10:11], |v[4:5]|
	s_mov_b64 s[10:11], 0x3e5ade156a5dcb37
	v_cvt_i32_f64_e32 v1, v[16:17]
	v_add_f64_e32 v[12:13], 0xbcd3eaaa7e0d1573, v[12:13]
	s_delay_alu instid0(VALU_DEP_1) | instskip(NEXT) | instid1(VALU_DEP_1)
	v_fma_f64 v[14:15], v[2:3], v[12:13], -v[14:15]
	v_add_f64_e32 v[14:15], 0x3d011d7f0615290c, v[14:15]
	s_delay_alu instid0(VALU_DEP_1) | instskip(NEXT) | instid1(VALU_DEP_1)
	v_fma_f64 v[12:13], v[2:3], v[14:15], -v[12:13]
	;; [unrolled: 3-line block ×24, first 2 shown]
	v_add_f64_e32 v[12:13], 0xbfc694d10469192e, v[12:13]
	s_delay_alu instid0(VALU_DEP_1) | instskip(SKIP_1) | instid1(VALU_DEP_1)
	v_fma_f64 v[2:3], v[2:3], v[12:13], -v[14:15]
	v_fmamk_f64 v[12:13], v[16:17], 0xbc7abc9e3b39803f, v[18:19]
	v_fmaak_f64 v[18:19], s[10:11], v[12:13], 0x3e928af3fca7ab0c
	s_delay_alu instid0(VALU_DEP_1) | instskip(NEXT) | instid1(VALU_DEP_1)
	v_fmaak_f64 v[18:19], v[12:13], v[18:19], 0x3ec71dee623fde64
	v_fmaak_f64 v[18:19], v[12:13], v[18:19], 0x3efa01997c89e6b0
	s_delay_alu instid0(VALU_DEP_1) | instskip(SKIP_1) | instid1(VALU_DEP_2)
	v_fmaak_f64 v[18:19], v[12:13], v[18:19], 0x3f2a01a014761f6e
	v_add_f64_e32 v[2:3], 0x3fd02a63724a7ffa, v[2:3]
	v_fmaak_f64 v[18:19], v[12:13], v[18:19], 0x3f56c16c1852b7b0
	s_delay_alu instid0(VALU_DEP_2) | instskip(NEXT) | instid1(VALU_DEP_2)
	v_add_f64_e64 v[2:3], v[2:3], -v[14:15]
	v_fmaak_f64 v[14:15], v[12:13], v[18:19], 0x3f81111111122322
	s_delay_alu instid0(VALU_DEP_1) | instskip(NEXT) | instid1(VALU_DEP_1)
	v_fmaak_f64 v[14:15], v[12:13], v[14:15], 0x3fa55555555502a1
	v_fmaak_f64 v[14:15], v[12:13], v[14:15], 0x3fc5555555555511
	s_delay_alu instid0(VALU_DEP_1) | instskip(NEXT) | instid1(VALU_DEP_1)
	v_fmaak_f64 v[14:15], v[12:13], v[14:15], 0x3fe000000000000b
	v_fma_f64 v[14:15], v[12:13], v[14:15], 1.0
	v_mul_f64_e32 v[2:3], 0.5, v[2:3]
	s_delay_alu instid0(VALU_DEP_2) | instskip(NEXT) | instid1(VALU_DEP_2)
	v_fma_f64 v[14:15], v[12:13], v[14:15], 1.0
	v_mul_f64_e64 v[2:3], |v[4:5]|, v[2:3]
	v_cmpx_ngt_f64_e32 0, v[4:5]
	s_xor_b32 s1, exec_lo, s1
	s_cbranch_execz .LBB5_42
; %bb.41:
	s_delay_alu instid0(VALU_DEP_3) | instskip(SKIP_1) | instid1(VALU_DEP_2)
	v_ldexp_f64 v[12:13], v[14:15], v1
	v_cmp_nlt_f64_e64 vcc_lo, 0x40900000, |v[4:5]|
                                        ; implicit-def: $vgpr14_vgpr15
                                        ; implicit-def: $vgpr1
	v_cndmask_b32_e32 v5, 0x7ff00000, v13, vcc_lo
	s_delay_alu instid0(VALU_DEP_3) | instskip(NEXT) | instid1(VALU_DEP_1)
	v_cndmask_b32_e32 v4, 0, v12, vcc_lo
	v_mul_f64_e32 v[12:13], v[4:5], v[2:3]
                                        ; implicit-def: $vgpr4_vgpr5
                                        ; implicit-def: $vgpr2_vgpr3
.LBB5_42:
	s_and_not1_saveexec_b32 s1, s1
	s_cbranch_execz .LBB5_44
; %bb.43:
	s_delay_alu instid0(VALU_DEP_3) | instskip(SKIP_1) | instid1(VALU_DEP_2)
	v_ldexp_f64 v[12:13], -v[14:15], v1
	v_cmp_nlt_f64_e64 vcc_lo, 0x40900000, |v[4:5]|
	v_cndmask_b32_e32 v5, 0xfff00000, v13, vcc_lo
	s_delay_alu instid0(VALU_DEP_3) | instskip(NEXT) | instid1(VALU_DEP_1)
	v_cndmask_b32_e32 v4, 0, v12, vcc_lo
	v_mul_f64_e32 v[12:13], v[4:5], v[2:3]
.LBB5_44:
	s_or_b32 exec_lo, exec_lo, s1
                                        ; implicit-def: $vgpr4_vgpr5
.LBB5_45:
	s_and_not1_saveexec_b32 s1, s0
	s_cbranch_execz .LBB5_51
; %bb.46:
	v_and_b32_e32 v3, 0x7fffffff, v5
	v_mov_b32_e32 v2, v4
	s_mov_b64 s[10:11], 0x3c61556db352e8e6
	v_cmp_ngt_f64_e64 s0, 0, v[4:5]
	s_delay_alu instid0(VALU_DEP_2) | instskip(SKIP_1) | instid1(VALU_DEP_2)
	v_div_scale_f64 v[12:13], null, v[2:3], v[2:3], 0x40400000
	v_div_scale_f64 v[2:3], vcc_lo, 0x40400000, v[2:3], 0x40400000
	v_rcp_f64_e32 v[14:15], v[12:13]
	v_nop
	s_delay_alu instid0(TRANS32_DEP_1) | instskip(NEXT) | instid1(VALU_DEP_1)
	v_fma_f64 v[16:17], -v[12:13], v[14:15], 1.0
	v_fmac_f64_e32 v[14:15], v[14:15], v[16:17]
	s_delay_alu instid0(VALU_DEP_1) | instskip(NEXT) | instid1(VALU_DEP_1)
	v_fma_f64 v[16:17], -v[12:13], v[14:15], 1.0
	v_fmac_f64_e32 v[14:15], v[14:15], v[16:17]
	s_delay_alu instid0(VALU_DEP_1) | instskip(NEXT) | instid1(VALU_DEP_1)
	v_mul_f64_e32 v[16:17], v[2:3], v[14:15]
	v_fma_f64 v[2:3], -v[12:13], v[16:17], v[2:3]
	s_delay_alu instid0(VALU_DEP_1) | instskip(SKIP_1) | instid1(VALU_DEP_2)
	v_div_fmas_f64 v[2:3], v[2:3], v[14:15], v[16:17]
	v_cmp_nlt_f64_e64 vcc_lo, 0x40900000, |v[4:5]|
	v_div_fixup_f64 v[2:3], v[2:3], |v[4:5]|, 0x40400000
	s_delay_alu instid0(VALU_DEP_1) | instskip(NEXT) | instid1(VALU_DEP_1)
	v_add_f64_e32 v[2:3], -2.0, v[2:3]
	v_fmaak_f64 v[12:13], s[10:11], v[2:3], 0x3c545b8aea87b950
	s_mov_b64 s[10:11], 0x3ff71547652b82fe
	s_delay_alu instid0(SALU_CYCLE_1) | instskip(SKIP_1) | instid1(VALU_DEP_2)
	v_mul_f64_e64 v[16:17], |v[4:5]|, s[10:11]
	s_mov_b64 s[10:11], 0xbfe62e42fefa39ef
	v_fmaak_f64 v[14:15], v[2:3], v[12:13], 0xbc61556db352e8e6
	s_delay_alu instid0(VALU_DEP_1) | instskip(NEXT) | instid1(VALU_DEP_3)
	v_add_f64_e32 v[14:15], 0xbc8acea3b2532277, v[14:15]
	v_rndne_f64_e32 v[16:17], v[16:17]
	s_delay_alu instid0(VALU_DEP_2) | instskip(NEXT) | instid1(VALU_DEP_2)
	v_fma_f64 v[12:13], v[2:3], v[14:15], -v[12:13]
	v_fma_f64 v[18:19], v[16:17], s[10:11], |v[4:5]|
	s_mov_b64 s[10:11], 0x3e5ade156a5dcb37
	v_cvt_i32_f64_e32 v1, v[16:17]
	s_delay_alu instid0(VALU_DEP_3) | instskip(NEXT) | instid1(VALU_DEP_3)
	v_add_f64_e32 v[12:13], 0xbc82806c9c773320, v[12:13]
	v_fmamk_f64 v[18:19], v[16:17], 0xbc7abc9e3b39803f, v[18:19]
	s_delay_alu instid0(VALU_DEP_1) | instskip(NEXT) | instid1(VALU_DEP_3)
	v_fmaak_f64 v[20:21], s[10:11], v[18:19], 0x3e928af3fca7ab0c
	v_fma_f64 v[14:15], v[2:3], v[12:13], -v[14:15]
	s_delay_alu instid0(VALU_DEP_2) | instskip(NEXT) | instid1(VALU_DEP_1)
	v_fmaak_f64 v[20:21], v[18:19], v[20:21], 0x3ec71dee623fde64
	v_fmaak_f64 v[20:21], v[18:19], v[20:21], 0x3efa01997c89e6b0
	s_delay_alu instid0(VALU_DEP_1) | instskip(NEXT) | instid1(VALU_DEP_1)
	v_fmaak_f64 v[20:21], v[18:19], v[20:21], 0x3f2a01a014761f6e
	v_fmaak_f64 v[20:21], v[18:19], v[20:21], 0x3f56c16c1852b7b0
	s_delay_alu instid0(VALU_DEP_1) | instskip(SKIP_1) | instid1(VALU_DEP_2)
	v_fmaak_f64 v[20:21], v[18:19], v[20:21], 0x3f81111111122322
	v_add_f64_e32 v[14:15], 0x3cb55915fceb588a, v[14:15]
	v_fmaak_f64 v[20:21], v[18:19], v[20:21], 0x3fa55555555502a1
	s_delay_alu instid0(VALU_DEP_1) | instskip(NEXT) | instid1(VALU_DEP_1)
	v_fmaak_f64 v[20:21], v[18:19], v[20:21], 0x3fc5555555555511
	v_fmaak_f64 v[20:21], v[18:19], v[20:21], 0x3fe000000000000b
	s_delay_alu instid0(VALU_DEP_1) | instskip(SKIP_1) | instid1(VALU_DEP_1)
	v_fma_f64 v[20:21], v[18:19], v[20:21], 1.0
	v_fma_f64 v[12:13], v[2:3], v[14:15], -v[12:13]
	v_add_f64_e32 v[12:13], 0x3cb7d68e5f04a2d1, v[12:13]
	s_delay_alu instid0(VALU_DEP_1) | instskip(NEXT) | instid1(VALU_DEP_1)
	v_fma_f64 v[14:15], v[2:3], v[12:13], -v[14:15]
	v_add_f64_e32 v[14:15], 0xbce0efcd8bc4d22a, v[14:15]
	s_delay_alu instid0(VALU_DEP_1) | instskip(NEXT) | instid1(VALU_DEP_1)
	;; [unrolled: 3-line block ×18, first 2 shown]
	v_fma_f64 v[12:13], v[2:3], v[14:15], -v[12:13]
	v_add_f64_e32 v[12:13], 0xbf83fda053fcdb4c, v[12:13]
	s_delay_alu instid0(VALU_DEP_1) | instskip(SKIP_1) | instid1(VALU_DEP_2)
	v_fma_f64 v[2:3], v[2:3], v[12:13], -v[14:15]
	v_fma_f64 v[12:13], v[18:19], v[20:21], 1.0
	v_add_f64_e32 v[2:3], 0x3fe8ea18b55b1514, v[2:3]
	s_delay_alu instid0(VALU_DEP_2) | instskip(NEXT) | instid1(VALU_DEP_2)
	v_ldexp_f64 v[12:13], v[12:13], v1
	v_add_f64_e64 v[14:15], v[2:3], -v[14:15]
	s_delay_alu instid0(VALU_DEP_2) | instskip(NEXT) | instid1(VALU_DEP_3)
	v_cndmask_b32_e32 v3, 0x7ff00000, v13, vcc_lo
	v_cndmask_b32_e32 v2, 0, v12, vcc_lo
	s_and_saveexec_b32 s9, s0
	s_delay_alu instid0(SALU_CYCLE_1)
	s_xor_b32 s0, exec_lo, s9
	s_cbranch_execz .LBB5_48
; %bb.47:
	v_cmp_gt_f64_e64 s9, 0x10000000, |v[4:5]|
	s_delay_alu instid0(VALU_DEP_1) | instskip(NEXT) | instid1(VALU_DEP_1)
	v_cndmask_b32_e64 v1, 0, 0x100, s9
	v_ldexp_f64 v[4:5], |v[4:5]|, v1
	v_cndmask_b32_e64 v1, 0, 0xffffff80, s9
	s_delay_alu instid0(VALU_DEP_2) | instskip(SKIP_1) | instid1(TRANS32_DEP_1)
	v_rsq_f64_e32 v[12:13], v[4:5]
	v_cmp_class_f64_e64 vcc_lo, v[4:5], 0x260
	v_mul_f64_e32 v[16:17], v[4:5], v[12:13]
	v_mul_f64_e32 v[12:13], 0.5, v[12:13]
	s_delay_alu instid0(VALU_DEP_1) | instskip(NEXT) | instid1(VALU_DEP_1)
	v_fma_f64 v[18:19], -v[12:13], v[16:17], 0.5
	v_fmac_f64_e32 v[16:17], v[16:17], v[18:19]
	v_fmac_f64_e32 v[12:13], v[12:13], v[18:19]
	s_delay_alu instid0(VALU_DEP_2) | instskip(NEXT) | instid1(VALU_DEP_1)
	v_fma_f64 v[18:19], -v[16:17], v[16:17], v[4:5]
	v_fmac_f64_e32 v[16:17], v[18:19], v[12:13]
	s_delay_alu instid0(VALU_DEP_1) | instskip(NEXT) | instid1(VALU_DEP_1)
	v_fma_f64 v[18:19], -v[16:17], v[16:17], v[4:5]
	v_fmac_f64_e32 v[16:17], v[18:19], v[12:13]
	v_mul_f64_e32 v[12:13], 0.5, v[14:15]
	s_delay_alu instid0(VALU_DEP_2) | instskip(NEXT) | instid1(VALU_DEP_1)
	v_ldexp_f64 v[14:15], v[16:17], v1
	v_cndmask_b32_e32 v5, v15, v5, vcc_lo
	s_delay_alu instid0(VALU_DEP_3) | instskip(NEXT) | instid1(VALU_DEP_3)
	v_mul_f64_e32 v[2:3], v[2:3], v[12:13]
	v_cndmask_b32_e32 v4, v14, v4, vcc_lo
	s_delay_alu instid0(VALU_DEP_1) | instskip(NEXT) | instid1(VALU_DEP_1)
	v_div_scale_f64 v[12:13], null, v[4:5], v[4:5], v[2:3]
	v_rcp_f64_e32 v[14:15], v[12:13]
	v_nop
	s_delay_alu instid0(TRANS32_DEP_1) | instskip(NEXT) | instid1(VALU_DEP_1)
	v_fma_f64 v[16:17], -v[12:13], v[14:15], 1.0
	v_fmac_f64_e32 v[14:15], v[14:15], v[16:17]
	s_delay_alu instid0(VALU_DEP_1) | instskip(NEXT) | instid1(VALU_DEP_1)
	v_fma_f64 v[16:17], -v[12:13], v[14:15], 1.0
	v_fmac_f64_e32 v[14:15], v[14:15], v[16:17]
	v_div_scale_f64 v[16:17], vcc_lo, v[2:3], v[4:5], v[2:3]
	s_delay_alu instid0(VALU_DEP_1) | instskip(NEXT) | instid1(VALU_DEP_1)
	v_mul_f64_e32 v[18:19], v[16:17], v[14:15]
	v_fma_f64 v[12:13], -v[12:13], v[18:19], v[16:17]
	s_delay_alu instid0(VALU_DEP_1) | instskip(NEXT) | instid1(VALU_DEP_1)
	v_div_fmas_f64 v[12:13], v[12:13], v[14:15], v[18:19]
                                        ; implicit-def: $vgpr14_vgpr15
	v_div_fixup_f64 v[12:13], v[12:13], v[4:5], v[2:3]
                                        ; implicit-def: $vgpr4_vgpr5
                                        ; implicit-def: $vgpr2_vgpr3
.LBB5_48:
	s_and_not1_saveexec_b32 s0, s0
	s_cbranch_execz .LBB5_50
; %bb.49:
	v_cmp_gt_f64_e64 s9, 0x10000000, |v[4:5]|
	s_delay_alu instid0(VALU_DEP_1) | instskip(NEXT) | instid1(VALU_DEP_1)
	v_cndmask_b32_e64 v1, 0, 0x100, s9
	v_ldexp_f64 v[4:5], |v[4:5]|, v1
	v_cndmask_b32_e64 v1, 0, 0xffffff80, s9
	s_delay_alu instid0(VALU_DEP_2) | instskip(SKIP_1) | instid1(TRANS32_DEP_1)
	v_rsq_f64_e32 v[12:13], v[4:5]
	v_cmp_class_f64_e64 vcc_lo, v[4:5], 0x260
	v_mul_f64_e32 v[16:17], v[4:5], v[12:13]
	v_mul_f64_e32 v[12:13], 0.5, v[12:13]
	s_delay_alu instid0(VALU_DEP_1) | instskip(NEXT) | instid1(VALU_DEP_1)
	v_fma_f64 v[18:19], -v[12:13], v[16:17], 0.5
	v_fmac_f64_e32 v[16:17], v[16:17], v[18:19]
	v_fmac_f64_e32 v[12:13], v[12:13], v[18:19]
	s_delay_alu instid0(VALU_DEP_2) | instskip(NEXT) | instid1(VALU_DEP_1)
	v_fma_f64 v[18:19], -v[16:17], v[16:17], v[4:5]
	v_fmac_f64_e32 v[16:17], v[18:19], v[12:13]
	s_delay_alu instid0(VALU_DEP_1) | instskip(NEXT) | instid1(VALU_DEP_1)
	v_fma_f64 v[18:19], -v[16:17], v[16:17], v[4:5]
	v_fmac_f64_e32 v[16:17], v[18:19], v[12:13]
	v_mul_f64_e32 v[12:13], -0.5, v[14:15]
	s_delay_alu instid0(VALU_DEP_2) | instskip(NEXT) | instid1(VALU_DEP_1)
	v_ldexp_f64 v[14:15], v[16:17], v1
	v_cndmask_b32_e32 v5, v15, v5, vcc_lo
	s_delay_alu instid0(VALU_DEP_3) | instskip(NEXT) | instid1(VALU_DEP_3)
	v_mul_f64_e32 v[2:3], v[2:3], v[12:13]
	v_cndmask_b32_e32 v4, v14, v4, vcc_lo
	s_delay_alu instid0(VALU_DEP_1) | instskip(NEXT) | instid1(VALU_DEP_1)
	v_div_scale_f64 v[12:13], null, v[4:5], v[4:5], v[2:3]
	v_rcp_f64_e32 v[14:15], v[12:13]
	v_nop
	s_delay_alu instid0(TRANS32_DEP_1) | instskip(NEXT) | instid1(VALU_DEP_1)
	v_fma_f64 v[16:17], -v[12:13], v[14:15], 1.0
	v_fmac_f64_e32 v[14:15], v[14:15], v[16:17]
	s_delay_alu instid0(VALU_DEP_1) | instskip(NEXT) | instid1(VALU_DEP_1)
	v_fma_f64 v[16:17], -v[12:13], v[14:15], 1.0
	v_fmac_f64_e32 v[14:15], v[14:15], v[16:17]
	v_div_scale_f64 v[16:17], vcc_lo, v[2:3], v[4:5], v[2:3]
	s_delay_alu instid0(VALU_DEP_1) | instskip(NEXT) | instid1(VALU_DEP_1)
	v_mul_f64_e32 v[18:19], v[16:17], v[14:15]
	v_fma_f64 v[12:13], -v[12:13], v[18:19], v[16:17]
	s_delay_alu instid0(VALU_DEP_1) | instskip(NEXT) | instid1(VALU_DEP_1)
	v_div_fmas_f64 v[12:13], v[12:13], v[14:15], v[18:19]
	v_div_fixup_f64 v[12:13], v[12:13], v[4:5], v[2:3]
.LBB5_50:
	s_or_b32 exec_lo, exec_lo, s0
.LBB5_51:
	s_delay_alu instid0(SALU_CYCLE_1)
	s_or_b32 exec_lo, exec_lo, s1
	s_add_nc_u64 s[2:3], s[4:5], s[2:3]
	s_clause 0x1
	global_store_b128 v0, v[6:9], s[2:3] scale_offset
	global_store_b128 v0, v[10:13], s[2:3] offset:4096 scale_offset
	s_branch .LBB5_2
.LBB5_52:
	s_wait_xcnt 0x0
	v_dual_mov_b32 v31, v0 :: v_dual_mov_b32 v0, s4
	v_dual_mov_b32 v1, s5 :: v_dual_mov_b32 v2, s6
	;; [unrolled: 1-line block ×3, first 2 shown]
	s_get_pc_i64 s[0:1]
	s_add_nc_u64 s[0:1], s[0:1], _ZN2at6native25elementwise_kernel_helperILb0EZZZNS0_12_GLOBAL__N_130modified_bessel_i1_kernel_cudaERNS_18TensorIteratorBaseEENKUlvE_clEvENKUlvE_clEvEUldE_NS0_6memory8policies11unroll_baseILi256ESt5arrayIPcLm2EE23TrivialOffsetCalculatorILi1EjESF_NS8_15LoadWithoutCastENS8_16StoreWithoutCastELi4ELi1EEEEEvT0_T1_@rel64+4
	s_delay_alu instid0(SALU_CYCLE_1)
	s_swap_pc_i64 s[30:31], s[0:1]
	s_endpgm
	.section	.rodata,"a",@progbits
	.p2align	6, 0x0
	.amdhsa_kernel _ZN2at6native29vectorized_elementwise_kernelILi2EZZZNS0_12_GLOBAL__N_130modified_bessel_i1_kernel_cudaERNS_18TensorIteratorBaseEENKUlvE_clEvENKUlvE_clEvEUldE_St5arrayIPcLm2EEEEviT0_T1_
		.amdhsa_group_segment_fixed_size 0
		.amdhsa_private_segment_fixed_size 0
		.amdhsa_kernarg_size 24
		.amdhsa_user_sgpr_count 2
		.amdhsa_user_sgpr_dispatch_ptr 0
		.amdhsa_user_sgpr_queue_ptr 0
		.amdhsa_user_sgpr_kernarg_segment_ptr 1
		.amdhsa_user_sgpr_dispatch_id 0
		.amdhsa_user_sgpr_kernarg_preload_length 0
		.amdhsa_user_sgpr_kernarg_preload_offset 0
		.amdhsa_user_sgpr_private_segment_size 0
		.amdhsa_wavefront_size32 1
		.amdhsa_uses_dynamic_stack 0
		.amdhsa_enable_private_segment 0
		.amdhsa_system_sgpr_workgroup_id_x 1
		.amdhsa_system_sgpr_workgroup_id_y 0
		.amdhsa_system_sgpr_workgroup_id_z 0
		.amdhsa_system_sgpr_workgroup_info 0
		.amdhsa_system_vgpr_workitem_id 0
		.amdhsa_next_free_vgpr 32
		.amdhsa_next_free_sgpr 33
		.amdhsa_named_barrier_count 0
		.amdhsa_reserve_vcc 1
		.amdhsa_float_round_mode_32 0
		.amdhsa_float_round_mode_16_64 0
		.amdhsa_float_denorm_mode_32 3
		.amdhsa_float_denorm_mode_16_64 3
		.amdhsa_fp16_overflow 0
		.amdhsa_memory_ordered 1
		.amdhsa_forward_progress 1
		.amdhsa_inst_pref_size 84
		.amdhsa_round_robin_scheduling 0
		.amdhsa_exception_fp_ieee_invalid_op 0
		.amdhsa_exception_fp_denorm_src 0
		.amdhsa_exception_fp_ieee_div_zero 0
		.amdhsa_exception_fp_ieee_overflow 0
		.amdhsa_exception_fp_ieee_underflow 0
		.amdhsa_exception_fp_ieee_inexact 0
		.amdhsa_exception_int_div_zero 0
	.end_amdhsa_kernel
	.section	.text._ZN2at6native29vectorized_elementwise_kernelILi2EZZZNS0_12_GLOBAL__N_130modified_bessel_i1_kernel_cudaERNS_18TensorIteratorBaseEENKUlvE_clEvENKUlvE_clEvEUldE_St5arrayIPcLm2EEEEviT0_T1_,"axG",@progbits,_ZN2at6native29vectorized_elementwise_kernelILi2EZZZNS0_12_GLOBAL__N_130modified_bessel_i1_kernel_cudaERNS_18TensorIteratorBaseEENKUlvE_clEvENKUlvE_clEvEUldE_St5arrayIPcLm2EEEEviT0_T1_,comdat
.Lfunc_end5:
	.size	_ZN2at6native29vectorized_elementwise_kernelILi2EZZZNS0_12_GLOBAL__N_130modified_bessel_i1_kernel_cudaERNS_18TensorIteratorBaseEENKUlvE_clEvENKUlvE_clEvEUldE_St5arrayIPcLm2EEEEviT0_T1_, .Lfunc_end5-_ZN2at6native29vectorized_elementwise_kernelILi2EZZZNS0_12_GLOBAL__N_130modified_bessel_i1_kernel_cudaERNS_18TensorIteratorBaseEENKUlvE_clEvENKUlvE_clEvEUldE_St5arrayIPcLm2EEEEviT0_T1_
                                        ; -- End function
	.set _ZN2at6native29vectorized_elementwise_kernelILi2EZZZNS0_12_GLOBAL__N_130modified_bessel_i1_kernel_cudaERNS_18TensorIteratorBaseEENKUlvE_clEvENKUlvE_clEvEUldE_St5arrayIPcLm2EEEEviT0_T1_.num_vgpr, max(32, .L_ZN2at6native25elementwise_kernel_helperILb0EZZZNS0_12_GLOBAL__N_130modified_bessel_i1_kernel_cudaERNS_18TensorIteratorBaseEENKUlvE_clEvENKUlvE_clEvEUldE_NS0_6memory8policies11unroll_baseILi256ESt5arrayIPcLm2EE23TrivialOffsetCalculatorILi1EjESF_NS8_15LoadWithoutCastENS8_16StoreWithoutCastELi4ELi1EEEEEvT0_T1_.num_vgpr)
	.set _ZN2at6native29vectorized_elementwise_kernelILi2EZZZNS0_12_GLOBAL__N_130modified_bessel_i1_kernel_cudaERNS_18TensorIteratorBaseEENKUlvE_clEvENKUlvE_clEvEUldE_St5arrayIPcLm2EEEEviT0_T1_.num_agpr, max(0, .L_ZN2at6native25elementwise_kernel_helperILb0EZZZNS0_12_GLOBAL__N_130modified_bessel_i1_kernel_cudaERNS_18TensorIteratorBaseEENKUlvE_clEvENKUlvE_clEvEUldE_NS0_6memory8policies11unroll_baseILi256ESt5arrayIPcLm2EE23TrivialOffsetCalculatorILi1EjESF_NS8_15LoadWithoutCastENS8_16StoreWithoutCastELi4ELi1EEEEEvT0_T1_.num_agpr)
	.set _ZN2at6native29vectorized_elementwise_kernelILi2EZZZNS0_12_GLOBAL__N_130modified_bessel_i1_kernel_cudaERNS_18TensorIteratorBaseEENKUlvE_clEvENKUlvE_clEvEUldE_St5arrayIPcLm2EEEEviT0_T1_.numbered_sgpr, max(33, .L_ZN2at6native25elementwise_kernel_helperILb0EZZZNS0_12_GLOBAL__N_130modified_bessel_i1_kernel_cudaERNS_18TensorIteratorBaseEENKUlvE_clEvENKUlvE_clEvEUldE_NS0_6memory8policies11unroll_baseILi256ESt5arrayIPcLm2EE23TrivialOffsetCalculatorILi1EjESF_NS8_15LoadWithoutCastENS8_16StoreWithoutCastELi4ELi1EEEEEvT0_T1_.numbered_sgpr)
	.set _ZN2at6native29vectorized_elementwise_kernelILi2EZZZNS0_12_GLOBAL__N_130modified_bessel_i1_kernel_cudaERNS_18TensorIteratorBaseEENKUlvE_clEvENKUlvE_clEvEUldE_St5arrayIPcLm2EEEEviT0_T1_.num_named_barrier, max(0, .L_ZN2at6native25elementwise_kernel_helperILb0EZZZNS0_12_GLOBAL__N_130modified_bessel_i1_kernel_cudaERNS_18TensorIteratorBaseEENKUlvE_clEvENKUlvE_clEvEUldE_NS0_6memory8policies11unroll_baseILi256ESt5arrayIPcLm2EE23TrivialOffsetCalculatorILi1EjESF_NS8_15LoadWithoutCastENS8_16StoreWithoutCastELi4ELi1EEEEEvT0_T1_.num_named_barrier)
	.set _ZN2at6native29vectorized_elementwise_kernelILi2EZZZNS0_12_GLOBAL__N_130modified_bessel_i1_kernel_cudaERNS_18TensorIteratorBaseEENKUlvE_clEvENKUlvE_clEvEUldE_St5arrayIPcLm2EEEEviT0_T1_.private_seg_size, 0+max(.L_ZN2at6native25elementwise_kernel_helperILb0EZZZNS0_12_GLOBAL__N_130modified_bessel_i1_kernel_cudaERNS_18TensorIteratorBaseEENKUlvE_clEvENKUlvE_clEvEUldE_NS0_6memory8policies11unroll_baseILi256ESt5arrayIPcLm2EE23TrivialOffsetCalculatorILi1EjESF_NS8_15LoadWithoutCastENS8_16StoreWithoutCastELi4ELi1EEEEEvT0_T1_.private_seg_size)
	.set _ZN2at6native29vectorized_elementwise_kernelILi2EZZZNS0_12_GLOBAL__N_130modified_bessel_i1_kernel_cudaERNS_18TensorIteratorBaseEENKUlvE_clEvENKUlvE_clEvEUldE_St5arrayIPcLm2EEEEviT0_T1_.uses_vcc, or(1, .L_ZN2at6native25elementwise_kernel_helperILb0EZZZNS0_12_GLOBAL__N_130modified_bessel_i1_kernel_cudaERNS_18TensorIteratorBaseEENKUlvE_clEvENKUlvE_clEvEUldE_NS0_6memory8policies11unroll_baseILi256ESt5arrayIPcLm2EE23TrivialOffsetCalculatorILi1EjESF_NS8_15LoadWithoutCastENS8_16StoreWithoutCastELi4ELi1EEEEEvT0_T1_.uses_vcc)
	.set _ZN2at6native29vectorized_elementwise_kernelILi2EZZZNS0_12_GLOBAL__N_130modified_bessel_i1_kernel_cudaERNS_18TensorIteratorBaseEENKUlvE_clEvENKUlvE_clEvEUldE_St5arrayIPcLm2EEEEviT0_T1_.uses_flat_scratch, or(0, .L_ZN2at6native25elementwise_kernel_helperILb0EZZZNS0_12_GLOBAL__N_130modified_bessel_i1_kernel_cudaERNS_18TensorIteratorBaseEENKUlvE_clEvENKUlvE_clEvEUldE_NS0_6memory8policies11unroll_baseILi256ESt5arrayIPcLm2EE23TrivialOffsetCalculatorILi1EjESF_NS8_15LoadWithoutCastENS8_16StoreWithoutCastELi4ELi1EEEEEvT0_T1_.uses_flat_scratch)
	.set _ZN2at6native29vectorized_elementwise_kernelILi2EZZZNS0_12_GLOBAL__N_130modified_bessel_i1_kernel_cudaERNS_18TensorIteratorBaseEENKUlvE_clEvENKUlvE_clEvEUldE_St5arrayIPcLm2EEEEviT0_T1_.has_dyn_sized_stack, or(0, .L_ZN2at6native25elementwise_kernel_helperILb0EZZZNS0_12_GLOBAL__N_130modified_bessel_i1_kernel_cudaERNS_18TensorIteratorBaseEENKUlvE_clEvENKUlvE_clEvEUldE_NS0_6memory8policies11unroll_baseILi256ESt5arrayIPcLm2EE23TrivialOffsetCalculatorILi1EjESF_NS8_15LoadWithoutCastENS8_16StoreWithoutCastELi4ELi1EEEEEvT0_T1_.has_dyn_sized_stack)
	.set _ZN2at6native29vectorized_elementwise_kernelILi2EZZZNS0_12_GLOBAL__N_130modified_bessel_i1_kernel_cudaERNS_18TensorIteratorBaseEENKUlvE_clEvENKUlvE_clEvEUldE_St5arrayIPcLm2EEEEviT0_T1_.has_recursion, or(0, .L_ZN2at6native25elementwise_kernel_helperILb0EZZZNS0_12_GLOBAL__N_130modified_bessel_i1_kernel_cudaERNS_18TensorIteratorBaseEENKUlvE_clEvENKUlvE_clEvEUldE_NS0_6memory8policies11unroll_baseILi256ESt5arrayIPcLm2EE23TrivialOffsetCalculatorILi1EjESF_NS8_15LoadWithoutCastENS8_16StoreWithoutCastELi4ELi1EEEEEvT0_T1_.has_recursion)
	.set _ZN2at6native29vectorized_elementwise_kernelILi2EZZZNS0_12_GLOBAL__N_130modified_bessel_i1_kernel_cudaERNS_18TensorIteratorBaseEENKUlvE_clEvENKUlvE_clEvEUldE_St5arrayIPcLm2EEEEviT0_T1_.has_indirect_call, or(0, .L_ZN2at6native25elementwise_kernel_helperILb0EZZZNS0_12_GLOBAL__N_130modified_bessel_i1_kernel_cudaERNS_18TensorIteratorBaseEENKUlvE_clEvENKUlvE_clEvEUldE_NS0_6memory8policies11unroll_baseILi256ESt5arrayIPcLm2EE23TrivialOffsetCalculatorILi1EjESF_NS8_15LoadWithoutCastENS8_16StoreWithoutCastELi4ELi1EEEEEvT0_T1_.has_indirect_call)
	.section	.AMDGPU.csdata,"",@progbits
; Kernel info:
; codeLenInByte = 10724
; TotalNumSgprs: 35
; NumVgprs: 32
; ScratchSize: 0
; MemoryBound: 0
; FloatMode: 240
; IeeeMode: 1
; LDSByteSize: 0 bytes/workgroup (compile time only)
; SGPRBlocks: 0
; VGPRBlocks: 1
; NumSGPRsForWavesPerEU: 35
; NumVGPRsForWavesPerEU: 32
; NamedBarCnt: 0
; Occupancy: 16
; WaveLimiterHint : 1
; COMPUTE_PGM_RSRC2:SCRATCH_EN: 0
; COMPUTE_PGM_RSRC2:USER_SGPR: 2
; COMPUTE_PGM_RSRC2:TRAP_HANDLER: 0
; COMPUTE_PGM_RSRC2:TGID_X_EN: 1
; COMPUTE_PGM_RSRC2:TGID_Y_EN: 0
; COMPUTE_PGM_RSRC2:TGID_Z_EN: 0
; COMPUTE_PGM_RSRC2:TIDIG_COMP_CNT: 0
	.section	.text._ZN2at6native27unrolled_elementwise_kernelIZZZNS0_12_GLOBAL__N_130modified_bessel_i1_kernel_cudaERNS_18TensorIteratorBaseEENKUlvE_clEvENKUlvE_clEvEUldE_St5arrayIPcLm2EELi4E23TrivialOffsetCalculatorILi1EjESC_NS0_6memory15LoadWithoutCastENSD_16StoreWithoutCastEEEviT_T0_T2_T3_T4_T5_,"axG",@progbits,_ZN2at6native27unrolled_elementwise_kernelIZZZNS0_12_GLOBAL__N_130modified_bessel_i1_kernel_cudaERNS_18TensorIteratorBaseEENKUlvE_clEvENKUlvE_clEvEUldE_St5arrayIPcLm2EELi4E23TrivialOffsetCalculatorILi1EjESC_NS0_6memory15LoadWithoutCastENSD_16StoreWithoutCastEEEviT_T0_T2_T3_T4_T5_,comdat
	.globl	_ZN2at6native27unrolled_elementwise_kernelIZZZNS0_12_GLOBAL__N_130modified_bessel_i1_kernel_cudaERNS_18TensorIteratorBaseEENKUlvE_clEvENKUlvE_clEvEUldE_St5arrayIPcLm2EELi4E23TrivialOffsetCalculatorILi1EjESC_NS0_6memory15LoadWithoutCastENSD_16StoreWithoutCastEEEviT_T0_T2_T3_T4_T5_ ; -- Begin function _ZN2at6native27unrolled_elementwise_kernelIZZZNS0_12_GLOBAL__N_130modified_bessel_i1_kernel_cudaERNS_18TensorIteratorBaseEENKUlvE_clEvENKUlvE_clEvEUldE_St5arrayIPcLm2EELi4E23TrivialOffsetCalculatorILi1EjESC_NS0_6memory15LoadWithoutCastENSD_16StoreWithoutCastEEEviT_T0_T2_T3_T4_T5_
	.p2align	8
	.type	_ZN2at6native27unrolled_elementwise_kernelIZZZNS0_12_GLOBAL__N_130modified_bessel_i1_kernel_cudaERNS_18TensorIteratorBaseEENKUlvE_clEvENKUlvE_clEvEUldE_St5arrayIPcLm2EELi4E23TrivialOffsetCalculatorILi1EjESC_NS0_6memory15LoadWithoutCastENSD_16StoreWithoutCastEEEviT_T0_T2_T3_T4_T5_,@function
_ZN2at6native27unrolled_elementwise_kernelIZZZNS0_12_GLOBAL__N_130modified_bessel_i1_kernel_cudaERNS_18TensorIteratorBaseEENKUlvE_clEvENKUlvE_clEvEUldE_St5arrayIPcLm2EELi4E23TrivialOffsetCalculatorILi1EjESC_NS0_6memory15LoadWithoutCastENSD_16StoreWithoutCastEEEviT_T0_T2_T3_T4_T5_: ; @_ZN2at6native27unrolled_elementwise_kernelIZZZNS0_12_GLOBAL__N_130modified_bessel_i1_kernel_cudaERNS_18TensorIteratorBaseEENKUlvE_clEvENKUlvE_clEvEUldE_St5arrayIPcLm2EELi4E23TrivialOffsetCalculatorILi1EjESC_NS0_6memory15LoadWithoutCastENSD_16StoreWithoutCastEEEviT_T0_T2_T3_T4_T5_
; %bb.0:
	s_clause 0x1
	s_load_b32 s2, s[0:1], 0x0
	s_load_b128 s[4:7], s[0:1], 0x8
	s_wait_xcnt 0x0
	s_bfe_u32 s0, ttmp6, 0x4000c
	s_and_b32 s1, ttmp6, 15
	s_add_co_i32 s0, s0, 1
	s_getreg_b32 s3, hwreg(HW_REG_IB_STS2, 6, 4)
	s_mul_i32 s0, ttmp9, s0
	v_mov_b32_e32 v31, v0
	s_add_co_i32 s1, s1, s0
	s_cmp_eq_u32 s3, 0
	s_mov_b32 s32, 0
	s_cselect_b32 s3, ttmp9, s1
	s_get_pc_i64 s[0:1]
	s_add_nc_u64 s[0:1], s[0:1], _ZN2at6native25elementwise_kernel_helperILb0EZZZNS0_12_GLOBAL__N_130modified_bessel_i1_kernel_cudaERNS_18TensorIteratorBaseEENKUlvE_clEvENKUlvE_clEvEUldE_NS0_6memory8policies11unroll_baseILi256ESt5arrayIPcLm2EE23TrivialOffsetCalculatorILi1EjESF_NS8_15LoadWithoutCastENS8_16StoreWithoutCastELi4ELi1EEEEEvT0_T1_@rel64+4
	s_lshl_b32 s3, s3, 10
	s_wait_kmcnt 0x0
	s_sub_co_i32 s2, s2, s3
	v_dual_mov_b32 v0, s4 :: v_dual_mov_b32 v1, s5
	v_dual_mov_b32 v2, s6 :: v_dual_mov_b32 v3, s7
	v_mov_b32_e32 v4, s2
	s_swap_pc_i64 s[30:31], s[0:1]
	s_endpgm
	.section	.rodata,"a",@progbits
	.p2align	6, 0x0
	.amdhsa_kernel _ZN2at6native27unrolled_elementwise_kernelIZZZNS0_12_GLOBAL__N_130modified_bessel_i1_kernel_cudaERNS_18TensorIteratorBaseEENKUlvE_clEvENKUlvE_clEvEUldE_St5arrayIPcLm2EELi4E23TrivialOffsetCalculatorILi1EjESC_NS0_6memory15LoadWithoutCastENSD_16StoreWithoutCastEEEviT_T0_T2_T3_T4_T5_
		.amdhsa_group_segment_fixed_size 0
		.amdhsa_private_segment_fixed_size 0
		.amdhsa_kernarg_size 28
		.amdhsa_user_sgpr_count 2
		.amdhsa_user_sgpr_dispatch_ptr 0
		.amdhsa_user_sgpr_queue_ptr 0
		.amdhsa_user_sgpr_kernarg_segment_ptr 1
		.amdhsa_user_sgpr_dispatch_id 0
		.amdhsa_user_sgpr_kernarg_preload_length 0
		.amdhsa_user_sgpr_kernarg_preload_offset 0
		.amdhsa_user_sgpr_private_segment_size 0
		.amdhsa_wavefront_size32 1
		.amdhsa_uses_dynamic_stack 0
		.amdhsa_enable_private_segment 0
		.amdhsa_system_sgpr_workgroup_id_x 1
		.amdhsa_system_sgpr_workgroup_id_y 0
		.amdhsa_system_sgpr_workgroup_id_z 0
		.amdhsa_system_sgpr_workgroup_info 0
		.amdhsa_system_vgpr_workitem_id 0
		.amdhsa_next_free_vgpr 32
		.amdhsa_next_free_sgpr 33
		.amdhsa_named_barrier_count 0
		.amdhsa_reserve_vcc 1
		.amdhsa_float_round_mode_32 0
		.amdhsa_float_round_mode_16_64 0
		.amdhsa_float_denorm_mode_32 3
		.amdhsa_float_denorm_mode_16_64 3
		.amdhsa_fp16_overflow 0
		.amdhsa_memory_ordered 1
		.amdhsa_forward_progress 1
		.amdhsa_inst_pref_size 1
		.amdhsa_round_robin_scheduling 0
		.amdhsa_exception_fp_ieee_invalid_op 0
		.amdhsa_exception_fp_denorm_src 0
		.amdhsa_exception_fp_ieee_div_zero 0
		.amdhsa_exception_fp_ieee_overflow 0
		.amdhsa_exception_fp_ieee_underflow 0
		.amdhsa_exception_fp_ieee_inexact 0
		.amdhsa_exception_int_div_zero 0
	.end_amdhsa_kernel
	.section	.text._ZN2at6native27unrolled_elementwise_kernelIZZZNS0_12_GLOBAL__N_130modified_bessel_i1_kernel_cudaERNS_18TensorIteratorBaseEENKUlvE_clEvENKUlvE_clEvEUldE_St5arrayIPcLm2EELi4E23TrivialOffsetCalculatorILi1EjESC_NS0_6memory15LoadWithoutCastENSD_16StoreWithoutCastEEEviT_T0_T2_T3_T4_T5_,"axG",@progbits,_ZN2at6native27unrolled_elementwise_kernelIZZZNS0_12_GLOBAL__N_130modified_bessel_i1_kernel_cudaERNS_18TensorIteratorBaseEENKUlvE_clEvENKUlvE_clEvEUldE_St5arrayIPcLm2EELi4E23TrivialOffsetCalculatorILi1EjESC_NS0_6memory15LoadWithoutCastENSD_16StoreWithoutCastEEEviT_T0_T2_T3_T4_T5_,comdat
.Lfunc_end6:
	.size	_ZN2at6native27unrolled_elementwise_kernelIZZZNS0_12_GLOBAL__N_130modified_bessel_i1_kernel_cudaERNS_18TensorIteratorBaseEENKUlvE_clEvENKUlvE_clEvEUldE_St5arrayIPcLm2EELi4E23TrivialOffsetCalculatorILi1EjESC_NS0_6memory15LoadWithoutCastENSD_16StoreWithoutCastEEEviT_T0_T2_T3_T4_T5_, .Lfunc_end6-_ZN2at6native27unrolled_elementwise_kernelIZZZNS0_12_GLOBAL__N_130modified_bessel_i1_kernel_cudaERNS_18TensorIteratorBaseEENKUlvE_clEvENKUlvE_clEvEUldE_St5arrayIPcLm2EELi4E23TrivialOffsetCalculatorILi1EjESC_NS0_6memory15LoadWithoutCastENSD_16StoreWithoutCastEEEviT_T0_T2_T3_T4_T5_
                                        ; -- End function
	.set _ZN2at6native27unrolled_elementwise_kernelIZZZNS0_12_GLOBAL__N_130modified_bessel_i1_kernel_cudaERNS_18TensorIteratorBaseEENKUlvE_clEvENKUlvE_clEvEUldE_St5arrayIPcLm2EELi4E23TrivialOffsetCalculatorILi1EjESC_NS0_6memory15LoadWithoutCastENSD_16StoreWithoutCastEEEviT_T0_T2_T3_T4_T5_.num_vgpr, max(32, .L_ZN2at6native25elementwise_kernel_helperILb0EZZZNS0_12_GLOBAL__N_130modified_bessel_i1_kernel_cudaERNS_18TensorIteratorBaseEENKUlvE_clEvENKUlvE_clEvEUldE_NS0_6memory8policies11unroll_baseILi256ESt5arrayIPcLm2EE23TrivialOffsetCalculatorILi1EjESF_NS8_15LoadWithoutCastENS8_16StoreWithoutCastELi4ELi1EEEEEvT0_T1_.num_vgpr)
	.set _ZN2at6native27unrolled_elementwise_kernelIZZZNS0_12_GLOBAL__N_130modified_bessel_i1_kernel_cudaERNS_18TensorIteratorBaseEENKUlvE_clEvENKUlvE_clEvEUldE_St5arrayIPcLm2EELi4E23TrivialOffsetCalculatorILi1EjESC_NS0_6memory15LoadWithoutCastENSD_16StoreWithoutCastEEEviT_T0_T2_T3_T4_T5_.num_agpr, max(0, .L_ZN2at6native25elementwise_kernel_helperILb0EZZZNS0_12_GLOBAL__N_130modified_bessel_i1_kernel_cudaERNS_18TensorIteratorBaseEENKUlvE_clEvENKUlvE_clEvEUldE_NS0_6memory8policies11unroll_baseILi256ESt5arrayIPcLm2EE23TrivialOffsetCalculatorILi1EjESF_NS8_15LoadWithoutCastENS8_16StoreWithoutCastELi4ELi1EEEEEvT0_T1_.num_agpr)
	.set _ZN2at6native27unrolled_elementwise_kernelIZZZNS0_12_GLOBAL__N_130modified_bessel_i1_kernel_cudaERNS_18TensorIteratorBaseEENKUlvE_clEvENKUlvE_clEvEUldE_St5arrayIPcLm2EELi4E23TrivialOffsetCalculatorILi1EjESC_NS0_6memory15LoadWithoutCastENSD_16StoreWithoutCastEEEviT_T0_T2_T3_T4_T5_.numbered_sgpr, max(33, .L_ZN2at6native25elementwise_kernel_helperILb0EZZZNS0_12_GLOBAL__N_130modified_bessel_i1_kernel_cudaERNS_18TensorIteratorBaseEENKUlvE_clEvENKUlvE_clEvEUldE_NS0_6memory8policies11unroll_baseILi256ESt5arrayIPcLm2EE23TrivialOffsetCalculatorILi1EjESF_NS8_15LoadWithoutCastENS8_16StoreWithoutCastELi4ELi1EEEEEvT0_T1_.numbered_sgpr)
	.set _ZN2at6native27unrolled_elementwise_kernelIZZZNS0_12_GLOBAL__N_130modified_bessel_i1_kernel_cudaERNS_18TensorIteratorBaseEENKUlvE_clEvENKUlvE_clEvEUldE_St5arrayIPcLm2EELi4E23TrivialOffsetCalculatorILi1EjESC_NS0_6memory15LoadWithoutCastENSD_16StoreWithoutCastEEEviT_T0_T2_T3_T4_T5_.num_named_barrier, max(0, .L_ZN2at6native25elementwise_kernel_helperILb0EZZZNS0_12_GLOBAL__N_130modified_bessel_i1_kernel_cudaERNS_18TensorIteratorBaseEENKUlvE_clEvENKUlvE_clEvEUldE_NS0_6memory8policies11unroll_baseILi256ESt5arrayIPcLm2EE23TrivialOffsetCalculatorILi1EjESF_NS8_15LoadWithoutCastENS8_16StoreWithoutCastELi4ELi1EEEEEvT0_T1_.num_named_barrier)
	.set _ZN2at6native27unrolled_elementwise_kernelIZZZNS0_12_GLOBAL__N_130modified_bessel_i1_kernel_cudaERNS_18TensorIteratorBaseEENKUlvE_clEvENKUlvE_clEvEUldE_St5arrayIPcLm2EELi4E23TrivialOffsetCalculatorILi1EjESC_NS0_6memory15LoadWithoutCastENSD_16StoreWithoutCastEEEviT_T0_T2_T3_T4_T5_.private_seg_size, 0+max(.L_ZN2at6native25elementwise_kernel_helperILb0EZZZNS0_12_GLOBAL__N_130modified_bessel_i1_kernel_cudaERNS_18TensorIteratorBaseEENKUlvE_clEvENKUlvE_clEvEUldE_NS0_6memory8policies11unroll_baseILi256ESt5arrayIPcLm2EE23TrivialOffsetCalculatorILi1EjESF_NS8_15LoadWithoutCastENS8_16StoreWithoutCastELi4ELi1EEEEEvT0_T1_.private_seg_size)
	.set _ZN2at6native27unrolled_elementwise_kernelIZZZNS0_12_GLOBAL__N_130modified_bessel_i1_kernel_cudaERNS_18TensorIteratorBaseEENKUlvE_clEvENKUlvE_clEvEUldE_St5arrayIPcLm2EELi4E23TrivialOffsetCalculatorILi1EjESC_NS0_6memory15LoadWithoutCastENSD_16StoreWithoutCastEEEviT_T0_T2_T3_T4_T5_.uses_vcc, or(1, .L_ZN2at6native25elementwise_kernel_helperILb0EZZZNS0_12_GLOBAL__N_130modified_bessel_i1_kernel_cudaERNS_18TensorIteratorBaseEENKUlvE_clEvENKUlvE_clEvEUldE_NS0_6memory8policies11unroll_baseILi256ESt5arrayIPcLm2EE23TrivialOffsetCalculatorILi1EjESF_NS8_15LoadWithoutCastENS8_16StoreWithoutCastELi4ELi1EEEEEvT0_T1_.uses_vcc)
	.set _ZN2at6native27unrolled_elementwise_kernelIZZZNS0_12_GLOBAL__N_130modified_bessel_i1_kernel_cudaERNS_18TensorIteratorBaseEENKUlvE_clEvENKUlvE_clEvEUldE_St5arrayIPcLm2EELi4E23TrivialOffsetCalculatorILi1EjESC_NS0_6memory15LoadWithoutCastENSD_16StoreWithoutCastEEEviT_T0_T2_T3_T4_T5_.uses_flat_scratch, or(0, .L_ZN2at6native25elementwise_kernel_helperILb0EZZZNS0_12_GLOBAL__N_130modified_bessel_i1_kernel_cudaERNS_18TensorIteratorBaseEENKUlvE_clEvENKUlvE_clEvEUldE_NS0_6memory8policies11unroll_baseILi256ESt5arrayIPcLm2EE23TrivialOffsetCalculatorILi1EjESF_NS8_15LoadWithoutCastENS8_16StoreWithoutCastELi4ELi1EEEEEvT0_T1_.uses_flat_scratch)
	.set _ZN2at6native27unrolled_elementwise_kernelIZZZNS0_12_GLOBAL__N_130modified_bessel_i1_kernel_cudaERNS_18TensorIteratorBaseEENKUlvE_clEvENKUlvE_clEvEUldE_St5arrayIPcLm2EELi4E23TrivialOffsetCalculatorILi1EjESC_NS0_6memory15LoadWithoutCastENSD_16StoreWithoutCastEEEviT_T0_T2_T3_T4_T5_.has_dyn_sized_stack, or(0, .L_ZN2at6native25elementwise_kernel_helperILb0EZZZNS0_12_GLOBAL__N_130modified_bessel_i1_kernel_cudaERNS_18TensorIteratorBaseEENKUlvE_clEvENKUlvE_clEvEUldE_NS0_6memory8policies11unroll_baseILi256ESt5arrayIPcLm2EE23TrivialOffsetCalculatorILi1EjESF_NS8_15LoadWithoutCastENS8_16StoreWithoutCastELi4ELi1EEEEEvT0_T1_.has_dyn_sized_stack)
	.set _ZN2at6native27unrolled_elementwise_kernelIZZZNS0_12_GLOBAL__N_130modified_bessel_i1_kernel_cudaERNS_18TensorIteratorBaseEENKUlvE_clEvENKUlvE_clEvEUldE_St5arrayIPcLm2EELi4E23TrivialOffsetCalculatorILi1EjESC_NS0_6memory15LoadWithoutCastENSD_16StoreWithoutCastEEEviT_T0_T2_T3_T4_T5_.has_recursion, or(0, .L_ZN2at6native25elementwise_kernel_helperILb0EZZZNS0_12_GLOBAL__N_130modified_bessel_i1_kernel_cudaERNS_18TensorIteratorBaseEENKUlvE_clEvENKUlvE_clEvEUldE_NS0_6memory8policies11unroll_baseILi256ESt5arrayIPcLm2EE23TrivialOffsetCalculatorILi1EjESF_NS8_15LoadWithoutCastENS8_16StoreWithoutCastELi4ELi1EEEEEvT0_T1_.has_recursion)
	.set _ZN2at6native27unrolled_elementwise_kernelIZZZNS0_12_GLOBAL__N_130modified_bessel_i1_kernel_cudaERNS_18TensorIteratorBaseEENKUlvE_clEvENKUlvE_clEvEUldE_St5arrayIPcLm2EELi4E23TrivialOffsetCalculatorILi1EjESC_NS0_6memory15LoadWithoutCastENSD_16StoreWithoutCastEEEviT_T0_T2_T3_T4_T5_.has_indirect_call, or(0, .L_ZN2at6native25elementwise_kernel_helperILb0EZZZNS0_12_GLOBAL__N_130modified_bessel_i1_kernel_cudaERNS_18TensorIteratorBaseEENKUlvE_clEvENKUlvE_clEvEUldE_NS0_6memory8policies11unroll_baseILi256ESt5arrayIPcLm2EE23TrivialOffsetCalculatorILi1EjESF_NS8_15LoadWithoutCastENS8_16StoreWithoutCastELi4ELi1EEEEEvT0_T1_.has_indirect_call)
	.section	.AMDGPU.csdata,"",@progbits
; Kernel info:
; codeLenInByte = 124
; TotalNumSgprs: 35
; NumVgprs: 32
; ScratchSize: 0
; MemoryBound: 0
; FloatMode: 240
; IeeeMode: 1
; LDSByteSize: 0 bytes/workgroup (compile time only)
; SGPRBlocks: 0
; VGPRBlocks: 1
; NumSGPRsForWavesPerEU: 35
; NumVGPRsForWavesPerEU: 32
; NamedBarCnt: 0
; Occupancy: 16
; WaveLimiterHint : 0
; COMPUTE_PGM_RSRC2:SCRATCH_EN: 0
; COMPUTE_PGM_RSRC2:USER_SGPR: 2
; COMPUTE_PGM_RSRC2:TRAP_HANDLER: 0
; COMPUTE_PGM_RSRC2:TGID_X_EN: 1
; COMPUTE_PGM_RSRC2:TGID_Y_EN: 0
; COMPUTE_PGM_RSRC2:TGID_Z_EN: 0
; COMPUTE_PGM_RSRC2:TIDIG_COMP_CNT: 0
	.section	.text._ZN2at6native32elementwise_kernel_manual_unrollILi128ELi4EZNS0_22gpu_kernel_impl_nocastIZZZNS0_12_GLOBAL__N_130modified_bessel_i1_kernel_cudaERNS_18TensorIteratorBaseEENKUlvE_clEvENKUlvE_clEvEUldE_EEvS5_RKT_EUlibE_EEviT1_,"axG",@progbits,_ZN2at6native32elementwise_kernel_manual_unrollILi128ELi4EZNS0_22gpu_kernel_impl_nocastIZZZNS0_12_GLOBAL__N_130modified_bessel_i1_kernel_cudaERNS_18TensorIteratorBaseEENKUlvE_clEvENKUlvE_clEvEUldE_EEvS5_RKT_EUlibE_EEviT1_,comdat
	.globl	_ZN2at6native32elementwise_kernel_manual_unrollILi128ELi4EZNS0_22gpu_kernel_impl_nocastIZZZNS0_12_GLOBAL__N_130modified_bessel_i1_kernel_cudaERNS_18TensorIteratorBaseEENKUlvE_clEvENKUlvE_clEvEUldE_EEvS5_RKT_EUlibE_EEviT1_ ; -- Begin function _ZN2at6native32elementwise_kernel_manual_unrollILi128ELi4EZNS0_22gpu_kernel_impl_nocastIZZZNS0_12_GLOBAL__N_130modified_bessel_i1_kernel_cudaERNS_18TensorIteratorBaseEENKUlvE_clEvENKUlvE_clEvEUldE_EEvS5_RKT_EUlibE_EEviT1_
	.p2align	8
	.type	_ZN2at6native32elementwise_kernel_manual_unrollILi128ELi4EZNS0_22gpu_kernel_impl_nocastIZZZNS0_12_GLOBAL__N_130modified_bessel_i1_kernel_cudaERNS_18TensorIteratorBaseEENKUlvE_clEvENKUlvE_clEvEUldE_EEvS5_RKT_EUlibE_EEviT1_,@function
_ZN2at6native32elementwise_kernel_manual_unrollILi128ELi4EZNS0_22gpu_kernel_impl_nocastIZZZNS0_12_GLOBAL__N_130modified_bessel_i1_kernel_cudaERNS_18TensorIteratorBaseEENKUlvE_clEvENKUlvE_clEvEUldE_EEvS5_RKT_EUlibE_EEviT1_: ; @_ZN2at6native32elementwise_kernel_manual_unrollILi128ELi4EZNS0_22gpu_kernel_impl_nocastIZZZNS0_12_GLOBAL__N_130modified_bessel_i1_kernel_cudaERNS_18TensorIteratorBaseEENKUlvE_clEvENKUlvE_clEvEUldE_EEvS5_RKT_EUlibE_EEviT1_
; %bb.0:
	s_clause 0x1
	s_load_b32 s28, s[0:1], 0x8
	s_load_b32 s34, s[0:1], 0x0
	s_bfe_u32 s2, ttmp6, 0x4000c
	s_and_b32 s3, ttmp6, 15
	s_add_co_i32 s2, s2, 1
	s_getreg_b32 s4, hwreg(HW_REG_IB_STS2, 6, 4)
	s_mul_i32 s2, ttmp9, s2
	s_mov_b32 s17, 0
	s_add_co_i32 s3, s3, s2
	s_cmp_eq_u32 s4, 0
	s_cselect_b32 s2, ttmp9, s3
	s_delay_alu instid0(SALU_CYCLE_1) | instskip(SKIP_3) | instid1(VALU_DEP_1)
	v_lshl_or_b32 v0, s2, 9, v0
	s_add_nc_u64 s[2:3], s[0:1], 8
	s_wait_xcnt 0x0
	s_mov_b32 s0, exec_lo
	v_or_b32_e32 v8, 0x180, v0
	s_wait_kmcnt 0x0
	s_add_co_i32 s29, s28, -1
	s_delay_alu instid0(SALU_CYCLE_1)
	s_cmp_gt_u32 s29, 1
	s_cselect_b32 s30, -1, 0
	v_cmpx_le_i32_e64 s34, v8
	s_xor_b32 s31, exec_lo, s0
	s_cbranch_execz .LBB7_7
; %bb.1:
	s_clause 0x3
	s_load_b128 s[8:11], s[2:3], 0x4
	s_load_b64 s[0:1], s[2:3], 0x14
	s_load_b128 s[12:15], s[2:3], 0xc4
	s_load_b128 s[4:7], s[2:3], 0x148
	s_cmp_lg_u32 s28, 0
	s_add_nc_u64 s[20:21], s[2:3], 0xc4
	s_cselect_b32 s36, -1, 0
	s_min_u32 s35, s29, 15
	s_cmp_gt_u32 s28, 1
	s_mov_b32 s19, s17
	s_cselect_b32 s33, -1, 0
	s_wait_kmcnt 0x0
	s_mov_b32 s16, s9
	s_mov_b32 s18, s0
	s_mov_b32 s9, exec_lo
	v_cmpx_gt_i32_e64 s34, v0
	s_cbranch_execz .LBB7_14
; %bb.2:
	s_and_not1_b32 vcc_lo, exec_lo, s30
	s_cbranch_vccnz .LBB7_21
; %bb.3:
	s_and_not1_b32 vcc_lo, exec_lo, s36
	s_cbranch_vccnz .LBB7_121
; %bb.4:
	s_add_co_i32 s0, s35, 1
	s_cmp_eq_u32 s29, 2
	s_cbranch_scc1 .LBB7_123
; %bb.5:
	v_dual_mov_b32 v2, 0 :: v_dual_mov_b32 v3, 0
	v_mov_b32_e32 v1, v0
	s_and_b32 s22, s0, 28
	s_mov_b32 s23, 0
	s_mov_b64 s[24:25], s[2:3]
	s_mov_b64 s[26:27], s[20:21]
.LBB7_6:                                ; =>This Inner Loop Header: Depth=1
	s_clause 0x1
	s_load_b256 s[40:47], s[24:25], 0x4
	s_load_b128 s[56:59], s[24:25], 0x24
	s_load_b256 s[48:55], s[26:27], 0x0
	s_add_co_i32 s23, s23, 4
	s_wait_xcnt 0x0
	s_add_nc_u64 s[24:25], s[24:25], 48
	s_cmp_lg_u32 s22, s23
	s_add_nc_u64 s[26:27], s[26:27], 32
	s_wait_kmcnt 0x0
	v_mul_hi_u32 v4, s41, v1
	s_delay_alu instid0(VALU_DEP_1) | instskip(NEXT) | instid1(VALU_DEP_1)
	v_add_nc_u32_e32 v4, v1, v4
	v_lshrrev_b32_e32 v4, s42, v4
	s_delay_alu instid0(VALU_DEP_1) | instskip(NEXT) | instid1(VALU_DEP_1)
	v_mul_hi_u32 v5, s44, v4
	v_add_nc_u32_e32 v5, v4, v5
	s_delay_alu instid0(VALU_DEP_1) | instskip(NEXT) | instid1(VALU_DEP_1)
	v_lshrrev_b32_e32 v5, s45, v5
	v_mul_hi_u32 v6, s47, v5
	s_delay_alu instid0(VALU_DEP_1) | instskip(SKIP_1) | instid1(VALU_DEP_1)
	v_add_nc_u32_e32 v6, v5, v6
	v_mul_lo_u32 v7, v4, s40
	v_sub_nc_u32_e32 v1, v1, v7
	v_mul_lo_u32 v7, v5, s43
	s_delay_alu instid0(VALU_DEP_4) | instskip(NEXT) | instid1(VALU_DEP_3)
	v_lshrrev_b32_e32 v6, s56, v6
	v_mad_u32 v3, v1, s49, v3
	v_mad_u32 v1, v1, s48, v2
	s_delay_alu instid0(VALU_DEP_4) | instskip(NEXT) | instid1(VALU_DEP_4)
	v_sub_nc_u32_e32 v2, v4, v7
	v_mul_hi_u32 v8, s58, v6
	v_mul_lo_u32 v4, v6, s46
	s_delay_alu instid0(VALU_DEP_3) | instskip(SKIP_1) | instid1(VALU_DEP_4)
	v_mad_u32 v3, v2, s51, v3
	v_mad_u32 v2, v2, s50, v1
	v_add_nc_u32_e32 v7, v6, v8
	s_delay_alu instid0(VALU_DEP_1) | instskip(NEXT) | instid1(VALU_DEP_1)
	v_dual_sub_nc_u32 v4, v5, v4 :: v_dual_lshrrev_b32 v1, s59, v7
	v_mad_u32 v3, v4, s53, v3
	s_delay_alu instid0(VALU_DEP_4) | instskip(NEXT) | instid1(VALU_DEP_3)
	v_mad_u32 v2, v4, s52, v2
	v_mul_lo_u32 v5, v1, s57
	s_delay_alu instid0(VALU_DEP_1) | instskip(NEXT) | instid1(VALU_DEP_1)
	v_sub_nc_u32_e32 v4, v6, v5
	v_mad_u32 v3, v4, s55, v3
	s_delay_alu instid0(VALU_DEP_4)
	v_mad_u32 v2, v4, s54, v2
	s_cbranch_scc1 .LBB7_6
	s_branch .LBB7_124
.LBB7_7:
	s_and_not1_saveexec_b32 s0, s31
	s_cbranch_execz .LBB7_173
.LBB7_8:
	v_cndmask_b32_e64 v6, 0, 1, s30
	s_and_not1_b32 vcc_lo, exec_lo, s30
	s_cbranch_vccnz .LBB7_20
; %bb.9:
	s_cmp_lg_u32 s28, 0
	s_mov_b32 s8, 0
	s_cbranch_scc0 .LBB7_23
; %bb.10:
	s_min_u32 s1, s29, 15
	s_delay_alu instid0(SALU_CYCLE_1)
	s_add_co_i32 s1, s1, 1
	s_cmp_eq_u32 s29, 2
	s_cbranch_scc1 .LBB7_24
; %bb.11:
	v_dual_mov_b32 v2, 0 :: v_dual_mov_b32 v3, 0
	v_mov_b32_e32 v1, v0
	s_and_b32 s0, s1, 28
	s_add_nc_u64 s[4:5], s[2:3], 0xc4
	s_mov_b32 s9, 0
	s_mov_b64 s[6:7], s[2:3]
.LBB7_12:                               ; =>This Inner Loop Header: Depth=1
	s_clause 0x1
	s_load_b256 s[12:19], s[6:7], 0x4
	s_load_b128 s[36:39], s[6:7], 0x24
	s_load_b256 s[20:27], s[4:5], 0x0
	s_add_co_i32 s9, s9, 4
	s_wait_xcnt 0x0
	s_add_nc_u64 s[6:7], s[6:7], 48
	s_cmp_lg_u32 s0, s9
	s_add_nc_u64 s[4:5], s[4:5], 32
	s_wait_kmcnt 0x0
	v_mul_hi_u32 v4, s13, v1
	s_delay_alu instid0(VALU_DEP_1) | instskip(NEXT) | instid1(VALU_DEP_1)
	v_add_nc_u32_e32 v4, v1, v4
	v_lshrrev_b32_e32 v4, s14, v4
	s_delay_alu instid0(VALU_DEP_1) | instskip(NEXT) | instid1(VALU_DEP_1)
	v_mul_hi_u32 v5, s16, v4
	v_add_nc_u32_e32 v5, v4, v5
	s_delay_alu instid0(VALU_DEP_1) | instskip(NEXT) | instid1(VALU_DEP_1)
	v_lshrrev_b32_e32 v5, s17, v5
	v_mul_hi_u32 v7, s19, v5
	s_delay_alu instid0(VALU_DEP_1) | instskip(SKIP_1) | instid1(VALU_DEP_2)
	v_add_nc_u32_e32 v7, v5, v7
	v_mul_lo_u32 v9, v4, s12
	v_lshrrev_b32_e32 v7, s36, v7
	s_delay_alu instid0(VALU_DEP_1) | instskip(NEXT) | instid1(VALU_DEP_3)
	v_mul_hi_u32 v10, s38, v7
	v_sub_nc_u32_e32 v1, v1, v9
	v_mul_lo_u32 v9, v5, s15
	s_delay_alu instid0(VALU_DEP_2) | instskip(SKIP_1) | instid1(VALU_DEP_3)
	v_mad_u32 v3, v1, s21, v3
	v_mad_u32 v1, v1, s20, v2
	v_sub_nc_u32_e32 v2, v4, v9
	v_mul_lo_u32 v4, v7, s18
	v_add_nc_u32_e32 v9, v7, v10
	s_delay_alu instid0(VALU_DEP_3) | instskip(SKIP_1) | instid1(VALU_DEP_3)
	v_mad_u32 v3, v2, s23, v3
	v_mad_u32 v2, v2, s22, v1
	v_dual_sub_nc_u32 v4, v5, v4 :: v_dual_lshrrev_b32 v1, s39, v9
	s_delay_alu instid0(VALU_DEP_1) | instskip(NEXT) | instid1(VALU_DEP_2)
	v_mad_u32 v3, v4, s25, v3
	v_mul_lo_u32 v5, v1, s37
	s_delay_alu instid0(VALU_DEP_4) | instskip(NEXT) | instid1(VALU_DEP_2)
	v_mad_u32 v2, v4, s24, v2
	v_sub_nc_u32_e32 v4, v7, v5
	s_delay_alu instid0(VALU_DEP_1) | instskip(NEXT) | instid1(VALU_DEP_3)
	v_mad_u32 v3, v4, s27, v3
	v_mad_u32 v2, v4, s26, v2
	s_cbranch_scc1 .LBB7_12
; %bb.13:
	s_and_b32 s6, s1, 3
	s_mov_b32 s1, 0
	s_cmp_eq_u32 s6, 0
	s_cbranch_scc0 .LBB7_25
	s_branch .LBB7_27
.LBB7_14:
	s_or_b32 exec_lo, exec_lo, s9
	s_delay_alu instid0(SALU_CYCLE_1)
	s_mov_b32 s9, exec_lo
	v_cmpx_gt_i32_e64 s34, v0
	s_cbranch_execz .LBB7_143
.LBB7_15:
	s_and_not1_b32 vcc_lo, exec_lo, s30
	s_cbranch_vccnz .LBB7_22
; %bb.16:
	s_and_not1_b32 vcc_lo, exec_lo, s36
	s_cbranch_vccnz .LBB7_122
; %bb.17:
	s_add_co_i32 s0, s35, 1
	s_cmp_eq_u32 s29, 2
	s_cbranch_scc1 .LBB7_151
; %bb.18:
	v_dual_mov_b32 v2, 0 :: v_dual_mov_b32 v3, 0
	v_mov_b32_e32 v1, v0
	s_and_b32 s22, s0, 28
	s_mov_b32 s23, 0
	s_mov_b64 s[24:25], s[2:3]
	s_mov_b64 s[26:27], s[20:21]
.LBB7_19:                               ; =>This Inner Loop Header: Depth=1
	s_clause 0x1
	s_load_b256 s[40:47], s[24:25], 0x4
	s_load_b128 s[56:59], s[24:25], 0x24
	s_load_b256 s[48:55], s[26:27], 0x0
	s_add_co_i32 s23, s23, 4
	s_wait_xcnt 0x0
	s_add_nc_u64 s[24:25], s[24:25], 48
	s_cmp_eq_u32 s22, s23
	s_add_nc_u64 s[26:27], s[26:27], 32
	s_wait_kmcnt 0x0
	v_mul_hi_u32 v4, s41, v1
	s_delay_alu instid0(VALU_DEP_1) | instskip(NEXT) | instid1(VALU_DEP_1)
	v_add_nc_u32_e32 v4, v1, v4
	v_lshrrev_b32_e32 v4, s42, v4
	s_delay_alu instid0(VALU_DEP_1) | instskip(NEXT) | instid1(VALU_DEP_1)
	v_mul_hi_u32 v5, s44, v4
	v_add_nc_u32_e32 v5, v4, v5
	s_delay_alu instid0(VALU_DEP_1) | instskip(NEXT) | instid1(VALU_DEP_1)
	v_lshrrev_b32_e32 v5, s45, v5
	v_mul_hi_u32 v6, s47, v5
	s_delay_alu instid0(VALU_DEP_1) | instskip(SKIP_1) | instid1(VALU_DEP_1)
	v_add_nc_u32_e32 v6, v5, v6
	v_mul_lo_u32 v7, v4, s40
	v_sub_nc_u32_e32 v1, v1, v7
	v_mul_lo_u32 v7, v5, s43
	s_delay_alu instid0(VALU_DEP_4) | instskip(NEXT) | instid1(VALU_DEP_3)
	v_lshrrev_b32_e32 v6, s56, v6
	v_mad_u32 v3, v1, s49, v3
	v_mad_u32 v1, v1, s48, v2
	s_delay_alu instid0(VALU_DEP_4) | instskip(NEXT) | instid1(VALU_DEP_4)
	v_sub_nc_u32_e32 v2, v4, v7
	v_mul_hi_u32 v8, s58, v6
	v_mul_lo_u32 v4, v6, s46
	s_delay_alu instid0(VALU_DEP_3) | instskip(SKIP_1) | instid1(VALU_DEP_4)
	v_mad_u32 v3, v2, s51, v3
	v_mad_u32 v2, v2, s50, v1
	v_add_nc_u32_e32 v7, v6, v8
	s_delay_alu instid0(VALU_DEP_1) | instskip(NEXT) | instid1(VALU_DEP_1)
	v_dual_sub_nc_u32 v4, v5, v4 :: v_dual_lshrrev_b32 v1, s59, v7
	v_mad_u32 v3, v4, s53, v3
	s_delay_alu instid0(VALU_DEP_4) | instskip(NEXT) | instid1(VALU_DEP_3)
	v_mad_u32 v2, v4, s52, v2
	v_mul_lo_u32 v5, v1, s57
	s_delay_alu instid0(VALU_DEP_1) | instskip(NEXT) | instid1(VALU_DEP_1)
	v_sub_nc_u32_e32 v4, v6, v5
	v_mad_u32 v3, v4, s55, v3
	s_delay_alu instid0(VALU_DEP_4)
	v_mad_u32 v2, v4, s54, v2
	s_cbranch_scc0 .LBB7_19
	s_branch .LBB7_152
.LBB7_20:
	s_mov_b32 s8, -1
                                        ; implicit-def: $vgpr3
	s_branch .LBB7_27
.LBB7_21:
                                        ; implicit-def: $vgpr3
	s_branch .LBB7_128
.LBB7_22:
                                        ; implicit-def: $vgpr3
	s_branch .LBB7_156
.LBB7_23:
	v_dual_mov_b32 v3, 0 :: v_dual_mov_b32 v2, 0
	s_branch .LBB7_27
.LBB7_24:
	v_mov_b64_e32 v[2:3], 0
	v_mov_b32_e32 v1, v0
	s_mov_b32 s0, 0
	s_and_b32 s6, s1, 3
	s_mov_b32 s1, 0
	s_cmp_eq_u32 s6, 0
	s_cbranch_scc1 .LBB7_27
.LBB7_25:
	s_lshl_b32 s4, s0, 3
	s_mov_b32 s5, s1
	s_mul_u64 s[10:11], s[0:1], 12
	s_add_nc_u64 s[4:5], s[2:3], s[4:5]
	s_delay_alu instid0(SALU_CYCLE_1)
	s_add_nc_u64 s[0:1], s[4:5], 0xc4
	s_add_nc_u64 s[4:5], s[2:3], s[10:11]
.LBB7_26:                               ; =>This Inner Loop Header: Depth=1
	s_load_b96 s[12:14], s[4:5], 0x4
	s_load_b64 s[10:11], s[0:1], 0x0
	s_add_co_i32 s6, s6, -1
	s_wait_xcnt 0x0
	s_add_nc_u64 s[4:5], s[4:5], 12
	s_cmp_lg_u32 s6, 0
	s_add_nc_u64 s[0:1], s[0:1], 8
	s_wait_kmcnt 0x0
	v_mul_hi_u32 v4, s13, v1
	s_delay_alu instid0(VALU_DEP_1) | instskip(NEXT) | instid1(VALU_DEP_1)
	v_add_nc_u32_e32 v4, v1, v4
	v_lshrrev_b32_e32 v4, s14, v4
	s_delay_alu instid0(VALU_DEP_1) | instskip(NEXT) | instid1(VALU_DEP_1)
	v_mul_lo_u32 v5, v4, s12
	v_sub_nc_u32_e32 v1, v1, v5
	s_delay_alu instid0(VALU_DEP_1)
	v_mad_u32 v3, v1, s11, v3
	v_mad_u32 v2, v1, s10, v2
	v_mov_b32_e32 v1, v4
	s_cbranch_scc1 .LBB7_26
.LBB7_27:
	s_and_not1_b32 vcc_lo, exec_lo, s8
	s_cbranch_vccnz .LBB7_30
; %bb.28:
	s_clause 0x1
	s_load_b96 s[4:6], s[2:3], 0x4
	s_load_b64 s[0:1], s[2:3], 0xc4
	s_cmp_lt_u32 s28, 2
	s_wait_kmcnt 0x0
	v_mul_hi_u32 v1, s5, v0
	s_delay_alu instid0(VALU_DEP_1) | instskip(NEXT) | instid1(VALU_DEP_1)
	v_add_nc_u32_e32 v1, v0, v1
	v_lshrrev_b32_e32 v1, s6, v1
	s_delay_alu instid0(VALU_DEP_1) | instskip(NEXT) | instid1(VALU_DEP_1)
	v_mul_lo_u32 v2, v1, s4
	v_sub_nc_u32_e32 v2, v0, v2
	s_delay_alu instid0(VALU_DEP_1)
	v_mul_lo_u32 v3, v2, s1
	v_mul_lo_u32 v2, v2, s0
	s_cbranch_scc1 .LBB7_30
; %bb.29:
	s_clause 0x1
	s_load_b96 s[4:6], s[2:3], 0x10
	s_load_b64 s[0:1], s[2:3], 0xcc
	s_wait_kmcnt 0x0
	v_mul_hi_u32 v4, s5, v1
	s_delay_alu instid0(VALU_DEP_1) | instskip(NEXT) | instid1(VALU_DEP_1)
	v_add_nc_u32_e32 v4, v1, v4
	v_lshrrev_b32_e32 v4, s6, v4
	s_delay_alu instid0(VALU_DEP_1) | instskip(NEXT) | instid1(VALU_DEP_1)
	v_mul_lo_u32 v4, v4, s4
	v_sub_nc_u32_e32 v1, v1, v4
	s_delay_alu instid0(VALU_DEP_1)
	v_mad_u32 v2, v1, s0, v2
	v_mad_u32 v3, v1, s1, v3
.LBB7_30:
	v_cmp_ne_u32_e32 vcc_lo, 1, v6
	v_add_nc_u32_e32 v1, 0x80, v0
	s_cbranch_vccnz .LBB7_36
; %bb.31:
	s_cmp_lg_u32 s28, 0
	s_mov_b32 s8, 0
	s_cbranch_scc0 .LBB7_37
; %bb.32:
	s_min_u32 s1, s29, 15
	s_delay_alu instid0(SALU_CYCLE_1)
	s_add_co_i32 s1, s1, 1
	s_cmp_eq_u32 s29, 2
	s_cbranch_scc1 .LBB7_38
; %bb.33:
	v_dual_mov_b32 v4, 0 :: v_dual_mov_b32 v5, 0
	v_mov_b32_e32 v7, v1
	s_and_b32 s0, s1, 28
	s_add_nc_u64 s[4:5], s[2:3], 0xc4
	s_mov_b32 s9, 0
	s_mov_b64 s[6:7], s[2:3]
.LBB7_34:                               ; =>This Inner Loop Header: Depth=1
	s_clause 0x1
	s_load_b256 s[12:19], s[6:7], 0x4
	s_load_b128 s[36:39], s[6:7], 0x24
	s_load_b256 s[20:27], s[4:5], 0x0
	s_add_co_i32 s9, s9, 4
	s_wait_xcnt 0x0
	s_add_nc_u64 s[6:7], s[6:7], 48
	s_cmp_lg_u32 s0, s9
	s_add_nc_u64 s[4:5], s[4:5], 32
	s_wait_kmcnt 0x0
	v_mul_hi_u32 v9, s13, v7
	s_delay_alu instid0(VALU_DEP_1) | instskip(NEXT) | instid1(VALU_DEP_1)
	v_add_nc_u32_e32 v9, v7, v9
	v_lshrrev_b32_e32 v9, s14, v9
	s_delay_alu instid0(VALU_DEP_1) | instskip(NEXT) | instid1(VALU_DEP_1)
	v_mul_hi_u32 v10, s16, v9
	v_add_nc_u32_e32 v10, v9, v10
	s_delay_alu instid0(VALU_DEP_1) | instskip(NEXT) | instid1(VALU_DEP_1)
	v_lshrrev_b32_e32 v10, s17, v10
	v_mul_hi_u32 v11, s19, v10
	s_delay_alu instid0(VALU_DEP_1) | instskip(SKIP_1) | instid1(VALU_DEP_1)
	v_add_nc_u32_e32 v11, v10, v11
	v_mul_lo_u32 v12, v9, s12
	v_sub_nc_u32_e32 v7, v7, v12
	v_mul_lo_u32 v12, v10, s15
	s_delay_alu instid0(VALU_DEP_4) | instskip(NEXT) | instid1(VALU_DEP_3)
	v_lshrrev_b32_e32 v11, s36, v11
	v_mad_u32 v5, v7, s21, v5
	v_mad_u32 v4, v7, s20, v4
	s_delay_alu instid0(VALU_DEP_4) | instskip(NEXT) | instid1(VALU_DEP_4)
	v_sub_nc_u32_e32 v7, v9, v12
	v_mul_hi_u32 v13, s38, v11
	v_mul_lo_u32 v9, v11, s18
	s_delay_alu instid0(VALU_DEP_3) | instskip(SKIP_1) | instid1(VALU_DEP_4)
	v_mad_u32 v5, v7, s23, v5
	v_mad_u32 v4, v7, s22, v4
	v_add_nc_u32_e32 v12, v11, v13
	s_delay_alu instid0(VALU_DEP_1) | instskip(NEXT) | instid1(VALU_DEP_1)
	v_dual_sub_nc_u32 v9, v10, v9 :: v_dual_lshrrev_b32 v7, s39, v12
	v_mad_u32 v5, v9, s25, v5
	s_delay_alu instid0(VALU_DEP_4) | instskip(NEXT) | instid1(VALU_DEP_3)
	v_mad_u32 v4, v9, s24, v4
	v_mul_lo_u32 v10, v7, s37
	s_delay_alu instid0(VALU_DEP_1) | instskip(NEXT) | instid1(VALU_DEP_1)
	v_sub_nc_u32_e32 v9, v11, v10
	v_mad_u32 v5, v9, s27, v5
	s_delay_alu instid0(VALU_DEP_4)
	v_mad_u32 v4, v9, s26, v4
	s_cbranch_scc1 .LBB7_34
; %bb.35:
	s_and_b32 s6, s1, 3
	s_mov_b32 s1, 0
	s_cmp_eq_u32 s6, 0
	s_cbranch_scc0 .LBB7_39
	s_branch .LBB7_41
.LBB7_36:
	s_mov_b32 s8, -1
                                        ; implicit-def: $vgpr5
	s_branch .LBB7_41
.LBB7_37:
	v_dual_mov_b32 v5, 0 :: v_dual_mov_b32 v4, 0
	s_branch .LBB7_41
.LBB7_38:
	v_mov_b64_e32 v[4:5], 0
	v_mov_b32_e32 v7, v1
	s_mov_b32 s0, 0
	s_and_b32 s6, s1, 3
	s_mov_b32 s1, 0
	s_cmp_eq_u32 s6, 0
	s_cbranch_scc1 .LBB7_41
.LBB7_39:
	s_lshl_b32 s4, s0, 3
	s_mov_b32 s5, s1
	s_mul_u64 s[10:11], s[0:1], 12
	s_add_nc_u64 s[4:5], s[2:3], s[4:5]
	s_delay_alu instid0(SALU_CYCLE_1)
	s_add_nc_u64 s[0:1], s[4:5], 0xc4
	s_add_nc_u64 s[4:5], s[2:3], s[10:11]
.LBB7_40:                               ; =>This Inner Loop Header: Depth=1
	s_load_b96 s[12:14], s[4:5], 0x4
	s_load_b64 s[10:11], s[0:1], 0x0
	s_add_co_i32 s6, s6, -1
	s_wait_xcnt 0x0
	s_add_nc_u64 s[4:5], s[4:5], 12
	s_cmp_lg_u32 s6, 0
	s_add_nc_u64 s[0:1], s[0:1], 8
	s_wait_kmcnt 0x0
	v_mul_hi_u32 v9, s13, v7
	s_delay_alu instid0(VALU_DEP_1) | instskip(NEXT) | instid1(VALU_DEP_1)
	v_add_nc_u32_e32 v9, v7, v9
	v_lshrrev_b32_e32 v9, s14, v9
	s_delay_alu instid0(VALU_DEP_1) | instskip(NEXT) | instid1(VALU_DEP_1)
	v_mul_lo_u32 v10, v9, s12
	v_sub_nc_u32_e32 v7, v7, v10
	s_delay_alu instid0(VALU_DEP_1)
	v_mad_u32 v5, v7, s11, v5
	v_mad_u32 v4, v7, s10, v4
	v_mov_b32_e32 v7, v9
	s_cbranch_scc1 .LBB7_40
.LBB7_41:
	s_and_not1_b32 vcc_lo, exec_lo, s8
	s_cbranch_vccnz .LBB7_44
; %bb.42:
	s_clause 0x1
	s_load_b96 s[4:6], s[2:3], 0x4
	s_load_b64 s[0:1], s[2:3], 0xc4
	s_cmp_lt_u32 s28, 2
	s_wait_kmcnt 0x0
	v_mul_hi_u32 v4, s5, v1
	s_delay_alu instid0(VALU_DEP_1) | instskip(NEXT) | instid1(VALU_DEP_1)
	v_add_nc_u32_e32 v4, v1, v4
	v_lshrrev_b32_e32 v7, s6, v4
	s_delay_alu instid0(VALU_DEP_1) | instskip(NEXT) | instid1(VALU_DEP_1)
	v_mul_lo_u32 v4, v7, s4
	v_sub_nc_u32_e32 v1, v1, v4
	s_delay_alu instid0(VALU_DEP_1)
	v_mul_lo_u32 v5, v1, s1
	v_mul_lo_u32 v4, v1, s0
	s_cbranch_scc1 .LBB7_44
; %bb.43:
	s_clause 0x1
	s_load_b96 s[4:6], s[2:3], 0x10
	s_load_b64 s[0:1], s[2:3], 0xcc
	s_wait_kmcnt 0x0
	v_mul_hi_u32 v1, s5, v7
	s_delay_alu instid0(VALU_DEP_1) | instskip(NEXT) | instid1(VALU_DEP_1)
	v_add_nc_u32_e32 v1, v7, v1
	v_lshrrev_b32_e32 v1, s6, v1
	s_delay_alu instid0(VALU_DEP_1) | instskip(NEXT) | instid1(VALU_DEP_1)
	v_mul_lo_u32 v1, v1, s4
	v_sub_nc_u32_e32 v1, v7, v1
	s_delay_alu instid0(VALU_DEP_1)
	v_mad_u32 v4, v1, s0, v4
	v_mad_u32 v5, v1, s1, v5
.LBB7_44:
	v_cmp_ne_u32_e32 vcc_lo, 1, v6
	v_add_nc_u32_e32 v7, 0x100, v0
	s_cbranch_vccnz .LBB7_50
; %bb.45:
	s_cmp_lg_u32 s28, 0
	s_mov_b32 s8, 0
	s_cbranch_scc0 .LBB7_51
; %bb.46:
	s_min_u32 s1, s29, 15
	s_delay_alu instid0(SALU_CYCLE_1)
	s_add_co_i32 s1, s1, 1
	s_cmp_eq_u32 s29, 2
	s_cbranch_scc1 .LBB7_52
; %bb.47:
	v_dual_mov_b32 v0, 0 :: v_dual_mov_b32 v1, 0
	v_mov_b32_e32 v9, v7
	s_and_b32 s0, s1, 28
	s_add_nc_u64 s[4:5], s[2:3], 0xc4
	s_mov_b32 s9, 0
	s_mov_b64 s[6:7], s[2:3]
.LBB7_48:                               ; =>This Inner Loop Header: Depth=1
	s_clause 0x1
	s_load_b256 s[12:19], s[6:7], 0x4
	s_load_b128 s[36:39], s[6:7], 0x24
	s_load_b256 s[20:27], s[4:5], 0x0
	s_add_co_i32 s9, s9, 4
	s_wait_xcnt 0x0
	s_add_nc_u64 s[6:7], s[6:7], 48
	s_cmp_lg_u32 s0, s9
	s_add_nc_u64 s[4:5], s[4:5], 32
	s_wait_kmcnt 0x0
	v_mul_hi_u32 v10, s13, v9
	s_delay_alu instid0(VALU_DEP_1) | instskip(NEXT) | instid1(VALU_DEP_1)
	v_add_nc_u32_e32 v10, v9, v10
	v_lshrrev_b32_e32 v10, s14, v10
	s_delay_alu instid0(VALU_DEP_1) | instskip(NEXT) | instid1(VALU_DEP_1)
	v_mul_hi_u32 v11, s16, v10
	v_add_nc_u32_e32 v11, v10, v11
	s_delay_alu instid0(VALU_DEP_1) | instskip(NEXT) | instid1(VALU_DEP_1)
	v_lshrrev_b32_e32 v11, s17, v11
	v_mul_hi_u32 v12, s19, v11
	s_delay_alu instid0(VALU_DEP_1) | instskip(SKIP_1) | instid1(VALU_DEP_1)
	v_add_nc_u32_e32 v12, v11, v12
	v_mul_lo_u32 v13, v10, s12
	v_sub_nc_u32_e32 v9, v9, v13
	v_mul_lo_u32 v13, v11, s15
	s_delay_alu instid0(VALU_DEP_4) | instskip(NEXT) | instid1(VALU_DEP_3)
	v_lshrrev_b32_e32 v12, s36, v12
	v_mad_u32 v1, v9, s21, v1
	v_mad_u32 v0, v9, s20, v0
	s_delay_alu instid0(VALU_DEP_4) | instskip(NEXT) | instid1(VALU_DEP_4)
	v_sub_nc_u32_e32 v9, v10, v13
	v_mul_hi_u32 v14, s38, v12
	v_mul_lo_u32 v10, v12, s18
	s_delay_alu instid0(VALU_DEP_3) | instskip(SKIP_1) | instid1(VALU_DEP_4)
	v_mad_u32 v1, v9, s23, v1
	v_mad_u32 v0, v9, s22, v0
	v_add_nc_u32_e32 v13, v12, v14
	s_delay_alu instid0(VALU_DEP_1) | instskip(NEXT) | instid1(VALU_DEP_1)
	v_dual_sub_nc_u32 v10, v11, v10 :: v_dual_lshrrev_b32 v9, s39, v13
	v_mad_u32 v1, v10, s25, v1
	s_delay_alu instid0(VALU_DEP_4) | instskip(NEXT) | instid1(VALU_DEP_3)
	v_mad_u32 v0, v10, s24, v0
	v_mul_lo_u32 v11, v9, s37
	s_delay_alu instid0(VALU_DEP_1) | instskip(NEXT) | instid1(VALU_DEP_1)
	v_sub_nc_u32_e32 v10, v12, v11
	v_mad_u32 v1, v10, s27, v1
	s_delay_alu instid0(VALU_DEP_4)
	v_mad_u32 v0, v10, s26, v0
	s_cbranch_scc1 .LBB7_48
; %bb.49:
	s_and_b32 s6, s1, 3
	s_mov_b32 s1, 0
	s_cmp_eq_u32 s6, 0
	s_cbranch_scc0 .LBB7_53
	s_branch .LBB7_55
.LBB7_50:
	s_mov_b32 s8, -1
                                        ; implicit-def: $vgpr1
	s_branch .LBB7_55
.LBB7_51:
	v_dual_mov_b32 v1, 0 :: v_dual_mov_b32 v0, 0
	s_branch .LBB7_55
.LBB7_52:
	v_mov_b64_e32 v[0:1], 0
	v_mov_b32_e32 v9, v7
	s_mov_b32 s0, 0
	s_and_b32 s6, s1, 3
	s_mov_b32 s1, 0
	s_cmp_eq_u32 s6, 0
	s_cbranch_scc1 .LBB7_55
.LBB7_53:
	s_lshl_b32 s4, s0, 3
	s_mov_b32 s5, s1
	s_mul_u64 s[10:11], s[0:1], 12
	s_add_nc_u64 s[4:5], s[2:3], s[4:5]
	s_delay_alu instid0(SALU_CYCLE_1)
	s_add_nc_u64 s[0:1], s[4:5], 0xc4
	s_add_nc_u64 s[4:5], s[2:3], s[10:11]
.LBB7_54:                               ; =>This Inner Loop Header: Depth=1
	s_load_b96 s[12:14], s[4:5], 0x4
	s_load_b64 s[10:11], s[0:1], 0x0
	s_add_co_i32 s6, s6, -1
	s_wait_xcnt 0x0
	s_add_nc_u64 s[4:5], s[4:5], 12
	s_cmp_lg_u32 s6, 0
	s_add_nc_u64 s[0:1], s[0:1], 8
	s_wait_kmcnt 0x0
	v_mul_hi_u32 v10, s13, v9
	s_delay_alu instid0(VALU_DEP_1) | instskip(NEXT) | instid1(VALU_DEP_1)
	v_add_nc_u32_e32 v10, v9, v10
	v_lshrrev_b32_e32 v10, s14, v10
	s_delay_alu instid0(VALU_DEP_1) | instskip(NEXT) | instid1(VALU_DEP_1)
	v_mul_lo_u32 v11, v10, s12
	v_sub_nc_u32_e32 v9, v9, v11
	s_delay_alu instid0(VALU_DEP_1)
	v_mad_u32 v1, v9, s11, v1
	v_mad_u32 v0, v9, s10, v0
	v_mov_b32_e32 v9, v10
	s_cbranch_scc1 .LBB7_54
.LBB7_55:
	s_and_not1_b32 vcc_lo, exec_lo, s8
	s_cbranch_vccnz .LBB7_58
; %bb.56:
	s_clause 0x1
	s_load_b96 s[4:6], s[2:3], 0x4
	s_load_b64 s[0:1], s[2:3], 0xc4
	s_cmp_lt_u32 s28, 2
	s_wait_kmcnt 0x0
	v_mul_hi_u32 v0, s5, v7
	s_delay_alu instid0(VALU_DEP_1) | instskip(NEXT) | instid1(VALU_DEP_1)
	v_add_nc_u32_e32 v0, v7, v0
	v_lshrrev_b32_e32 v9, s6, v0
	s_delay_alu instid0(VALU_DEP_1) | instskip(NEXT) | instid1(VALU_DEP_1)
	v_mul_lo_u32 v0, v9, s4
	v_sub_nc_u32_e32 v0, v7, v0
	s_delay_alu instid0(VALU_DEP_1)
	v_mul_lo_u32 v1, v0, s1
	v_mul_lo_u32 v0, v0, s0
	s_cbranch_scc1 .LBB7_58
; %bb.57:
	s_clause 0x1
	s_load_b96 s[4:6], s[2:3], 0x10
	s_load_b64 s[0:1], s[2:3], 0xcc
	s_wait_kmcnt 0x0
	v_mul_hi_u32 v7, s5, v9
	s_delay_alu instid0(VALU_DEP_1) | instskip(NEXT) | instid1(VALU_DEP_1)
	v_add_nc_u32_e32 v7, v9, v7
	v_lshrrev_b32_e32 v7, s6, v7
	s_delay_alu instid0(VALU_DEP_1) | instskip(NEXT) | instid1(VALU_DEP_1)
	v_mul_lo_u32 v7, v7, s4
	v_sub_nc_u32_e32 v7, v9, v7
	s_delay_alu instid0(VALU_DEP_1)
	v_mad_u32 v0, v7, s0, v0
	v_mad_u32 v1, v7, s1, v1
.LBB7_58:
	v_cmp_ne_u32_e32 vcc_lo, 1, v6
	s_cbranch_vccnz .LBB7_64
; %bb.59:
	s_cmp_lg_u32 s28, 0
	s_mov_b32 s8, 0
	s_cbranch_scc0 .LBB7_65
; %bb.60:
	s_min_u32 s1, s29, 15
	s_delay_alu instid0(SALU_CYCLE_1)
	s_add_co_i32 s1, s1, 1
	s_cmp_eq_u32 s29, 2
	s_cbranch_scc1 .LBB7_66
; %bb.61:
	v_dual_mov_b32 v6, 0 :: v_dual_mov_b32 v7, 0
	v_mov_b32_e32 v9, v8
	s_and_b32 s0, s1, 28
	s_add_nc_u64 s[4:5], s[2:3], 0xc4
	s_mov_b32 s9, 0
	s_mov_b64 s[6:7], s[2:3]
.LBB7_62:                               ; =>This Inner Loop Header: Depth=1
	s_clause 0x1
	s_load_b256 s[12:19], s[6:7], 0x4
	s_load_b128 s[36:39], s[6:7], 0x24
	s_load_b256 s[20:27], s[4:5], 0x0
	s_add_co_i32 s9, s9, 4
	s_wait_xcnt 0x0
	s_add_nc_u64 s[6:7], s[6:7], 48
	s_cmp_lg_u32 s0, s9
	s_add_nc_u64 s[4:5], s[4:5], 32
	s_wait_kmcnt 0x0
	v_mul_hi_u32 v10, s13, v9
	s_delay_alu instid0(VALU_DEP_1) | instskip(NEXT) | instid1(VALU_DEP_1)
	v_add_nc_u32_e32 v10, v9, v10
	v_lshrrev_b32_e32 v10, s14, v10
	s_delay_alu instid0(VALU_DEP_1) | instskip(NEXT) | instid1(VALU_DEP_1)
	v_mul_hi_u32 v11, s16, v10
	v_add_nc_u32_e32 v11, v10, v11
	s_delay_alu instid0(VALU_DEP_1) | instskip(NEXT) | instid1(VALU_DEP_1)
	v_lshrrev_b32_e32 v11, s17, v11
	v_mul_hi_u32 v12, s19, v11
	s_delay_alu instid0(VALU_DEP_1) | instskip(SKIP_1) | instid1(VALU_DEP_1)
	v_add_nc_u32_e32 v12, v11, v12
	v_mul_lo_u32 v13, v10, s12
	v_sub_nc_u32_e32 v9, v9, v13
	v_mul_lo_u32 v13, v11, s15
	s_delay_alu instid0(VALU_DEP_4) | instskip(NEXT) | instid1(VALU_DEP_3)
	v_lshrrev_b32_e32 v12, s36, v12
	v_mad_u32 v7, v9, s21, v7
	v_mad_u32 v6, v9, s20, v6
	s_delay_alu instid0(VALU_DEP_4) | instskip(NEXT) | instid1(VALU_DEP_4)
	v_sub_nc_u32_e32 v9, v10, v13
	v_mul_hi_u32 v14, s38, v12
	v_mul_lo_u32 v10, v12, s18
	s_delay_alu instid0(VALU_DEP_3) | instskip(SKIP_1) | instid1(VALU_DEP_4)
	v_mad_u32 v7, v9, s23, v7
	v_mad_u32 v6, v9, s22, v6
	v_add_nc_u32_e32 v13, v12, v14
	s_delay_alu instid0(VALU_DEP_1) | instskip(NEXT) | instid1(VALU_DEP_1)
	v_dual_sub_nc_u32 v10, v11, v10 :: v_dual_lshrrev_b32 v9, s39, v13
	v_mad_u32 v7, v10, s25, v7
	s_delay_alu instid0(VALU_DEP_4) | instskip(NEXT) | instid1(VALU_DEP_3)
	v_mad_u32 v6, v10, s24, v6
	v_mul_lo_u32 v11, v9, s37
	s_delay_alu instid0(VALU_DEP_1) | instskip(NEXT) | instid1(VALU_DEP_1)
	v_sub_nc_u32_e32 v10, v12, v11
	v_mad_u32 v7, v10, s27, v7
	s_delay_alu instid0(VALU_DEP_4)
	v_mad_u32 v6, v10, s26, v6
	s_cbranch_scc1 .LBB7_62
; %bb.63:
	s_and_b32 s6, s1, 3
	s_mov_b32 s1, 0
	s_cmp_eq_u32 s6, 0
	s_cbranch_scc0 .LBB7_67
	s_branch .LBB7_69
.LBB7_64:
	s_mov_b32 s8, -1
                                        ; implicit-def: $vgpr7
	s_branch .LBB7_69
.LBB7_65:
	v_dual_mov_b32 v7, 0 :: v_dual_mov_b32 v6, 0
	s_branch .LBB7_69
.LBB7_66:
	v_mov_b64_e32 v[6:7], 0
	v_mov_b32_e32 v9, v8
	s_mov_b32 s0, 0
	s_and_b32 s6, s1, 3
	s_mov_b32 s1, 0
	s_cmp_eq_u32 s6, 0
	s_cbranch_scc1 .LBB7_69
.LBB7_67:
	s_lshl_b32 s4, s0, 3
	s_mov_b32 s5, s1
	s_mul_u64 s[10:11], s[0:1], 12
	s_add_nc_u64 s[4:5], s[2:3], s[4:5]
	s_delay_alu instid0(SALU_CYCLE_1)
	s_add_nc_u64 s[0:1], s[4:5], 0xc4
	s_add_nc_u64 s[4:5], s[2:3], s[10:11]
.LBB7_68:                               ; =>This Inner Loop Header: Depth=1
	s_load_b96 s[12:14], s[4:5], 0x4
	s_load_b64 s[10:11], s[0:1], 0x0
	s_add_co_i32 s6, s6, -1
	s_wait_xcnt 0x0
	s_add_nc_u64 s[4:5], s[4:5], 12
	s_cmp_lg_u32 s6, 0
	s_add_nc_u64 s[0:1], s[0:1], 8
	s_wait_kmcnt 0x0
	v_mul_hi_u32 v10, s13, v9
	s_delay_alu instid0(VALU_DEP_1) | instskip(NEXT) | instid1(VALU_DEP_1)
	v_add_nc_u32_e32 v10, v9, v10
	v_lshrrev_b32_e32 v10, s14, v10
	s_delay_alu instid0(VALU_DEP_1) | instskip(NEXT) | instid1(VALU_DEP_1)
	v_mul_lo_u32 v11, v10, s12
	v_sub_nc_u32_e32 v9, v9, v11
	s_delay_alu instid0(VALU_DEP_1)
	v_mad_u32 v7, v9, s11, v7
	v_mad_u32 v6, v9, s10, v6
	v_mov_b32_e32 v9, v10
	s_cbranch_scc1 .LBB7_68
.LBB7_69:
	s_and_not1_b32 vcc_lo, exec_lo, s8
	s_cbranch_vccnz .LBB7_72
; %bb.70:
	s_clause 0x1
	s_load_b96 s[4:6], s[2:3], 0x4
	s_load_b64 s[0:1], s[2:3], 0xc4
	s_cmp_lt_u32 s28, 2
	s_wait_kmcnt 0x0
	v_mul_hi_u32 v6, s5, v8
	s_delay_alu instid0(VALU_DEP_1) | instskip(NEXT) | instid1(VALU_DEP_1)
	v_add_nc_u32_e32 v6, v8, v6
	v_lshrrev_b32_e32 v9, s6, v6
	s_delay_alu instid0(VALU_DEP_1) | instskip(NEXT) | instid1(VALU_DEP_1)
	v_mul_lo_u32 v6, v9, s4
	v_sub_nc_u32_e32 v6, v8, v6
	s_delay_alu instid0(VALU_DEP_1)
	v_mul_lo_u32 v7, v6, s1
	v_mul_lo_u32 v6, v6, s0
	s_cbranch_scc1 .LBB7_72
; %bb.71:
	s_clause 0x1
	s_load_b96 s[4:6], s[2:3], 0x10
	s_load_b64 s[0:1], s[2:3], 0xcc
	s_wait_kmcnt 0x0
	v_mul_hi_u32 v8, s5, v9
	s_delay_alu instid0(VALU_DEP_1) | instskip(NEXT) | instid1(VALU_DEP_1)
	v_add_nc_u32_e32 v8, v9, v8
	v_lshrrev_b32_e32 v8, s6, v8
	s_delay_alu instid0(VALU_DEP_1) | instskip(NEXT) | instid1(VALU_DEP_1)
	v_mul_lo_u32 v8, v8, s4
	v_sub_nc_u32_e32 v8, v9, v8
	s_delay_alu instid0(VALU_DEP_1)
	v_mad_u32 v6, v8, s0, v6
	v_mad_u32 v7, v8, s1, v7
.LBB7_72:
	s_load_b128 s[4:7], s[2:3], 0x148
                                        ; implicit-def: $vgpr8_vgpr9
	s_wait_kmcnt 0x0
	global_load_b64 v[10:11], v3, s[6:7]
	s_wait_loadcnt 0x0
	v_cmp_ge_f64_e64 s0, 0x40200000, |v[10:11]|
	s_wait_xcnt 0x0
	s_and_saveexec_b32 s1, s0
	s_delay_alu instid0(SALU_CYCLE_1)
	s_xor_b32 s0, exec_lo, s1
	s_cbranch_execz .LBB7_78
; %bb.73:
	v_fma_f64 v[8:9], |v[10:11]|, 0.5, -2.0
	s_mov_b64 s[2:3], 0x3c499f2a0c3c4014
	s_mov_b32 s1, exec_lo
	s_delay_alu instid0(VALU_DEP_1) | instskip(SKIP_1) | instid1(SALU_CYCLE_1)
	v_fmaak_f64 v[12:13], s[2:3], v[8:9], 0xbc7857d0c38a0576
	s_mov_b64 s[2:3], 0x3ff71547652b82fe
	v_mul_f64_e64 v[16:17], |v[10:11]|, s[2:3]
	s_mov_b64 s[2:3], 0xbfe62e42fefa39ef
	s_delay_alu instid0(VALU_DEP_2) | instskip(NEXT) | instid1(VALU_DEP_1)
	v_fmaak_f64 v[14:15], v[8:9], v[12:13], 0xbc499f2a0c3c4014
	v_add_f64_e32 v[14:15], 0x3ca663e3e593bfac, v[14:15]
	s_delay_alu instid0(VALU_DEP_3) | instskip(NEXT) | instid1(VALU_DEP_2)
	v_rndne_f64_e32 v[16:17], v[16:17]
	v_fma_f64 v[12:13], v[8:9], v[14:15], -v[12:13]
	s_delay_alu instid0(VALU_DEP_2) | instskip(SKIP_2) | instid1(VALU_DEP_3)
	v_fma_f64 v[18:19], v[16:17], s[2:3], |v[10:11]|
	s_mov_b64 s[2:3], 0x3e5ade156a5dcb37
	v_cvt_i32_f64_e32 v3, v[16:17]
	v_add_f64_e32 v[12:13], 0xbcd3eaaa7e0d1573, v[12:13]
	s_delay_alu instid0(VALU_DEP_1) | instskip(NEXT) | instid1(VALU_DEP_1)
	v_fma_f64 v[14:15], v[8:9], v[12:13], -v[14:15]
	v_add_f64_e32 v[14:15], 0x3d011d7f0615290c, v[14:15]
	s_delay_alu instid0(VALU_DEP_1) | instskip(NEXT) | instid1(VALU_DEP_1)
	v_fma_f64 v[12:13], v[8:9], v[14:15], -v[12:13]
	;; [unrolled: 3-line block ×24, first 2 shown]
	v_add_f64_e32 v[12:13], 0xbfc694d10469192e, v[12:13]
	s_delay_alu instid0(VALU_DEP_1) | instskip(SKIP_1) | instid1(VALU_DEP_1)
	v_fma_f64 v[8:9], v[8:9], v[12:13], -v[14:15]
	v_fmamk_f64 v[12:13], v[16:17], 0xbc7abc9e3b39803f, v[18:19]
	v_fmaak_f64 v[18:19], s[2:3], v[12:13], 0x3e928af3fca7ab0c
	s_delay_alu instid0(VALU_DEP_1) | instskip(NEXT) | instid1(VALU_DEP_1)
	v_fmaak_f64 v[18:19], v[12:13], v[18:19], 0x3ec71dee623fde64
	v_fmaak_f64 v[18:19], v[12:13], v[18:19], 0x3efa01997c89e6b0
	s_delay_alu instid0(VALU_DEP_1) | instskip(SKIP_1) | instid1(VALU_DEP_2)
	v_fmaak_f64 v[18:19], v[12:13], v[18:19], 0x3f2a01a014761f6e
	v_add_f64_e32 v[8:9], 0x3fd02a63724a7ffa, v[8:9]
	v_fmaak_f64 v[18:19], v[12:13], v[18:19], 0x3f56c16c1852b7b0
	s_delay_alu instid0(VALU_DEP_2) | instskip(NEXT) | instid1(VALU_DEP_2)
	v_add_f64_e64 v[8:9], v[8:9], -v[14:15]
	v_fmaak_f64 v[14:15], v[12:13], v[18:19], 0x3f81111111122322
	s_delay_alu instid0(VALU_DEP_1) | instskip(NEXT) | instid1(VALU_DEP_1)
	v_fmaak_f64 v[14:15], v[12:13], v[14:15], 0x3fa55555555502a1
	v_fmaak_f64 v[14:15], v[12:13], v[14:15], 0x3fc5555555555511
	s_delay_alu instid0(VALU_DEP_1) | instskip(NEXT) | instid1(VALU_DEP_1)
	v_fmaak_f64 v[14:15], v[12:13], v[14:15], 0x3fe000000000000b
	v_fma_f64 v[14:15], v[12:13], v[14:15], 1.0
	v_mul_f64_e32 v[8:9], 0.5, v[8:9]
	s_delay_alu instid0(VALU_DEP_2) | instskip(NEXT) | instid1(VALU_DEP_2)
	v_fma_f64 v[14:15], v[12:13], v[14:15], 1.0
	v_mul_f64_e64 v[12:13], |v[10:11]|, v[8:9]
                                        ; implicit-def: $vgpr8_vgpr9
	v_cmpx_ngt_f64_e32 0, v[10:11]
	s_xor_b32 s1, exec_lo, s1
	s_cbranch_execz .LBB7_75
; %bb.74:
	s_delay_alu instid0(VALU_DEP_3) | instskip(SKIP_1) | instid1(VALU_DEP_2)
	v_ldexp_f64 v[8:9], v[14:15], v3
	v_cmp_nlt_f64_e64 vcc_lo, 0x40900000, |v[10:11]|
                                        ; implicit-def: $vgpr14_vgpr15
                                        ; implicit-def: $vgpr3
                                        ; implicit-def: $vgpr10_vgpr11
	v_cndmask_b32_e32 v9, 0x7ff00000, v9, vcc_lo
	s_delay_alu instid0(VALU_DEP_3) | instskip(NEXT) | instid1(VALU_DEP_1)
	v_cndmask_b32_e32 v8, 0, v8, vcc_lo
	v_mul_f64_e32 v[8:9], v[8:9], v[12:13]
                                        ; implicit-def: $vgpr12_vgpr13
.LBB7_75:
	s_and_not1_saveexec_b32 s1, s1
	s_cbranch_execz .LBB7_77
; %bb.76:
	s_delay_alu instid0(VALU_DEP_3) | instskip(SKIP_1) | instid1(VALU_DEP_2)
	v_ldexp_f64 v[8:9], -v[14:15], v3
	v_cmp_nlt_f64_e64 vcc_lo, 0x40900000, |v[10:11]|
	v_cndmask_b32_e32 v9, 0xfff00000, v9, vcc_lo
	s_delay_alu instid0(VALU_DEP_3) | instskip(NEXT) | instid1(VALU_DEP_1)
	v_cndmask_b32_e32 v8, 0, v8, vcc_lo
	v_mul_f64_e32 v[8:9], v[8:9], v[12:13]
.LBB7_77:
	s_or_b32 exec_lo, exec_lo, s1
                                        ; implicit-def: $vgpr10_vgpr11
.LBB7_78:
	s_and_not1_saveexec_b32 s1, s0
	s_cbranch_execz .LBB7_84
; %bb.79:
	v_and_b32_e32 v9, 0x7fffffff, v11
	v_mov_b32_e32 v8, v10
	s_mov_b64 s[2:3], 0x3c61556db352e8e6
	v_cmp_ngt_f64_e64 s0, 0, v[10:11]
	s_delay_alu instid0(VALU_DEP_2) | instskip(SKIP_1) | instid1(VALU_DEP_2)
	v_div_scale_f64 v[12:13], null, v[8:9], v[8:9], 0x40400000
	v_div_scale_f64 v[8:9], vcc_lo, 0x40400000, v[8:9], 0x40400000
	v_rcp_f64_e32 v[14:15], v[12:13]
	v_nop
	s_delay_alu instid0(TRANS32_DEP_1) | instskip(NEXT) | instid1(VALU_DEP_1)
	v_fma_f64 v[16:17], -v[12:13], v[14:15], 1.0
	v_fmac_f64_e32 v[14:15], v[14:15], v[16:17]
	s_delay_alu instid0(VALU_DEP_1) | instskip(NEXT) | instid1(VALU_DEP_1)
	v_fma_f64 v[16:17], -v[12:13], v[14:15], 1.0
	v_fmac_f64_e32 v[14:15], v[14:15], v[16:17]
	s_delay_alu instid0(VALU_DEP_1) | instskip(NEXT) | instid1(VALU_DEP_1)
	v_mul_f64_e32 v[16:17], v[8:9], v[14:15]
	v_fma_f64 v[8:9], -v[12:13], v[16:17], v[8:9]
	s_delay_alu instid0(VALU_DEP_1) | instskip(SKIP_1) | instid1(VALU_DEP_2)
	v_div_fmas_f64 v[8:9], v[8:9], v[14:15], v[16:17]
	v_cmp_nlt_f64_e64 vcc_lo, 0x40900000, |v[10:11]|
	v_div_fixup_f64 v[8:9], v[8:9], |v[10:11]|, 0x40400000
	s_delay_alu instid0(VALU_DEP_1) | instskip(NEXT) | instid1(VALU_DEP_1)
	v_add_f64_e32 v[8:9], -2.0, v[8:9]
	v_fmaak_f64 v[12:13], s[2:3], v[8:9], 0x3c545b8aea87b950
	s_mov_b64 s[2:3], 0x3ff71547652b82fe
	s_delay_alu instid0(SALU_CYCLE_1) | instskip(SKIP_1) | instid1(VALU_DEP_2)
	v_mul_f64_e64 v[16:17], |v[10:11]|, s[2:3]
	s_mov_b64 s[2:3], 0xbfe62e42fefa39ef
	v_fmaak_f64 v[14:15], v[8:9], v[12:13], 0xbc61556db352e8e6
	s_delay_alu instid0(VALU_DEP_1) | instskip(NEXT) | instid1(VALU_DEP_3)
	v_add_f64_e32 v[14:15], 0xbc8acea3b2532277, v[14:15]
	v_rndne_f64_e32 v[16:17], v[16:17]
	s_delay_alu instid0(VALU_DEP_2) | instskip(NEXT) | instid1(VALU_DEP_2)
	v_fma_f64 v[12:13], v[8:9], v[14:15], -v[12:13]
	v_fma_f64 v[18:19], v[16:17], s[2:3], |v[10:11]|
	s_mov_b64 s[2:3], 0x3e5ade156a5dcb37
	v_cvt_i32_f64_e32 v3, v[16:17]
	s_delay_alu instid0(VALU_DEP_3) | instskip(NEXT) | instid1(VALU_DEP_3)
	v_add_f64_e32 v[12:13], 0xbc82806c9c773320, v[12:13]
	v_fmamk_f64 v[18:19], v[16:17], 0xbc7abc9e3b39803f, v[18:19]
	s_delay_alu instid0(VALU_DEP_1) | instskip(NEXT) | instid1(VALU_DEP_3)
	v_fmaak_f64 v[20:21], s[2:3], v[18:19], 0x3e928af3fca7ab0c
	v_fma_f64 v[14:15], v[8:9], v[12:13], -v[14:15]
	s_delay_alu instid0(VALU_DEP_2) | instskip(NEXT) | instid1(VALU_DEP_1)
	v_fmaak_f64 v[20:21], v[18:19], v[20:21], 0x3ec71dee623fde64
	v_fmaak_f64 v[20:21], v[18:19], v[20:21], 0x3efa01997c89e6b0
	s_delay_alu instid0(VALU_DEP_1) | instskip(NEXT) | instid1(VALU_DEP_1)
	v_fmaak_f64 v[20:21], v[18:19], v[20:21], 0x3f2a01a014761f6e
	v_fmaak_f64 v[20:21], v[18:19], v[20:21], 0x3f56c16c1852b7b0
	s_delay_alu instid0(VALU_DEP_1) | instskip(SKIP_1) | instid1(VALU_DEP_2)
	v_fmaak_f64 v[20:21], v[18:19], v[20:21], 0x3f81111111122322
	v_add_f64_e32 v[14:15], 0x3cb55915fceb588a, v[14:15]
	v_fmaak_f64 v[20:21], v[18:19], v[20:21], 0x3fa55555555502a1
	s_delay_alu instid0(VALU_DEP_1) | instskip(NEXT) | instid1(VALU_DEP_1)
	v_fmaak_f64 v[20:21], v[18:19], v[20:21], 0x3fc5555555555511
	v_fmaak_f64 v[20:21], v[18:19], v[20:21], 0x3fe000000000000b
	s_delay_alu instid0(VALU_DEP_1) | instskip(SKIP_1) | instid1(VALU_DEP_1)
	v_fma_f64 v[20:21], v[18:19], v[20:21], 1.0
	v_fma_f64 v[12:13], v[8:9], v[14:15], -v[12:13]
	v_add_f64_e32 v[12:13], 0x3cb7d68e5f04a2d1, v[12:13]
	s_delay_alu instid0(VALU_DEP_1) | instskip(NEXT) | instid1(VALU_DEP_1)
	v_fma_f64 v[14:15], v[8:9], v[12:13], -v[14:15]
	v_add_f64_e32 v[14:15], 0xbce0efcd8bc4d22a, v[14:15]
	s_delay_alu instid0(VALU_DEP_1) | instskip(NEXT) | instid1(VALU_DEP_1)
	;; [unrolled: 3-line block ×18, first 2 shown]
	v_fma_f64 v[12:13], v[8:9], v[14:15], -v[12:13]
	v_add_f64_e32 v[12:13], 0xbf83fda053fcdb4c, v[12:13]
	s_delay_alu instid0(VALU_DEP_1) | instskip(SKIP_1) | instid1(VALU_DEP_2)
	v_fma_f64 v[8:9], v[8:9], v[12:13], -v[14:15]
	v_fma_f64 v[12:13], v[18:19], v[20:21], 1.0
	v_add_f64_e32 v[8:9], 0x3fe8ea18b55b1514, v[8:9]
	s_delay_alu instid0(VALU_DEP_2) | instskip(NEXT) | instid1(VALU_DEP_2)
	v_ldexp_f64 v[12:13], v[12:13], v3
	v_add_f64_e64 v[14:15], v[8:9], -v[14:15]
	s_delay_alu instid0(VALU_DEP_2) | instskip(NEXT) | instid1(VALU_DEP_3)
	v_cndmask_b32_e32 v13, 0x7ff00000, v13, vcc_lo
	v_cndmask_b32_e32 v12, 0, v12, vcc_lo
                                        ; implicit-def: $vgpr8_vgpr9
	s_and_saveexec_b32 s2, s0
	s_delay_alu instid0(SALU_CYCLE_1)
	s_xor_b32 s0, exec_lo, s2
	s_cbranch_execz .LBB7_81
; %bb.80:
	v_cmp_gt_f64_e64 s2, 0x10000000, |v[10:11]|
	s_delay_alu instid0(VALU_DEP_1) | instskip(NEXT) | instid1(VALU_DEP_1)
	v_cndmask_b32_e64 v3, 0, 0x100, s2
	v_ldexp_f64 v[8:9], |v[10:11]|, v3
	v_cndmask_b32_e64 v3, 0, 0xffffff80, s2
	s_delay_alu instid0(VALU_DEP_2) | instskip(SKIP_1) | instid1(TRANS32_DEP_1)
	v_rsq_f64_e32 v[10:11], v[8:9]
	v_cmp_class_f64_e64 vcc_lo, v[8:9], 0x260
	v_mul_f64_e32 v[16:17], v[8:9], v[10:11]
	v_mul_f64_e32 v[10:11], 0.5, v[10:11]
	s_delay_alu instid0(VALU_DEP_1) | instskip(NEXT) | instid1(VALU_DEP_1)
	v_fma_f64 v[18:19], -v[10:11], v[16:17], 0.5
	v_fmac_f64_e32 v[16:17], v[16:17], v[18:19]
	v_fmac_f64_e32 v[10:11], v[10:11], v[18:19]
	s_delay_alu instid0(VALU_DEP_2) | instskip(NEXT) | instid1(VALU_DEP_1)
	v_fma_f64 v[18:19], -v[16:17], v[16:17], v[8:9]
	v_fmac_f64_e32 v[16:17], v[18:19], v[10:11]
	s_delay_alu instid0(VALU_DEP_1) | instskip(NEXT) | instid1(VALU_DEP_1)
	v_fma_f64 v[18:19], -v[16:17], v[16:17], v[8:9]
	v_fmac_f64_e32 v[16:17], v[18:19], v[10:11]
	v_mul_f64_e32 v[10:11], 0.5, v[14:15]
	s_delay_alu instid0(VALU_DEP_2) | instskip(NEXT) | instid1(VALU_DEP_1)
	v_ldexp_f64 v[14:15], v[16:17], v3
	v_dual_mul_f64 v[10:11], v[12:13], v[10:11] :: v_dual_cndmask_b32 v9, v15, v9, vcc_lo
	s_delay_alu instid0(VALU_DEP_2) | instskip(NEXT) | instid1(VALU_DEP_1)
	v_cndmask_b32_e32 v8, v14, v8, vcc_lo
	v_div_scale_f64 v[12:13], null, v[8:9], v[8:9], v[10:11]
	s_delay_alu instid0(VALU_DEP_1) | instskip(SKIP_1) | instid1(TRANS32_DEP_1)
	v_rcp_f64_e32 v[14:15], v[12:13]
	v_nop
	v_fma_f64 v[16:17], -v[12:13], v[14:15], 1.0
	s_delay_alu instid0(VALU_DEP_1) | instskip(NEXT) | instid1(VALU_DEP_1)
	v_fmac_f64_e32 v[14:15], v[14:15], v[16:17]
	v_fma_f64 v[16:17], -v[12:13], v[14:15], 1.0
	s_delay_alu instid0(VALU_DEP_1) | instskip(SKIP_1) | instid1(VALU_DEP_1)
	v_fmac_f64_e32 v[14:15], v[14:15], v[16:17]
	v_div_scale_f64 v[16:17], vcc_lo, v[10:11], v[8:9], v[10:11]
	v_mul_f64_e32 v[18:19], v[16:17], v[14:15]
	s_delay_alu instid0(VALU_DEP_1) | instskip(NEXT) | instid1(VALU_DEP_1)
	v_fma_f64 v[12:13], -v[12:13], v[18:19], v[16:17]
	v_div_fmas_f64 v[12:13], v[12:13], v[14:15], v[18:19]
                                        ; implicit-def: $vgpr14_vgpr15
	s_delay_alu instid0(VALU_DEP_1)
	v_div_fixup_f64 v[8:9], v[12:13], v[8:9], v[10:11]
                                        ; implicit-def: $vgpr10_vgpr11
                                        ; implicit-def: $vgpr12_vgpr13
.LBB7_81:
	s_and_not1_saveexec_b32 s0, s0
	s_cbranch_execz .LBB7_83
; %bb.82:
	v_cmp_gt_f64_e64 s2, 0x10000000, |v[10:11]|
	s_delay_alu instid0(VALU_DEP_1) | instskip(NEXT) | instid1(VALU_DEP_1)
	v_cndmask_b32_e64 v3, 0, 0x100, s2
	v_ldexp_f64 v[8:9], |v[10:11]|, v3
	v_cndmask_b32_e64 v3, 0, 0xffffff80, s2
	s_delay_alu instid0(VALU_DEP_2) | instskip(SKIP_1) | instid1(TRANS32_DEP_1)
	v_rsq_f64_e32 v[10:11], v[8:9]
	v_cmp_class_f64_e64 vcc_lo, v[8:9], 0x260
	v_mul_f64_e32 v[16:17], v[8:9], v[10:11]
	v_mul_f64_e32 v[10:11], 0.5, v[10:11]
	s_delay_alu instid0(VALU_DEP_1) | instskip(NEXT) | instid1(VALU_DEP_1)
	v_fma_f64 v[18:19], -v[10:11], v[16:17], 0.5
	v_fmac_f64_e32 v[16:17], v[16:17], v[18:19]
	v_fmac_f64_e32 v[10:11], v[10:11], v[18:19]
	s_delay_alu instid0(VALU_DEP_2) | instskip(NEXT) | instid1(VALU_DEP_1)
	v_fma_f64 v[18:19], -v[16:17], v[16:17], v[8:9]
	v_fmac_f64_e32 v[16:17], v[18:19], v[10:11]
	s_delay_alu instid0(VALU_DEP_1) | instskip(NEXT) | instid1(VALU_DEP_1)
	v_fma_f64 v[18:19], -v[16:17], v[16:17], v[8:9]
	v_fmac_f64_e32 v[16:17], v[18:19], v[10:11]
	v_mul_f64_e32 v[10:11], -0.5, v[14:15]
	s_delay_alu instid0(VALU_DEP_2) | instskip(NEXT) | instid1(VALU_DEP_1)
	v_ldexp_f64 v[14:15], v[16:17], v3
	v_dual_mul_f64 v[10:11], v[12:13], v[10:11] :: v_dual_cndmask_b32 v9, v15, v9, vcc_lo
	s_delay_alu instid0(VALU_DEP_2) | instskip(NEXT) | instid1(VALU_DEP_1)
	v_cndmask_b32_e32 v8, v14, v8, vcc_lo
	v_div_scale_f64 v[12:13], null, v[8:9], v[8:9], v[10:11]
	s_delay_alu instid0(VALU_DEP_1) | instskip(SKIP_1) | instid1(TRANS32_DEP_1)
	v_rcp_f64_e32 v[14:15], v[12:13]
	v_nop
	v_fma_f64 v[16:17], -v[12:13], v[14:15], 1.0
	s_delay_alu instid0(VALU_DEP_1) | instskip(NEXT) | instid1(VALU_DEP_1)
	v_fmac_f64_e32 v[14:15], v[14:15], v[16:17]
	v_fma_f64 v[16:17], -v[12:13], v[14:15], 1.0
	s_delay_alu instid0(VALU_DEP_1) | instskip(SKIP_1) | instid1(VALU_DEP_1)
	v_fmac_f64_e32 v[14:15], v[14:15], v[16:17]
	v_div_scale_f64 v[16:17], vcc_lo, v[10:11], v[8:9], v[10:11]
	v_mul_f64_e32 v[18:19], v[16:17], v[14:15]
	s_delay_alu instid0(VALU_DEP_1) | instskip(NEXT) | instid1(VALU_DEP_1)
	v_fma_f64 v[12:13], -v[12:13], v[18:19], v[16:17]
	v_div_fmas_f64 v[12:13], v[12:13], v[14:15], v[18:19]
	s_delay_alu instid0(VALU_DEP_1)
	v_div_fixup_f64 v[8:9], v[12:13], v[8:9], v[10:11]
.LBB7_83:
	s_or_b32 exec_lo, exec_lo, s0
.LBB7_84:
	s_delay_alu instid0(SALU_CYCLE_1)
	s_or_b32 exec_lo, exec_lo, s1
	global_load_b64 v[12:13], v5, s[6:7]
                                        ; implicit-def: $vgpr10_vgpr11
	s_wait_loadcnt 0x0
	v_cmp_ge_f64_e64 s0, 0x40200000, |v[12:13]|
	s_wait_xcnt 0x0
	s_and_saveexec_b32 s1, s0
	s_delay_alu instid0(SALU_CYCLE_1)
	s_xor_b32 s0, exec_lo, s1
	s_cbranch_execz .LBB7_90
; %bb.85:
	v_fma_f64 v[10:11], |v[12:13]|, 0.5, -2.0
	s_mov_b64 s[2:3], 0x3c499f2a0c3c4014
	s_mov_b32 s1, exec_lo
	s_delay_alu instid0(VALU_DEP_1) | instskip(SKIP_1) | instid1(SALU_CYCLE_1)
	v_fmaak_f64 v[14:15], s[2:3], v[10:11], 0xbc7857d0c38a0576
	s_mov_b64 s[2:3], 0x3ff71547652b82fe
	v_mul_f64_e64 v[18:19], |v[12:13]|, s[2:3]
	s_mov_b64 s[2:3], 0xbfe62e42fefa39ef
	s_delay_alu instid0(VALU_DEP_2) | instskip(NEXT) | instid1(VALU_DEP_1)
	v_fmaak_f64 v[16:17], v[10:11], v[14:15], 0xbc499f2a0c3c4014
	v_add_f64_e32 v[16:17], 0x3ca663e3e593bfac, v[16:17]
	s_delay_alu instid0(VALU_DEP_3) | instskip(NEXT) | instid1(VALU_DEP_2)
	v_rndne_f64_e32 v[18:19], v[18:19]
	v_fma_f64 v[14:15], v[10:11], v[16:17], -v[14:15]
	s_delay_alu instid0(VALU_DEP_2) | instskip(SKIP_2) | instid1(VALU_DEP_3)
	v_fma_f64 v[20:21], v[18:19], s[2:3], |v[12:13]|
	s_mov_b64 s[2:3], 0x3e5ade156a5dcb37
	v_cvt_i32_f64_e32 v3, v[18:19]
	v_add_f64_e32 v[14:15], 0xbcd3eaaa7e0d1573, v[14:15]
	s_delay_alu instid0(VALU_DEP_1) | instskip(NEXT) | instid1(VALU_DEP_1)
	v_fma_f64 v[16:17], v[10:11], v[14:15], -v[16:17]
	v_add_f64_e32 v[16:17], 0x3d011d7f0615290c, v[16:17]
	s_delay_alu instid0(VALU_DEP_1) | instskip(NEXT) | instid1(VALU_DEP_1)
	v_fma_f64 v[14:15], v[10:11], v[16:17], -v[14:15]
	;; [unrolled: 3-line block ×24, first 2 shown]
	v_add_f64_e32 v[14:15], 0xbfc694d10469192e, v[14:15]
	s_delay_alu instid0(VALU_DEP_1) | instskip(SKIP_1) | instid1(VALU_DEP_1)
	v_fma_f64 v[10:11], v[10:11], v[14:15], -v[16:17]
	v_fmamk_f64 v[14:15], v[18:19], 0xbc7abc9e3b39803f, v[20:21]
	v_fmaak_f64 v[20:21], s[2:3], v[14:15], 0x3e928af3fca7ab0c
	s_delay_alu instid0(VALU_DEP_1) | instskip(NEXT) | instid1(VALU_DEP_1)
	v_fmaak_f64 v[20:21], v[14:15], v[20:21], 0x3ec71dee623fde64
	v_fmaak_f64 v[20:21], v[14:15], v[20:21], 0x3efa01997c89e6b0
	s_delay_alu instid0(VALU_DEP_1) | instskip(SKIP_1) | instid1(VALU_DEP_2)
	v_fmaak_f64 v[20:21], v[14:15], v[20:21], 0x3f2a01a014761f6e
	v_add_f64_e32 v[10:11], 0x3fd02a63724a7ffa, v[10:11]
	v_fmaak_f64 v[20:21], v[14:15], v[20:21], 0x3f56c16c1852b7b0
	s_delay_alu instid0(VALU_DEP_2) | instskip(NEXT) | instid1(VALU_DEP_2)
	v_add_f64_e64 v[10:11], v[10:11], -v[16:17]
	v_fmaak_f64 v[16:17], v[14:15], v[20:21], 0x3f81111111122322
	s_delay_alu instid0(VALU_DEP_1) | instskip(NEXT) | instid1(VALU_DEP_1)
	v_fmaak_f64 v[16:17], v[14:15], v[16:17], 0x3fa55555555502a1
	v_fmaak_f64 v[16:17], v[14:15], v[16:17], 0x3fc5555555555511
	s_delay_alu instid0(VALU_DEP_1) | instskip(NEXT) | instid1(VALU_DEP_1)
	v_fmaak_f64 v[16:17], v[14:15], v[16:17], 0x3fe000000000000b
	v_fma_f64 v[16:17], v[14:15], v[16:17], 1.0
	v_mul_f64_e32 v[10:11], 0.5, v[10:11]
	s_delay_alu instid0(VALU_DEP_2) | instskip(NEXT) | instid1(VALU_DEP_2)
	v_fma_f64 v[16:17], v[14:15], v[16:17], 1.0
	v_mul_f64_e64 v[14:15], |v[12:13]|, v[10:11]
                                        ; implicit-def: $vgpr10_vgpr11
	v_cmpx_ngt_f64_e32 0, v[12:13]
	s_xor_b32 s1, exec_lo, s1
	s_cbranch_execz .LBB7_87
; %bb.86:
	s_delay_alu instid0(VALU_DEP_3) | instskip(SKIP_1) | instid1(VALU_DEP_2)
	v_ldexp_f64 v[10:11], v[16:17], v3
	v_cmp_nlt_f64_e64 vcc_lo, 0x40900000, |v[12:13]|
                                        ; implicit-def: $vgpr16_vgpr17
                                        ; implicit-def: $vgpr3
                                        ; implicit-def: $vgpr12_vgpr13
	v_cndmask_b32_e32 v11, 0x7ff00000, v11, vcc_lo
	s_delay_alu instid0(VALU_DEP_3) | instskip(NEXT) | instid1(VALU_DEP_1)
	v_cndmask_b32_e32 v10, 0, v10, vcc_lo
	v_mul_f64_e32 v[10:11], v[10:11], v[14:15]
                                        ; implicit-def: $vgpr14_vgpr15
.LBB7_87:
	s_and_not1_saveexec_b32 s1, s1
	s_cbranch_execz .LBB7_89
; %bb.88:
	s_delay_alu instid0(VALU_DEP_3) | instskip(SKIP_1) | instid1(VALU_DEP_2)
	v_ldexp_f64 v[10:11], -v[16:17], v3
	v_cmp_nlt_f64_e64 vcc_lo, 0x40900000, |v[12:13]|
	v_cndmask_b32_e32 v11, 0xfff00000, v11, vcc_lo
	s_delay_alu instid0(VALU_DEP_3) | instskip(NEXT) | instid1(VALU_DEP_1)
	v_cndmask_b32_e32 v10, 0, v10, vcc_lo
	v_mul_f64_e32 v[10:11], v[10:11], v[14:15]
.LBB7_89:
	s_or_b32 exec_lo, exec_lo, s1
                                        ; implicit-def: $vgpr12_vgpr13
.LBB7_90:
	s_and_not1_saveexec_b32 s1, s0
	s_cbranch_execz .LBB7_96
; %bb.91:
	v_and_b32_e32 v11, 0x7fffffff, v13
	v_mov_b32_e32 v10, v12
	s_mov_b64 s[2:3], 0x3c61556db352e8e6
	v_cmp_ngt_f64_e64 s0, 0, v[12:13]
	s_delay_alu instid0(VALU_DEP_2) | instskip(SKIP_1) | instid1(VALU_DEP_2)
	v_div_scale_f64 v[14:15], null, v[10:11], v[10:11], 0x40400000
	v_div_scale_f64 v[10:11], vcc_lo, 0x40400000, v[10:11], 0x40400000
	v_rcp_f64_e32 v[16:17], v[14:15]
	v_nop
	s_delay_alu instid0(TRANS32_DEP_1) | instskip(NEXT) | instid1(VALU_DEP_1)
	v_fma_f64 v[18:19], -v[14:15], v[16:17], 1.0
	v_fmac_f64_e32 v[16:17], v[16:17], v[18:19]
	s_delay_alu instid0(VALU_DEP_1) | instskip(NEXT) | instid1(VALU_DEP_1)
	v_fma_f64 v[18:19], -v[14:15], v[16:17], 1.0
	v_fmac_f64_e32 v[16:17], v[16:17], v[18:19]
	s_delay_alu instid0(VALU_DEP_1) | instskip(NEXT) | instid1(VALU_DEP_1)
	v_mul_f64_e32 v[18:19], v[10:11], v[16:17]
	v_fma_f64 v[10:11], -v[14:15], v[18:19], v[10:11]
	s_delay_alu instid0(VALU_DEP_1) | instskip(SKIP_1) | instid1(VALU_DEP_2)
	v_div_fmas_f64 v[10:11], v[10:11], v[16:17], v[18:19]
	v_cmp_nlt_f64_e64 vcc_lo, 0x40900000, |v[12:13]|
	v_div_fixup_f64 v[10:11], v[10:11], |v[12:13]|, 0x40400000
	s_delay_alu instid0(VALU_DEP_1) | instskip(NEXT) | instid1(VALU_DEP_1)
	v_add_f64_e32 v[10:11], -2.0, v[10:11]
	v_fmaak_f64 v[14:15], s[2:3], v[10:11], 0x3c545b8aea87b950
	s_mov_b64 s[2:3], 0x3ff71547652b82fe
	s_delay_alu instid0(SALU_CYCLE_1) | instskip(SKIP_1) | instid1(VALU_DEP_2)
	v_mul_f64_e64 v[18:19], |v[12:13]|, s[2:3]
	s_mov_b64 s[2:3], 0xbfe62e42fefa39ef
	v_fmaak_f64 v[16:17], v[10:11], v[14:15], 0xbc61556db352e8e6
	s_delay_alu instid0(VALU_DEP_1) | instskip(NEXT) | instid1(VALU_DEP_3)
	v_add_f64_e32 v[16:17], 0xbc8acea3b2532277, v[16:17]
	v_rndne_f64_e32 v[18:19], v[18:19]
	s_delay_alu instid0(VALU_DEP_2) | instskip(NEXT) | instid1(VALU_DEP_2)
	v_fma_f64 v[14:15], v[10:11], v[16:17], -v[14:15]
	v_fma_f64 v[20:21], v[18:19], s[2:3], |v[12:13]|
	s_mov_b64 s[2:3], 0x3e5ade156a5dcb37
	v_cvt_i32_f64_e32 v3, v[18:19]
	s_delay_alu instid0(VALU_DEP_3) | instskip(NEXT) | instid1(VALU_DEP_3)
	v_add_f64_e32 v[14:15], 0xbc82806c9c773320, v[14:15]
	v_fmamk_f64 v[20:21], v[18:19], 0xbc7abc9e3b39803f, v[20:21]
	s_delay_alu instid0(VALU_DEP_1) | instskip(NEXT) | instid1(VALU_DEP_3)
	v_fmaak_f64 v[22:23], s[2:3], v[20:21], 0x3e928af3fca7ab0c
	v_fma_f64 v[16:17], v[10:11], v[14:15], -v[16:17]
	s_delay_alu instid0(VALU_DEP_2) | instskip(NEXT) | instid1(VALU_DEP_1)
	v_fmaak_f64 v[22:23], v[20:21], v[22:23], 0x3ec71dee623fde64
	v_fmaak_f64 v[22:23], v[20:21], v[22:23], 0x3efa01997c89e6b0
	s_delay_alu instid0(VALU_DEP_1) | instskip(NEXT) | instid1(VALU_DEP_1)
	v_fmaak_f64 v[22:23], v[20:21], v[22:23], 0x3f2a01a014761f6e
	v_fmaak_f64 v[22:23], v[20:21], v[22:23], 0x3f56c16c1852b7b0
	s_delay_alu instid0(VALU_DEP_1) | instskip(SKIP_1) | instid1(VALU_DEP_2)
	v_fmaak_f64 v[22:23], v[20:21], v[22:23], 0x3f81111111122322
	v_add_f64_e32 v[16:17], 0x3cb55915fceb588a, v[16:17]
	v_fmaak_f64 v[22:23], v[20:21], v[22:23], 0x3fa55555555502a1
	s_delay_alu instid0(VALU_DEP_1) | instskip(NEXT) | instid1(VALU_DEP_1)
	v_fmaak_f64 v[22:23], v[20:21], v[22:23], 0x3fc5555555555511
	v_fmaak_f64 v[22:23], v[20:21], v[22:23], 0x3fe000000000000b
	s_delay_alu instid0(VALU_DEP_1) | instskip(SKIP_1) | instid1(VALU_DEP_1)
	v_fma_f64 v[22:23], v[20:21], v[22:23], 1.0
	v_fma_f64 v[14:15], v[10:11], v[16:17], -v[14:15]
	v_add_f64_e32 v[14:15], 0x3cb7d68e5f04a2d1, v[14:15]
	s_delay_alu instid0(VALU_DEP_1) | instskip(NEXT) | instid1(VALU_DEP_1)
	v_fma_f64 v[16:17], v[10:11], v[14:15], -v[16:17]
	v_add_f64_e32 v[16:17], 0xbce0efcd8bc4d22a, v[16:17]
	s_delay_alu instid0(VALU_DEP_1) | instskip(NEXT) | instid1(VALU_DEP_1)
	;; [unrolled: 3-line block ×18, first 2 shown]
	v_fma_f64 v[14:15], v[10:11], v[16:17], -v[14:15]
	v_add_f64_e32 v[14:15], 0xbf83fda053fcdb4c, v[14:15]
	s_delay_alu instid0(VALU_DEP_1) | instskip(SKIP_1) | instid1(VALU_DEP_2)
	v_fma_f64 v[10:11], v[10:11], v[14:15], -v[16:17]
	v_fma_f64 v[14:15], v[20:21], v[22:23], 1.0
	v_add_f64_e32 v[10:11], 0x3fe8ea18b55b1514, v[10:11]
	s_delay_alu instid0(VALU_DEP_2) | instskip(NEXT) | instid1(VALU_DEP_2)
	v_ldexp_f64 v[14:15], v[14:15], v3
	v_add_f64_e64 v[16:17], v[10:11], -v[16:17]
	s_delay_alu instid0(VALU_DEP_2) | instskip(NEXT) | instid1(VALU_DEP_3)
	v_cndmask_b32_e32 v15, 0x7ff00000, v15, vcc_lo
	v_cndmask_b32_e32 v14, 0, v14, vcc_lo
                                        ; implicit-def: $vgpr10_vgpr11
	s_and_saveexec_b32 s2, s0
	s_delay_alu instid0(SALU_CYCLE_1)
	s_xor_b32 s0, exec_lo, s2
	s_cbranch_execz .LBB7_93
; %bb.92:
	v_cmp_gt_f64_e64 s2, 0x10000000, |v[12:13]|
	s_delay_alu instid0(VALU_DEP_1) | instskip(NEXT) | instid1(VALU_DEP_1)
	v_cndmask_b32_e64 v3, 0, 0x100, s2
	v_ldexp_f64 v[10:11], |v[12:13]|, v3
	v_cndmask_b32_e64 v3, 0, 0xffffff80, s2
	s_delay_alu instid0(VALU_DEP_2) | instskip(SKIP_1) | instid1(TRANS32_DEP_1)
	v_rsq_f64_e32 v[12:13], v[10:11]
	v_cmp_class_f64_e64 vcc_lo, v[10:11], 0x260
	v_mul_f64_e32 v[18:19], v[10:11], v[12:13]
	v_mul_f64_e32 v[12:13], 0.5, v[12:13]
	s_delay_alu instid0(VALU_DEP_1) | instskip(NEXT) | instid1(VALU_DEP_1)
	v_fma_f64 v[20:21], -v[12:13], v[18:19], 0.5
	v_fmac_f64_e32 v[18:19], v[18:19], v[20:21]
	v_fmac_f64_e32 v[12:13], v[12:13], v[20:21]
	s_delay_alu instid0(VALU_DEP_2) | instskip(NEXT) | instid1(VALU_DEP_1)
	v_fma_f64 v[20:21], -v[18:19], v[18:19], v[10:11]
	v_fmac_f64_e32 v[18:19], v[20:21], v[12:13]
	s_delay_alu instid0(VALU_DEP_1) | instskip(NEXT) | instid1(VALU_DEP_1)
	v_fma_f64 v[20:21], -v[18:19], v[18:19], v[10:11]
	v_fmac_f64_e32 v[18:19], v[20:21], v[12:13]
	v_mul_f64_e32 v[12:13], 0.5, v[16:17]
	s_delay_alu instid0(VALU_DEP_2) | instskip(NEXT) | instid1(VALU_DEP_1)
	v_ldexp_f64 v[16:17], v[18:19], v3
	v_dual_mul_f64 v[12:13], v[14:15], v[12:13] :: v_dual_cndmask_b32 v11, v17, v11, vcc_lo
	s_delay_alu instid0(VALU_DEP_2) | instskip(NEXT) | instid1(VALU_DEP_1)
	v_cndmask_b32_e32 v10, v16, v10, vcc_lo
	v_div_scale_f64 v[14:15], null, v[10:11], v[10:11], v[12:13]
	s_delay_alu instid0(VALU_DEP_1) | instskip(SKIP_1) | instid1(TRANS32_DEP_1)
	v_rcp_f64_e32 v[16:17], v[14:15]
	v_nop
	v_fma_f64 v[18:19], -v[14:15], v[16:17], 1.0
	s_delay_alu instid0(VALU_DEP_1) | instskip(NEXT) | instid1(VALU_DEP_1)
	v_fmac_f64_e32 v[16:17], v[16:17], v[18:19]
	v_fma_f64 v[18:19], -v[14:15], v[16:17], 1.0
	s_delay_alu instid0(VALU_DEP_1) | instskip(SKIP_1) | instid1(VALU_DEP_1)
	v_fmac_f64_e32 v[16:17], v[16:17], v[18:19]
	v_div_scale_f64 v[18:19], vcc_lo, v[12:13], v[10:11], v[12:13]
	v_mul_f64_e32 v[20:21], v[18:19], v[16:17]
	s_delay_alu instid0(VALU_DEP_1) | instskip(NEXT) | instid1(VALU_DEP_1)
	v_fma_f64 v[14:15], -v[14:15], v[20:21], v[18:19]
	v_div_fmas_f64 v[14:15], v[14:15], v[16:17], v[20:21]
                                        ; implicit-def: $vgpr16_vgpr17
	s_delay_alu instid0(VALU_DEP_1)
	v_div_fixup_f64 v[10:11], v[14:15], v[10:11], v[12:13]
                                        ; implicit-def: $vgpr12_vgpr13
                                        ; implicit-def: $vgpr14_vgpr15
.LBB7_93:
	s_and_not1_saveexec_b32 s0, s0
	s_cbranch_execz .LBB7_95
; %bb.94:
	v_cmp_gt_f64_e64 s2, 0x10000000, |v[12:13]|
	s_delay_alu instid0(VALU_DEP_1) | instskip(NEXT) | instid1(VALU_DEP_1)
	v_cndmask_b32_e64 v3, 0, 0x100, s2
	v_ldexp_f64 v[10:11], |v[12:13]|, v3
	v_cndmask_b32_e64 v3, 0, 0xffffff80, s2
	s_delay_alu instid0(VALU_DEP_2) | instskip(SKIP_1) | instid1(TRANS32_DEP_1)
	v_rsq_f64_e32 v[12:13], v[10:11]
	v_cmp_class_f64_e64 vcc_lo, v[10:11], 0x260
	v_mul_f64_e32 v[18:19], v[10:11], v[12:13]
	v_mul_f64_e32 v[12:13], 0.5, v[12:13]
	s_delay_alu instid0(VALU_DEP_1) | instskip(NEXT) | instid1(VALU_DEP_1)
	v_fma_f64 v[20:21], -v[12:13], v[18:19], 0.5
	v_fmac_f64_e32 v[18:19], v[18:19], v[20:21]
	v_fmac_f64_e32 v[12:13], v[12:13], v[20:21]
	s_delay_alu instid0(VALU_DEP_2) | instskip(NEXT) | instid1(VALU_DEP_1)
	v_fma_f64 v[20:21], -v[18:19], v[18:19], v[10:11]
	v_fmac_f64_e32 v[18:19], v[20:21], v[12:13]
	s_delay_alu instid0(VALU_DEP_1) | instskip(NEXT) | instid1(VALU_DEP_1)
	v_fma_f64 v[20:21], -v[18:19], v[18:19], v[10:11]
	v_fmac_f64_e32 v[18:19], v[20:21], v[12:13]
	v_mul_f64_e32 v[12:13], -0.5, v[16:17]
	s_delay_alu instid0(VALU_DEP_2) | instskip(NEXT) | instid1(VALU_DEP_1)
	v_ldexp_f64 v[16:17], v[18:19], v3
	v_dual_mul_f64 v[12:13], v[14:15], v[12:13] :: v_dual_cndmask_b32 v11, v17, v11, vcc_lo
	s_delay_alu instid0(VALU_DEP_2) | instskip(NEXT) | instid1(VALU_DEP_1)
	v_cndmask_b32_e32 v10, v16, v10, vcc_lo
	v_div_scale_f64 v[14:15], null, v[10:11], v[10:11], v[12:13]
	s_delay_alu instid0(VALU_DEP_1) | instskip(SKIP_1) | instid1(TRANS32_DEP_1)
	v_rcp_f64_e32 v[16:17], v[14:15]
	v_nop
	v_fma_f64 v[18:19], -v[14:15], v[16:17], 1.0
	s_delay_alu instid0(VALU_DEP_1) | instskip(NEXT) | instid1(VALU_DEP_1)
	v_fmac_f64_e32 v[16:17], v[16:17], v[18:19]
	v_fma_f64 v[18:19], -v[14:15], v[16:17], 1.0
	s_delay_alu instid0(VALU_DEP_1) | instskip(SKIP_1) | instid1(VALU_DEP_1)
	v_fmac_f64_e32 v[16:17], v[16:17], v[18:19]
	v_div_scale_f64 v[18:19], vcc_lo, v[12:13], v[10:11], v[12:13]
	v_mul_f64_e32 v[20:21], v[18:19], v[16:17]
	s_delay_alu instid0(VALU_DEP_1) | instskip(NEXT) | instid1(VALU_DEP_1)
	v_fma_f64 v[14:15], -v[14:15], v[20:21], v[18:19]
	v_div_fmas_f64 v[14:15], v[14:15], v[16:17], v[20:21]
	s_delay_alu instid0(VALU_DEP_1)
	v_div_fixup_f64 v[10:11], v[14:15], v[10:11], v[12:13]
.LBB7_95:
	s_or_b32 exec_lo, exec_lo, s0
.LBB7_96:
	s_delay_alu instid0(SALU_CYCLE_1)
	s_or_b32 exec_lo, exec_lo, s1
	global_load_b64 v[14:15], v1, s[6:7]
                                        ; implicit-def: $vgpr12_vgpr13
	s_wait_loadcnt 0x0
	v_cmp_ge_f64_e64 s0, 0x40200000, |v[14:15]|
	s_wait_xcnt 0x0
	s_and_saveexec_b32 s1, s0
	s_delay_alu instid0(SALU_CYCLE_1)
	s_xor_b32 s0, exec_lo, s1
	s_cbranch_execz .LBB7_102
; %bb.97:
	v_fma_f64 v[12:13], |v[14:15]|, 0.5, -2.0
	s_mov_b64 s[2:3], 0x3c499f2a0c3c4014
	s_mov_b32 s1, exec_lo
	s_delay_alu instid0(VALU_DEP_1) | instskip(SKIP_1) | instid1(SALU_CYCLE_1)
	v_fmaak_f64 v[16:17], s[2:3], v[12:13], 0xbc7857d0c38a0576
	s_mov_b64 s[2:3], 0x3ff71547652b82fe
	v_mul_f64_e64 v[20:21], |v[14:15]|, s[2:3]
	s_mov_b64 s[2:3], 0xbfe62e42fefa39ef
	s_delay_alu instid0(VALU_DEP_2) | instskip(NEXT) | instid1(VALU_DEP_1)
	v_fmaak_f64 v[18:19], v[12:13], v[16:17], 0xbc499f2a0c3c4014
	v_add_f64_e32 v[18:19], 0x3ca663e3e593bfac, v[18:19]
	s_delay_alu instid0(VALU_DEP_3) | instskip(NEXT) | instid1(VALU_DEP_2)
	v_rndne_f64_e32 v[20:21], v[20:21]
	v_fma_f64 v[16:17], v[12:13], v[18:19], -v[16:17]
	s_delay_alu instid0(VALU_DEP_2) | instskip(SKIP_2) | instid1(VALU_DEP_3)
	v_fma_f64 v[22:23], v[20:21], s[2:3], |v[14:15]|
	s_mov_b64 s[2:3], 0x3e5ade156a5dcb37
	v_cvt_i32_f64_e32 v1, v[20:21]
	v_add_f64_e32 v[16:17], 0xbcd3eaaa7e0d1573, v[16:17]
	s_delay_alu instid0(VALU_DEP_1) | instskip(NEXT) | instid1(VALU_DEP_1)
	v_fma_f64 v[18:19], v[12:13], v[16:17], -v[18:19]
	v_add_f64_e32 v[18:19], 0x3d011d7f0615290c, v[18:19]
	s_delay_alu instid0(VALU_DEP_1) | instskip(NEXT) | instid1(VALU_DEP_1)
	v_fma_f64 v[16:17], v[12:13], v[18:19], -v[16:17]
	;; [unrolled: 3-line block ×24, first 2 shown]
	v_add_f64_e32 v[16:17], 0xbfc694d10469192e, v[16:17]
	s_delay_alu instid0(VALU_DEP_1) | instskip(SKIP_1) | instid1(VALU_DEP_1)
	v_fma_f64 v[12:13], v[12:13], v[16:17], -v[18:19]
	v_fmamk_f64 v[16:17], v[20:21], 0xbc7abc9e3b39803f, v[22:23]
	v_fmaak_f64 v[22:23], s[2:3], v[16:17], 0x3e928af3fca7ab0c
	s_delay_alu instid0(VALU_DEP_1) | instskip(NEXT) | instid1(VALU_DEP_1)
	v_fmaak_f64 v[22:23], v[16:17], v[22:23], 0x3ec71dee623fde64
	v_fmaak_f64 v[22:23], v[16:17], v[22:23], 0x3efa01997c89e6b0
	s_delay_alu instid0(VALU_DEP_1) | instskip(SKIP_1) | instid1(VALU_DEP_2)
	v_fmaak_f64 v[22:23], v[16:17], v[22:23], 0x3f2a01a014761f6e
	v_add_f64_e32 v[12:13], 0x3fd02a63724a7ffa, v[12:13]
	v_fmaak_f64 v[22:23], v[16:17], v[22:23], 0x3f56c16c1852b7b0
	s_delay_alu instid0(VALU_DEP_2) | instskip(NEXT) | instid1(VALU_DEP_2)
	v_add_f64_e64 v[12:13], v[12:13], -v[18:19]
	v_fmaak_f64 v[18:19], v[16:17], v[22:23], 0x3f81111111122322
	s_delay_alu instid0(VALU_DEP_1) | instskip(NEXT) | instid1(VALU_DEP_1)
	v_fmaak_f64 v[18:19], v[16:17], v[18:19], 0x3fa55555555502a1
	v_fmaak_f64 v[18:19], v[16:17], v[18:19], 0x3fc5555555555511
	s_delay_alu instid0(VALU_DEP_1) | instskip(NEXT) | instid1(VALU_DEP_1)
	v_fmaak_f64 v[18:19], v[16:17], v[18:19], 0x3fe000000000000b
	v_fma_f64 v[18:19], v[16:17], v[18:19], 1.0
	v_mul_f64_e32 v[12:13], 0.5, v[12:13]
	s_delay_alu instid0(VALU_DEP_2) | instskip(NEXT) | instid1(VALU_DEP_2)
	v_fma_f64 v[18:19], v[16:17], v[18:19], 1.0
	v_mul_f64_e64 v[16:17], |v[14:15]|, v[12:13]
                                        ; implicit-def: $vgpr12_vgpr13
	v_cmpx_ngt_f64_e32 0, v[14:15]
	s_xor_b32 s1, exec_lo, s1
	s_cbranch_execz .LBB7_99
; %bb.98:
	s_delay_alu instid0(VALU_DEP_3) | instskip(SKIP_1) | instid1(VALU_DEP_2)
	v_ldexp_f64 v[12:13], v[18:19], v1
	v_cmp_nlt_f64_e64 vcc_lo, 0x40900000, |v[14:15]|
                                        ; implicit-def: $vgpr18_vgpr19
                                        ; implicit-def: $vgpr1
                                        ; implicit-def: $vgpr14_vgpr15
	v_cndmask_b32_e32 v13, 0x7ff00000, v13, vcc_lo
	s_delay_alu instid0(VALU_DEP_3) | instskip(NEXT) | instid1(VALU_DEP_1)
	v_cndmask_b32_e32 v12, 0, v12, vcc_lo
	v_mul_f64_e32 v[12:13], v[12:13], v[16:17]
                                        ; implicit-def: $vgpr16_vgpr17
.LBB7_99:
	s_and_not1_saveexec_b32 s1, s1
	s_cbranch_execz .LBB7_101
; %bb.100:
	s_delay_alu instid0(VALU_DEP_3) | instskip(SKIP_1) | instid1(VALU_DEP_2)
	v_ldexp_f64 v[12:13], -v[18:19], v1
	v_cmp_nlt_f64_e64 vcc_lo, 0x40900000, |v[14:15]|
	v_cndmask_b32_e32 v13, 0xfff00000, v13, vcc_lo
	s_delay_alu instid0(VALU_DEP_3) | instskip(NEXT) | instid1(VALU_DEP_1)
	v_cndmask_b32_e32 v12, 0, v12, vcc_lo
	v_mul_f64_e32 v[12:13], v[12:13], v[16:17]
.LBB7_101:
	s_or_b32 exec_lo, exec_lo, s1
                                        ; implicit-def: $vgpr14_vgpr15
.LBB7_102:
	s_and_not1_saveexec_b32 s1, s0
	s_cbranch_execz .LBB7_108
; %bb.103:
	v_and_b32_e32 v13, 0x7fffffff, v15
	v_mov_b32_e32 v12, v14
	s_mov_b64 s[2:3], 0x3c61556db352e8e6
	v_cmp_ngt_f64_e64 s0, 0, v[14:15]
	s_delay_alu instid0(VALU_DEP_2) | instskip(SKIP_1) | instid1(VALU_DEP_2)
	v_div_scale_f64 v[16:17], null, v[12:13], v[12:13], 0x40400000
	v_div_scale_f64 v[12:13], vcc_lo, 0x40400000, v[12:13], 0x40400000
	v_rcp_f64_e32 v[18:19], v[16:17]
	v_nop
	s_delay_alu instid0(TRANS32_DEP_1) | instskip(NEXT) | instid1(VALU_DEP_1)
	v_fma_f64 v[20:21], -v[16:17], v[18:19], 1.0
	v_fmac_f64_e32 v[18:19], v[18:19], v[20:21]
	s_delay_alu instid0(VALU_DEP_1) | instskip(NEXT) | instid1(VALU_DEP_1)
	v_fma_f64 v[20:21], -v[16:17], v[18:19], 1.0
	v_fmac_f64_e32 v[18:19], v[18:19], v[20:21]
	s_delay_alu instid0(VALU_DEP_1) | instskip(NEXT) | instid1(VALU_DEP_1)
	v_mul_f64_e32 v[20:21], v[12:13], v[18:19]
	v_fma_f64 v[12:13], -v[16:17], v[20:21], v[12:13]
	s_delay_alu instid0(VALU_DEP_1) | instskip(SKIP_1) | instid1(VALU_DEP_2)
	v_div_fmas_f64 v[12:13], v[12:13], v[18:19], v[20:21]
	v_cmp_nlt_f64_e64 vcc_lo, 0x40900000, |v[14:15]|
	v_div_fixup_f64 v[12:13], v[12:13], |v[14:15]|, 0x40400000
	s_delay_alu instid0(VALU_DEP_1) | instskip(NEXT) | instid1(VALU_DEP_1)
	v_add_f64_e32 v[12:13], -2.0, v[12:13]
	v_fmaak_f64 v[16:17], s[2:3], v[12:13], 0x3c545b8aea87b950
	s_mov_b64 s[2:3], 0x3ff71547652b82fe
	s_delay_alu instid0(SALU_CYCLE_1) | instskip(SKIP_1) | instid1(VALU_DEP_2)
	v_mul_f64_e64 v[20:21], |v[14:15]|, s[2:3]
	s_mov_b64 s[2:3], 0xbfe62e42fefa39ef
	v_fmaak_f64 v[18:19], v[12:13], v[16:17], 0xbc61556db352e8e6
	s_delay_alu instid0(VALU_DEP_1) | instskip(NEXT) | instid1(VALU_DEP_3)
	v_add_f64_e32 v[18:19], 0xbc8acea3b2532277, v[18:19]
	v_rndne_f64_e32 v[20:21], v[20:21]
	s_delay_alu instid0(VALU_DEP_2) | instskip(NEXT) | instid1(VALU_DEP_2)
	v_fma_f64 v[16:17], v[12:13], v[18:19], -v[16:17]
	v_fma_f64 v[22:23], v[20:21], s[2:3], |v[14:15]|
	s_mov_b64 s[2:3], 0x3e5ade156a5dcb37
	v_cvt_i32_f64_e32 v1, v[20:21]
	s_delay_alu instid0(VALU_DEP_3) | instskip(NEXT) | instid1(VALU_DEP_3)
	v_add_f64_e32 v[16:17], 0xbc82806c9c773320, v[16:17]
	v_fmamk_f64 v[22:23], v[20:21], 0xbc7abc9e3b39803f, v[22:23]
	s_delay_alu instid0(VALU_DEP_1) | instskip(NEXT) | instid1(VALU_DEP_3)
	v_fmaak_f64 v[24:25], s[2:3], v[22:23], 0x3e928af3fca7ab0c
	v_fma_f64 v[18:19], v[12:13], v[16:17], -v[18:19]
	s_delay_alu instid0(VALU_DEP_2) | instskip(NEXT) | instid1(VALU_DEP_1)
	v_fmaak_f64 v[24:25], v[22:23], v[24:25], 0x3ec71dee623fde64
	v_fmaak_f64 v[24:25], v[22:23], v[24:25], 0x3efa01997c89e6b0
	s_delay_alu instid0(VALU_DEP_1) | instskip(NEXT) | instid1(VALU_DEP_1)
	v_fmaak_f64 v[24:25], v[22:23], v[24:25], 0x3f2a01a014761f6e
	v_fmaak_f64 v[24:25], v[22:23], v[24:25], 0x3f56c16c1852b7b0
	s_delay_alu instid0(VALU_DEP_1) | instskip(SKIP_1) | instid1(VALU_DEP_2)
	v_fmaak_f64 v[24:25], v[22:23], v[24:25], 0x3f81111111122322
	v_add_f64_e32 v[18:19], 0x3cb55915fceb588a, v[18:19]
	v_fmaak_f64 v[24:25], v[22:23], v[24:25], 0x3fa55555555502a1
	s_delay_alu instid0(VALU_DEP_1) | instskip(NEXT) | instid1(VALU_DEP_1)
	v_fmaak_f64 v[24:25], v[22:23], v[24:25], 0x3fc5555555555511
	v_fmaak_f64 v[24:25], v[22:23], v[24:25], 0x3fe000000000000b
	s_delay_alu instid0(VALU_DEP_1) | instskip(SKIP_1) | instid1(VALU_DEP_1)
	v_fma_f64 v[24:25], v[22:23], v[24:25], 1.0
	v_fma_f64 v[16:17], v[12:13], v[18:19], -v[16:17]
	v_add_f64_e32 v[16:17], 0x3cb7d68e5f04a2d1, v[16:17]
	s_delay_alu instid0(VALU_DEP_1) | instskip(NEXT) | instid1(VALU_DEP_1)
	v_fma_f64 v[18:19], v[12:13], v[16:17], -v[18:19]
	v_add_f64_e32 v[18:19], 0xbce0efcd8bc4d22a, v[18:19]
	s_delay_alu instid0(VALU_DEP_1) | instskip(NEXT) | instid1(VALU_DEP_1)
	;; [unrolled: 3-line block ×18, first 2 shown]
	v_fma_f64 v[16:17], v[12:13], v[18:19], -v[16:17]
	v_add_f64_e32 v[16:17], 0xbf83fda053fcdb4c, v[16:17]
	s_delay_alu instid0(VALU_DEP_1) | instskip(SKIP_1) | instid1(VALU_DEP_2)
	v_fma_f64 v[12:13], v[12:13], v[16:17], -v[18:19]
	v_fma_f64 v[16:17], v[22:23], v[24:25], 1.0
	v_add_f64_e32 v[12:13], 0x3fe8ea18b55b1514, v[12:13]
	s_delay_alu instid0(VALU_DEP_2) | instskip(NEXT) | instid1(VALU_DEP_2)
	v_ldexp_f64 v[16:17], v[16:17], v1
	v_add_f64_e64 v[18:19], v[12:13], -v[18:19]
	s_delay_alu instid0(VALU_DEP_2) | instskip(NEXT) | instid1(VALU_DEP_3)
	v_cndmask_b32_e32 v17, 0x7ff00000, v17, vcc_lo
	v_cndmask_b32_e32 v16, 0, v16, vcc_lo
                                        ; implicit-def: $vgpr12_vgpr13
	s_and_saveexec_b32 s2, s0
	s_delay_alu instid0(SALU_CYCLE_1)
	s_xor_b32 s0, exec_lo, s2
	s_cbranch_execz .LBB7_105
; %bb.104:
	v_cmp_gt_f64_e64 s2, 0x10000000, |v[14:15]|
	s_delay_alu instid0(VALU_DEP_1) | instskip(NEXT) | instid1(VALU_DEP_1)
	v_cndmask_b32_e64 v1, 0, 0x100, s2
	v_ldexp_f64 v[12:13], |v[14:15]|, v1
	v_cndmask_b32_e64 v1, 0, 0xffffff80, s2
	s_delay_alu instid0(VALU_DEP_2) | instskip(SKIP_1) | instid1(TRANS32_DEP_1)
	v_rsq_f64_e32 v[14:15], v[12:13]
	v_cmp_class_f64_e64 vcc_lo, v[12:13], 0x260
	v_mul_f64_e32 v[20:21], v[12:13], v[14:15]
	v_mul_f64_e32 v[14:15], 0.5, v[14:15]
	s_delay_alu instid0(VALU_DEP_1) | instskip(NEXT) | instid1(VALU_DEP_1)
	v_fma_f64 v[22:23], -v[14:15], v[20:21], 0.5
	v_fmac_f64_e32 v[20:21], v[20:21], v[22:23]
	v_fmac_f64_e32 v[14:15], v[14:15], v[22:23]
	s_delay_alu instid0(VALU_DEP_2) | instskip(NEXT) | instid1(VALU_DEP_1)
	v_fma_f64 v[22:23], -v[20:21], v[20:21], v[12:13]
	v_fmac_f64_e32 v[20:21], v[22:23], v[14:15]
	s_delay_alu instid0(VALU_DEP_1) | instskip(NEXT) | instid1(VALU_DEP_1)
	v_fma_f64 v[22:23], -v[20:21], v[20:21], v[12:13]
	v_fmac_f64_e32 v[20:21], v[22:23], v[14:15]
	v_mul_f64_e32 v[14:15], 0.5, v[18:19]
	s_delay_alu instid0(VALU_DEP_2) | instskip(NEXT) | instid1(VALU_DEP_1)
	v_ldexp_f64 v[18:19], v[20:21], v1
	v_dual_mul_f64 v[14:15], v[16:17], v[14:15] :: v_dual_cndmask_b32 v13, v19, v13, vcc_lo
	s_delay_alu instid0(VALU_DEP_2) | instskip(NEXT) | instid1(VALU_DEP_1)
	v_cndmask_b32_e32 v12, v18, v12, vcc_lo
	v_div_scale_f64 v[16:17], null, v[12:13], v[12:13], v[14:15]
	s_delay_alu instid0(VALU_DEP_1) | instskip(SKIP_1) | instid1(TRANS32_DEP_1)
	v_rcp_f64_e32 v[18:19], v[16:17]
	v_nop
	v_fma_f64 v[20:21], -v[16:17], v[18:19], 1.0
	s_delay_alu instid0(VALU_DEP_1) | instskip(NEXT) | instid1(VALU_DEP_1)
	v_fmac_f64_e32 v[18:19], v[18:19], v[20:21]
	v_fma_f64 v[20:21], -v[16:17], v[18:19], 1.0
	s_delay_alu instid0(VALU_DEP_1) | instskip(SKIP_1) | instid1(VALU_DEP_1)
	v_fmac_f64_e32 v[18:19], v[18:19], v[20:21]
	v_div_scale_f64 v[20:21], vcc_lo, v[14:15], v[12:13], v[14:15]
	v_mul_f64_e32 v[22:23], v[20:21], v[18:19]
	s_delay_alu instid0(VALU_DEP_1) | instskip(NEXT) | instid1(VALU_DEP_1)
	v_fma_f64 v[16:17], -v[16:17], v[22:23], v[20:21]
	v_div_fmas_f64 v[16:17], v[16:17], v[18:19], v[22:23]
                                        ; implicit-def: $vgpr18_vgpr19
	s_delay_alu instid0(VALU_DEP_1)
	v_div_fixup_f64 v[12:13], v[16:17], v[12:13], v[14:15]
                                        ; implicit-def: $vgpr14_vgpr15
                                        ; implicit-def: $vgpr16_vgpr17
.LBB7_105:
	s_and_not1_saveexec_b32 s0, s0
	s_cbranch_execz .LBB7_107
; %bb.106:
	v_cmp_gt_f64_e64 s2, 0x10000000, |v[14:15]|
	s_delay_alu instid0(VALU_DEP_1) | instskip(NEXT) | instid1(VALU_DEP_1)
	v_cndmask_b32_e64 v1, 0, 0x100, s2
	v_ldexp_f64 v[12:13], |v[14:15]|, v1
	v_cndmask_b32_e64 v1, 0, 0xffffff80, s2
	s_delay_alu instid0(VALU_DEP_2) | instskip(SKIP_1) | instid1(TRANS32_DEP_1)
	v_rsq_f64_e32 v[14:15], v[12:13]
	v_cmp_class_f64_e64 vcc_lo, v[12:13], 0x260
	v_mul_f64_e32 v[20:21], v[12:13], v[14:15]
	v_mul_f64_e32 v[14:15], 0.5, v[14:15]
	s_delay_alu instid0(VALU_DEP_1) | instskip(NEXT) | instid1(VALU_DEP_1)
	v_fma_f64 v[22:23], -v[14:15], v[20:21], 0.5
	v_fmac_f64_e32 v[20:21], v[20:21], v[22:23]
	v_fmac_f64_e32 v[14:15], v[14:15], v[22:23]
	s_delay_alu instid0(VALU_DEP_2) | instskip(NEXT) | instid1(VALU_DEP_1)
	v_fma_f64 v[22:23], -v[20:21], v[20:21], v[12:13]
	v_fmac_f64_e32 v[20:21], v[22:23], v[14:15]
	s_delay_alu instid0(VALU_DEP_1) | instskip(NEXT) | instid1(VALU_DEP_1)
	v_fma_f64 v[22:23], -v[20:21], v[20:21], v[12:13]
	v_fmac_f64_e32 v[20:21], v[22:23], v[14:15]
	v_mul_f64_e32 v[14:15], -0.5, v[18:19]
	s_delay_alu instid0(VALU_DEP_2) | instskip(NEXT) | instid1(VALU_DEP_1)
	v_ldexp_f64 v[18:19], v[20:21], v1
	v_dual_mul_f64 v[14:15], v[16:17], v[14:15] :: v_dual_cndmask_b32 v13, v19, v13, vcc_lo
	s_delay_alu instid0(VALU_DEP_2) | instskip(NEXT) | instid1(VALU_DEP_1)
	v_cndmask_b32_e32 v12, v18, v12, vcc_lo
	v_div_scale_f64 v[16:17], null, v[12:13], v[12:13], v[14:15]
	s_delay_alu instid0(VALU_DEP_1) | instskip(SKIP_1) | instid1(TRANS32_DEP_1)
	v_rcp_f64_e32 v[18:19], v[16:17]
	v_nop
	v_fma_f64 v[20:21], -v[16:17], v[18:19], 1.0
	s_delay_alu instid0(VALU_DEP_1) | instskip(NEXT) | instid1(VALU_DEP_1)
	v_fmac_f64_e32 v[18:19], v[18:19], v[20:21]
	v_fma_f64 v[20:21], -v[16:17], v[18:19], 1.0
	s_delay_alu instid0(VALU_DEP_1) | instskip(SKIP_1) | instid1(VALU_DEP_1)
	v_fmac_f64_e32 v[18:19], v[18:19], v[20:21]
	v_div_scale_f64 v[20:21], vcc_lo, v[14:15], v[12:13], v[14:15]
	v_mul_f64_e32 v[22:23], v[20:21], v[18:19]
	s_delay_alu instid0(VALU_DEP_1) | instskip(NEXT) | instid1(VALU_DEP_1)
	v_fma_f64 v[16:17], -v[16:17], v[22:23], v[20:21]
	v_div_fmas_f64 v[16:17], v[16:17], v[18:19], v[22:23]
	s_delay_alu instid0(VALU_DEP_1)
	v_div_fixup_f64 v[12:13], v[16:17], v[12:13], v[14:15]
.LBB7_107:
	s_or_b32 exec_lo, exec_lo, s0
.LBB7_108:
	s_delay_alu instid0(SALU_CYCLE_1)
	s_or_b32 exec_lo, exec_lo, s1
	global_load_b64 v[14:15], v7, s[6:7]
                                        ; implicit-def: $vgpr16_vgpr17
	s_wait_loadcnt 0x0
	v_cmp_ge_f64_e64 s0, 0x40200000, |v[14:15]|
	s_wait_xcnt 0x0
	s_and_saveexec_b32 s1, s0
	s_delay_alu instid0(SALU_CYCLE_1)
	s_xor_b32 s0, exec_lo, s1
	s_cbranch_execz .LBB7_114
; %bb.109:
	v_fma_f64 v[16:17], |v[14:15]|, 0.5, -2.0
	s_mov_b64 s[2:3], 0x3c499f2a0c3c4014
	s_mov_b32 s1, exec_lo
	s_delay_alu instid0(VALU_DEP_1) | instskip(SKIP_1) | instid1(SALU_CYCLE_1)
	v_fmaak_f64 v[18:19], s[2:3], v[16:17], 0xbc7857d0c38a0576
	s_mov_b64 s[2:3], 0x3ff71547652b82fe
	v_mul_f64_e64 v[22:23], |v[14:15]|, s[2:3]
	s_mov_b64 s[2:3], 0xbfe62e42fefa39ef
	s_delay_alu instid0(VALU_DEP_2) | instskip(NEXT) | instid1(VALU_DEP_1)
	v_fmaak_f64 v[20:21], v[16:17], v[18:19], 0xbc499f2a0c3c4014
	v_add_f64_e32 v[20:21], 0x3ca663e3e593bfac, v[20:21]
	s_delay_alu instid0(VALU_DEP_3) | instskip(NEXT) | instid1(VALU_DEP_2)
	v_rndne_f64_e32 v[22:23], v[22:23]
	v_fma_f64 v[18:19], v[16:17], v[20:21], -v[18:19]
	s_delay_alu instid0(VALU_DEP_2) | instskip(SKIP_2) | instid1(VALU_DEP_3)
	v_fma_f64 v[24:25], v[22:23], s[2:3], |v[14:15]|
	s_mov_b64 s[2:3], 0x3e5ade156a5dcb37
	v_cvt_i32_f64_e32 v1, v[22:23]
	v_add_f64_e32 v[18:19], 0xbcd3eaaa7e0d1573, v[18:19]
	s_delay_alu instid0(VALU_DEP_1) | instskip(NEXT) | instid1(VALU_DEP_1)
	v_fma_f64 v[20:21], v[16:17], v[18:19], -v[20:21]
	v_add_f64_e32 v[20:21], 0x3d011d7f0615290c, v[20:21]
	s_delay_alu instid0(VALU_DEP_1) | instskip(NEXT) | instid1(VALU_DEP_1)
	v_fma_f64 v[18:19], v[16:17], v[20:21], -v[18:19]
	;; [unrolled: 3-line block ×24, first 2 shown]
	v_add_f64_e32 v[18:19], 0xbfc694d10469192e, v[18:19]
	s_delay_alu instid0(VALU_DEP_1) | instskip(SKIP_1) | instid1(VALU_DEP_1)
	v_fma_f64 v[16:17], v[16:17], v[18:19], -v[20:21]
	v_fmamk_f64 v[18:19], v[22:23], 0xbc7abc9e3b39803f, v[24:25]
	v_fmaak_f64 v[24:25], s[2:3], v[18:19], 0x3e928af3fca7ab0c
	s_delay_alu instid0(VALU_DEP_1) | instskip(NEXT) | instid1(VALU_DEP_1)
	v_fmaak_f64 v[24:25], v[18:19], v[24:25], 0x3ec71dee623fde64
	v_fmaak_f64 v[24:25], v[18:19], v[24:25], 0x3efa01997c89e6b0
	s_delay_alu instid0(VALU_DEP_1) | instskip(SKIP_1) | instid1(VALU_DEP_2)
	v_fmaak_f64 v[24:25], v[18:19], v[24:25], 0x3f2a01a014761f6e
	v_add_f64_e32 v[16:17], 0x3fd02a63724a7ffa, v[16:17]
	v_fmaak_f64 v[24:25], v[18:19], v[24:25], 0x3f56c16c1852b7b0
	s_delay_alu instid0(VALU_DEP_2) | instskip(NEXT) | instid1(VALU_DEP_2)
	v_add_f64_e64 v[16:17], v[16:17], -v[20:21]
	v_fmaak_f64 v[20:21], v[18:19], v[24:25], 0x3f81111111122322
	s_delay_alu instid0(VALU_DEP_1) | instskip(NEXT) | instid1(VALU_DEP_1)
	v_fmaak_f64 v[20:21], v[18:19], v[20:21], 0x3fa55555555502a1
	v_fmaak_f64 v[20:21], v[18:19], v[20:21], 0x3fc5555555555511
	s_delay_alu instid0(VALU_DEP_1) | instskip(NEXT) | instid1(VALU_DEP_1)
	v_fmaak_f64 v[20:21], v[18:19], v[20:21], 0x3fe000000000000b
	v_fma_f64 v[20:21], v[18:19], v[20:21], 1.0
	v_mul_f64_e32 v[16:17], 0.5, v[16:17]
	s_delay_alu instid0(VALU_DEP_2) | instskip(NEXT) | instid1(VALU_DEP_2)
	v_fma_f64 v[20:21], v[18:19], v[20:21], 1.0
	v_mul_f64_e64 v[18:19], |v[14:15]|, v[16:17]
                                        ; implicit-def: $vgpr16_vgpr17
	v_cmpx_ngt_f64_e32 0, v[14:15]
	s_xor_b32 s1, exec_lo, s1
	s_cbranch_execz .LBB7_111
; %bb.110:
	s_delay_alu instid0(VALU_DEP_3) | instskip(SKIP_1) | instid1(VALU_DEP_2)
	v_ldexp_f64 v[16:17], v[20:21], v1
	v_cmp_nlt_f64_e64 vcc_lo, 0x40900000, |v[14:15]|
                                        ; implicit-def: $vgpr20_vgpr21
                                        ; implicit-def: $vgpr1
	v_cndmask_b32_e32 v15, 0x7ff00000, v17, vcc_lo
	s_delay_alu instid0(VALU_DEP_3) | instskip(NEXT) | instid1(VALU_DEP_1)
	v_cndmask_b32_e32 v14, 0, v16, vcc_lo
	v_mul_f64_e32 v[16:17], v[14:15], v[18:19]
                                        ; implicit-def: $vgpr14_vgpr15
                                        ; implicit-def: $vgpr18_vgpr19
.LBB7_111:
	s_and_not1_saveexec_b32 s1, s1
	s_cbranch_execz .LBB7_113
; %bb.112:
	s_delay_alu instid0(VALU_DEP_3) | instskip(SKIP_1) | instid1(VALU_DEP_2)
	v_ldexp_f64 v[16:17], -v[20:21], v1
	v_cmp_nlt_f64_e64 vcc_lo, 0x40900000, |v[14:15]|
	v_cndmask_b32_e32 v15, 0xfff00000, v17, vcc_lo
	s_delay_alu instid0(VALU_DEP_3) | instskip(NEXT) | instid1(VALU_DEP_1)
	v_cndmask_b32_e32 v14, 0, v16, vcc_lo
	v_mul_f64_e32 v[16:17], v[14:15], v[18:19]
.LBB7_113:
	s_or_b32 exec_lo, exec_lo, s1
                                        ; implicit-def: $vgpr14_vgpr15
.LBB7_114:
	s_and_not1_saveexec_b32 s1, s0
	s_cbranch_execz .LBB7_120
; %bb.115:
	v_and_b32_e32 v17, 0x7fffffff, v15
	v_mov_b32_e32 v16, v14
	s_mov_b64 s[2:3], 0x3c61556db352e8e6
	v_cmp_ngt_f64_e64 s0, 0, v[14:15]
	s_delay_alu instid0(VALU_DEP_2) | instskip(SKIP_1) | instid1(VALU_DEP_2)
	v_div_scale_f64 v[18:19], null, v[16:17], v[16:17], 0x40400000
	v_div_scale_f64 v[16:17], vcc_lo, 0x40400000, v[16:17], 0x40400000
	v_rcp_f64_e32 v[20:21], v[18:19]
	v_nop
	s_delay_alu instid0(TRANS32_DEP_1) | instskip(NEXT) | instid1(VALU_DEP_1)
	v_fma_f64 v[22:23], -v[18:19], v[20:21], 1.0
	v_fmac_f64_e32 v[20:21], v[20:21], v[22:23]
	s_delay_alu instid0(VALU_DEP_1) | instskip(NEXT) | instid1(VALU_DEP_1)
	v_fma_f64 v[22:23], -v[18:19], v[20:21], 1.0
	v_fmac_f64_e32 v[20:21], v[20:21], v[22:23]
	s_delay_alu instid0(VALU_DEP_1) | instskip(NEXT) | instid1(VALU_DEP_1)
	v_mul_f64_e32 v[22:23], v[16:17], v[20:21]
	v_fma_f64 v[16:17], -v[18:19], v[22:23], v[16:17]
	s_delay_alu instid0(VALU_DEP_1) | instskip(SKIP_1) | instid1(VALU_DEP_2)
	v_div_fmas_f64 v[16:17], v[16:17], v[20:21], v[22:23]
	v_cmp_nlt_f64_e64 vcc_lo, 0x40900000, |v[14:15]|
	v_div_fixup_f64 v[16:17], v[16:17], |v[14:15]|, 0x40400000
	s_delay_alu instid0(VALU_DEP_1) | instskip(NEXT) | instid1(VALU_DEP_1)
	v_add_f64_e32 v[16:17], -2.0, v[16:17]
	v_fmaak_f64 v[18:19], s[2:3], v[16:17], 0x3c545b8aea87b950
	s_mov_b64 s[2:3], 0x3ff71547652b82fe
	s_delay_alu instid0(SALU_CYCLE_1) | instskip(SKIP_1) | instid1(VALU_DEP_2)
	v_mul_f64_e64 v[22:23], |v[14:15]|, s[2:3]
	s_mov_b64 s[2:3], 0xbfe62e42fefa39ef
	v_fmaak_f64 v[20:21], v[16:17], v[18:19], 0xbc61556db352e8e6
	s_delay_alu instid0(VALU_DEP_1) | instskip(NEXT) | instid1(VALU_DEP_3)
	v_add_f64_e32 v[20:21], 0xbc8acea3b2532277, v[20:21]
	v_rndne_f64_e32 v[22:23], v[22:23]
	s_delay_alu instid0(VALU_DEP_2) | instskip(NEXT) | instid1(VALU_DEP_2)
	v_fma_f64 v[18:19], v[16:17], v[20:21], -v[18:19]
	v_fma_f64 v[24:25], v[22:23], s[2:3], |v[14:15]|
	s_mov_b64 s[2:3], 0x3e5ade156a5dcb37
	v_cvt_i32_f64_e32 v1, v[22:23]
	s_delay_alu instid0(VALU_DEP_3) | instskip(NEXT) | instid1(VALU_DEP_3)
	v_add_f64_e32 v[18:19], 0xbc82806c9c773320, v[18:19]
	v_fmamk_f64 v[24:25], v[22:23], 0xbc7abc9e3b39803f, v[24:25]
	s_delay_alu instid0(VALU_DEP_1) | instskip(NEXT) | instid1(VALU_DEP_3)
	v_fmaak_f64 v[26:27], s[2:3], v[24:25], 0x3e928af3fca7ab0c
	v_fma_f64 v[20:21], v[16:17], v[18:19], -v[20:21]
	s_delay_alu instid0(VALU_DEP_2) | instskip(NEXT) | instid1(VALU_DEP_1)
	v_fmaak_f64 v[26:27], v[24:25], v[26:27], 0x3ec71dee623fde64
	v_fmaak_f64 v[26:27], v[24:25], v[26:27], 0x3efa01997c89e6b0
	s_delay_alu instid0(VALU_DEP_1) | instskip(NEXT) | instid1(VALU_DEP_1)
	v_fmaak_f64 v[26:27], v[24:25], v[26:27], 0x3f2a01a014761f6e
	v_fmaak_f64 v[26:27], v[24:25], v[26:27], 0x3f56c16c1852b7b0
	s_delay_alu instid0(VALU_DEP_1) | instskip(SKIP_1) | instid1(VALU_DEP_2)
	v_fmaak_f64 v[26:27], v[24:25], v[26:27], 0x3f81111111122322
	v_add_f64_e32 v[20:21], 0x3cb55915fceb588a, v[20:21]
	v_fmaak_f64 v[26:27], v[24:25], v[26:27], 0x3fa55555555502a1
	s_delay_alu instid0(VALU_DEP_1) | instskip(NEXT) | instid1(VALU_DEP_1)
	v_fmaak_f64 v[26:27], v[24:25], v[26:27], 0x3fc5555555555511
	v_fmaak_f64 v[26:27], v[24:25], v[26:27], 0x3fe000000000000b
	s_delay_alu instid0(VALU_DEP_1) | instskip(SKIP_1) | instid1(VALU_DEP_1)
	v_fma_f64 v[26:27], v[24:25], v[26:27], 1.0
	v_fma_f64 v[18:19], v[16:17], v[20:21], -v[18:19]
	v_add_f64_e32 v[18:19], 0x3cb7d68e5f04a2d1, v[18:19]
	s_delay_alu instid0(VALU_DEP_1) | instskip(NEXT) | instid1(VALU_DEP_1)
	v_fma_f64 v[20:21], v[16:17], v[18:19], -v[20:21]
	v_add_f64_e32 v[20:21], 0xbce0efcd8bc4d22a, v[20:21]
	s_delay_alu instid0(VALU_DEP_1) | instskip(NEXT) | instid1(VALU_DEP_1)
	;; [unrolled: 3-line block ×18, first 2 shown]
	v_fma_f64 v[18:19], v[16:17], v[20:21], -v[18:19]
	v_add_f64_e32 v[18:19], 0xbf83fda053fcdb4c, v[18:19]
	s_delay_alu instid0(VALU_DEP_1) | instskip(SKIP_1) | instid1(VALU_DEP_2)
	v_fma_f64 v[16:17], v[16:17], v[18:19], -v[20:21]
	v_fma_f64 v[18:19], v[24:25], v[26:27], 1.0
	v_add_f64_e32 v[16:17], 0x3fe8ea18b55b1514, v[16:17]
	s_delay_alu instid0(VALU_DEP_2) | instskip(NEXT) | instid1(VALU_DEP_2)
	v_ldexp_f64 v[18:19], v[18:19], v1
	v_add_f64_e64 v[20:21], v[16:17], -v[20:21]
	s_delay_alu instid0(VALU_DEP_2) | instskip(NEXT) | instid1(VALU_DEP_3)
	v_cndmask_b32_e32 v19, 0x7ff00000, v19, vcc_lo
	v_cndmask_b32_e32 v18, 0, v18, vcc_lo
                                        ; implicit-def: $vgpr16_vgpr17
	s_and_saveexec_b32 s2, s0
	s_delay_alu instid0(SALU_CYCLE_1)
	s_xor_b32 s0, exec_lo, s2
	s_cbranch_execz .LBB7_117
; %bb.116:
	v_cmp_gt_f64_e64 s2, 0x10000000, |v[14:15]|
	s_delay_alu instid0(VALU_DEP_1) | instskip(NEXT) | instid1(VALU_DEP_1)
	v_cndmask_b32_e64 v1, 0, 0x100, s2
	v_ldexp_f64 v[14:15], |v[14:15]|, v1
	v_cndmask_b32_e64 v1, 0, 0xffffff80, s2
	s_delay_alu instid0(VALU_DEP_2) | instskip(SKIP_1) | instid1(TRANS32_DEP_1)
	v_rsq_f64_e32 v[16:17], v[14:15]
	v_cmp_class_f64_e64 vcc_lo, v[14:15], 0x260
	v_mul_f64_e32 v[22:23], v[14:15], v[16:17]
	v_mul_f64_e32 v[16:17], 0.5, v[16:17]
	s_delay_alu instid0(VALU_DEP_1) | instskip(NEXT) | instid1(VALU_DEP_1)
	v_fma_f64 v[24:25], -v[16:17], v[22:23], 0.5
	v_fmac_f64_e32 v[22:23], v[22:23], v[24:25]
	v_fmac_f64_e32 v[16:17], v[16:17], v[24:25]
	s_delay_alu instid0(VALU_DEP_2) | instskip(NEXT) | instid1(VALU_DEP_1)
	v_fma_f64 v[24:25], -v[22:23], v[22:23], v[14:15]
	v_fmac_f64_e32 v[22:23], v[24:25], v[16:17]
	s_delay_alu instid0(VALU_DEP_1) | instskip(NEXT) | instid1(VALU_DEP_1)
	v_fma_f64 v[24:25], -v[22:23], v[22:23], v[14:15]
	v_fmac_f64_e32 v[22:23], v[24:25], v[16:17]
	v_mul_f64_e32 v[16:17], 0.5, v[20:21]
	s_delay_alu instid0(VALU_DEP_2) | instskip(NEXT) | instid1(VALU_DEP_1)
	v_ldexp_f64 v[20:21], v[22:23], v1
	v_dual_mul_f64 v[16:17], v[18:19], v[16:17] :: v_dual_cndmask_b32 v15, v21, v15, vcc_lo
	s_delay_alu instid0(VALU_DEP_2) | instskip(NEXT) | instid1(VALU_DEP_1)
	v_cndmask_b32_e32 v14, v20, v14, vcc_lo
	v_div_scale_f64 v[18:19], null, v[14:15], v[14:15], v[16:17]
	s_delay_alu instid0(VALU_DEP_1) | instskip(SKIP_1) | instid1(TRANS32_DEP_1)
	v_rcp_f64_e32 v[20:21], v[18:19]
	v_nop
	v_fma_f64 v[22:23], -v[18:19], v[20:21], 1.0
	s_delay_alu instid0(VALU_DEP_1) | instskip(NEXT) | instid1(VALU_DEP_1)
	v_fmac_f64_e32 v[20:21], v[20:21], v[22:23]
	v_fma_f64 v[22:23], -v[18:19], v[20:21], 1.0
	s_delay_alu instid0(VALU_DEP_1) | instskip(SKIP_1) | instid1(VALU_DEP_1)
	v_fmac_f64_e32 v[20:21], v[20:21], v[22:23]
	v_div_scale_f64 v[22:23], vcc_lo, v[16:17], v[14:15], v[16:17]
	v_mul_f64_e32 v[24:25], v[22:23], v[20:21]
	s_delay_alu instid0(VALU_DEP_1) | instskip(NEXT) | instid1(VALU_DEP_1)
	v_fma_f64 v[18:19], -v[18:19], v[24:25], v[22:23]
	v_div_fmas_f64 v[18:19], v[18:19], v[20:21], v[24:25]
                                        ; implicit-def: $vgpr20_vgpr21
	s_delay_alu instid0(VALU_DEP_1)
	v_div_fixup_f64 v[16:17], v[18:19], v[14:15], v[16:17]
                                        ; implicit-def: $vgpr14_vgpr15
                                        ; implicit-def: $vgpr18_vgpr19
.LBB7_117:
	s_and_not1_saveexec_b32 s0, s0
	s_cbranch_execz .LBB7_119
; %bb.118:
	v_cmp_gt_f64_e64 s2, 0x10000000, |v[14:15]|
	s_delay_alu instid0(VALU_DEP_1) | instskip(NEXT) | instid1(VALU_DEP_1)
	v_cndmask_b32_e64 v1, 0, 0x100, s2
	v_ldexp_f64 v[14:15], |v[14:15]|, v1
	v_cndmask_b32_e64 v1, 0, 0xffffff80, s2
	s_delay_alu instid0(VALU_DEP_2) | instskip(SKIP_1) | instid1(TRANS32_DEP_1)
	v_rsq_f64_e32 v[16:17], v[14:15]
	v_cmp_class_f64_e64 vcc_lo, v[14:15], 0x260
	v_mul_f64_e32 v[22:23], v[14:15], v[16:17]
	v_mul_f64_e32 v[16:17], 0.5, v[16:17]
	s_delay_alu instid0(VALU_DEP_1) | instskip(NEXT) | instid1(VALU_DEP_1)
	v_fma_f64 v[24:25], -v[16:17], v[22:23], 0.5
	v_fmac_f64_e32 v[22:23], v[22:23], v[24:25]
	v_fmac_f64_e32 v[16:17], v[16:17], v[24:25]
	s_delay_alu instid0(VALU_DEP_2) | instskip(NEXT) | instid1(VALU_DEP_1)
	v_fma_f64 v[24:25], -v[22:23], v[22:23], v[14:15]
	v_fmac_f64_e32 v[22:23], v[24:25], v[16:17]
	s_delay_alu instid0(VALU_DEP_1) | instskip(NEXT) | instid1(VALU_DEP_1)
	v_fma_f64 v[24:25], -v[22:23], v[22:23], v[14:15]
	v_fmac_f64_e32 v[22:23], v[24:25], v[16:17]
	v_mul_f64_e32 v[16:17], -0.5, v[20:21]
	s_delay_alu instid0(VALU_DEP_2) | instskip(NEXT) | instid1(VALU_DEP_1)
	v_ldexp_f64 v[20:21], v[22:23], v1
	v_dual_mul_f64 v[16:17], v[18:19], v[16:17] :: v_dual_cndmask_b32 v15, v21, v15, vcc_lo
	s_delay_alu instid0(VALU_DEP_2) | instskip(NEXT) | instid1(VALU_DEP_1)
	v_cndmask_b32_e32 v14, v20, v14, vcc_lo
	v_div_scale_f64 v[18:19], null, v[14:15], v[14:15], v[16:17]
	s_delay_alu instid0(VALU_DEP_1) | instskip(SKIP_1) | instid1(TRANS32_DEP_1)
	v_rcp_f64_e32 v[20:21], v[18:19]
	v_nop
	v_fma_f64 v[22:23], -v[18:19], v[20:21], 1.0
	s_delay_alu instid0(VALU_DEP_1) | instskip(NEXT) | instid1(VALU_DEP_1)
	v_fmac_f64_e32 v[20:21], v[20:21], v[22:23]
	v_fma_f64 v[22:23], -v[18:19], v[20:21], 1.0
	s_delay_alu instid0(VALU_DEP_1) | instskip(SKIP_1) | instid1(VALU_DEP_1)
	v_fmac_f64_e32 v[20:21], v[20:21], v[22:23]
	v_div_scale_f64 v[22:23], vcc_lo, v[16:17], v[14:15], v[16:17]
	v_mul_f64_e32 v[24:25], v[22:23], v[20:21]
	s_delay_alu instid0(VALU_DEP_1) | instskip(NEXT) | instid1(VALU_DEP_1)
	v_fma_f64 v[18:19], -v[18:19], v[24:25], v[22:23]
	v_div_fmas_f64 v[18:19], v[18:19], v[20:21], v[24:25]
	s_delay_alu instid0(VALU_DEP_1)
	v_div_fixup_f64 v[16:17], v[18:19], v[14:15], v[16:17]
.LBB7_119:
	s_or_b32 exec_lo, exec_lo, s0
.LBB7_120:
	s_delay_alu instid0(SALU_CYCLE_1)
	s_or_b32 exec_lo, exec_lo, s1
	s_clause 0x3
	global_store_b64 v2, v[8:9], s[4:5]
	global_store_b64 v4, v[10:11], s[4:5]
	;; [unrolled: 1-line block ×4, first 2 shown]
	s_endpgm
.LBB7_121:
	v_dual_mov_b32 v3, 0 :: v_dual_mov_b32 v2, 0
	s_branch .LBB7_127
.LBB7_122:
	v_dual_mov_b32 v3, 0 :: v_dual_mov_b32 v2, 0
	s_branch .LBB7_155
.LBB7_123:
	v_mov_b64_e32 v[2:3], 0
	v_mov_b32_e32 v1, v0
	s_mov_b32 s22, 0
.LBB7_124:
	s_and_b32 s0, s0, 3
	s_mov_b32 s23, 0
	s_cmp_eq_u32 s0, 0
	s_cbranch_scc1 .LBB7_127
; %bb.125:
	s_lshl_b32 s24, s22, 3
	s_mov_b32 s25, s23
	s_mul_u64 s[26:27], s[22:23], 12
	s_add_nc_u64 s[24:25], s[2:3], s[24:25]
	s_delay_alu instid0(SALU_CYCLE_1)
	s_add_nc_u64 s[22:23], s[24:25], 0xc4
	s_add_nc_u64 s[24:25], s[2:3], s[26:27]
.LBB7_126:                              ; =>This Inner Loop Header: Depth=1
	s_load_b96 s[40:42], s[24:25], 0x4
	s_load_b64 s[26:27], s[22:23], 0x0
	s_add_co_i32 s0, s0, -1
	s_wait_xcnt 0x0
	s_add_nc_u64 s[24:25], s[24:25], 12
	s_cmp_lg_u32 s0, 0
	s_add_nc_u64 s[22:23], s[22:23], 8
	s_wait_kmcnt 0x0
	v_mul_hi_u32 v4, s41, v1
	s_delay_alu instid0(VALU_DEP_1) | instskip(NEXT) | instid1(VALU_DEP_1)
	v_add_nc_u32_e32 v4, v1, v4
	v_lshrrev_b32_e32 v4, s42, v4
	s_delay_alu instid0(VALU_DEP_1) | instskip(NEXT) | instid1(VALU_DEP_1)
	v_mul_lo_u32 v5, v4, s40
	v_sub_nc_u32_e32 v1, v1, v5
	s_delay_alu instid0(VALU_DEP_1)
	v_mad_u32 v3, v1, s27, v3
	v_mad_u32 v2, v1, s26, v2
	v_mov_b32_e32 v1, v4
	s_cbranch_scc1 .LBB7_126
.LBB7_127:
	s_cbranch_execnz .LBB7_130
.LBB7_128:
	v_mov_b32_e32 v1, 0
	s_and_not1_b32 vcc_lo, exec_lo, s33
	s_delay_alu instid0(VALU_DEP_1) | instskip(NEXT) | instid1(VALU_DEP_1)
	v_mul_u64_e32 v[2:3], s[16:17], v[0:1]
	v_add_nc_u32_e32 v2, v0, v3
	s_delay_alu instid0(VALU_DEP_1) | instskip(NEXT) | instid1(VALU_DEP_1)
	v_lshrrev_b32_e32 v4, s10, v2
	v_mul_lo_u32 v2, v4, s8
	s_delay_alu instid0(VALU_DEP_1) | instskip(NEXT) | instid1(VALU_DEP_1)
	v_sub_nc_u32_e32 v2, v0, v2
	v_mul_lo_u32 v3, v2, s13
	v_mul_lo_u32 v2, v2, s12
	s_cbranch_vccnz .LBB7_130
; %bb.129:
	v_mov_b32_e32 v5, v1
	s_delay_alu instid0(VALU_DEP_1) | instskip(NEXT) | instid1(VALU_DEP_1)
	v_mul_u64_e32 v[6:7], s[18:19], v[4:5]
	v_add_nc_u32_e32 v1, v4, v7
	s_delay_alu instid0(VALU_DEP_1) | instskip(NEXT) | instid1(VALU_DEP_1)
	v_lshrrev_b32_e32 v1, s1, v1
	v_mul_lo_u32 v1, v1, s11
	s_delay_alu instid0(VALU_DEP_1) | instskip(NEXT) | instid1(VALU_DEP_1)
	v_sub_nc_u32_e32 v1, v4, v1
	v_mad_u32 v2, v1, s14, v2
	v_mad_u32 v3, v1, s15, v3
.LBB7_130:
	global_load_b64 v[4:5], v3, s[6:7]
                                        ; implicit-def: $vgpr6_vgpr7
	s_wait_loadcnt 0x0
	v_cmp_ge_f64_e64 s0, 0x40200000, |v[4:5]|
	s_and_saveexec_b32 s22, s0
	s_delay_alu instid0(SALU_CYCLE_1)
	s_xor_b32 s0, exec_lo, s22
	s_cbranch_execz .LBB7_136
; %bb.131:
	v_fma_f64 v[6:7], |v[4:5]|, 0.5, -2.0
	s_mov_b64 s[22:23], 0x3c499f2a0c3c4014
	s_delay_alu instid0(VALU_DEP_1) | instid1(SALU_CYCLE_1)
	v_fmaak_f64 v[8:9], s[22:23], v[6:7], 0xbc7857d0c38a0576
	s_mov_b64 s[22:23], 0x3ff71547652b82fe
	s_delay_alu instid0(SALU_CYCLE_1) | instskip(SKIP_1) | instid1(VALU_DEP_2)
	v_mul_f64_e64 v[12:13], |v[4:5]|, s[22:23]
	s_mov_b64 s[22:23], 0xbfe62e42fefa39ef
	v_fmaak_f64 v[10:11], v[6:7], v[8:9], 0xbc499f2a0c3c4014
	s_delay_alu instid0(VALU_DEP_1) | instskip(NEXT) | instid1(VALU_DEP_3)
	v_add_f64_e32 v[10:11], 0x3ca663e3e593bfac, v[10:11]
	v_rndne_f64_e32 v[12:13], v[12:13]
	s_delay_alu instid0(VALU_DEP_2) | instskip(NEXT) | instid1(VALU_DEP_2)
	v_fma_f64 v[8:9], v[6:7], v[10:11], -v[8:9]
	v_fma_f64 v[14:15], v[12:13], s[22:23], |v[4:5]|
	s_mov_b64 s[22:23], 0x3e5ade156a5dcb37
	v_cvt_i32_f64_e32 v1, v[12:13]
	s_delay_alu instid0(VALU_DEP_3) | instskip(NEXT) | instid1(VALU_DEP_1)
	v_add_f64_e32 v[8:9], 0xbcd3eaaa7e0d1573, v[8:9]
	v_fma_f64 v[10:11], v[6:7], v[8:9], -v[10:11]
	s_delay_alu instid0(VALU_DEP_1) | instskip(NEXT) | instid1(VALU_DEP_1)
	v_add_f64_e32 v[10:11], 0x3d011d7f0615290c, v[10:11]
	v_fma_f64 v[8:9], v[6:7], v[10:11], -v[8:9]
	s_delay_alu instid0(VALU_DEP_1) | instskip(NEXT) | instid1(VALU_DEP_1)
	;; [unrolled: 3-line block ×24, first 2 shown]
	v_add_f64_e32 v[8:9], 0xbfc694d10469192e, v[8:9]
	v_fma_f64 v[6:7], v[6:7], v[8:9], -v[10:11]
	v_fmamk_f64 v[8:9], v[12:13], 0xbc7abc9e3b39803f, v[14:15]
	s_delay_alu instid0(VALU_DEP_1) | instskip(SKIP_1) | instid1(VALU_DEP_1)
	v_fmaak_f64 v[14:15], s[22:23], v[8:9], 0x3e928af3fca7ab0c
	s_mov_b32 s22, exec_lo
	v_fmaak_f64 v[14:15], v[8:9], v[14:15], 0x3ec71dee623fde64
	s_delay_alu instid0(VALU_DEP_1) | instskip(NEXT) | instid1(VALU_DEP_1)
	v_fmaak_f64 v[14:15], v[8:9], v[14:15], 0x3efa01997c89e6b0
	v_fmaak_f64 v[14:15], v[8:9], v[14:15], 0x3f2a01a014761f6e
	v_add_f64_e32 v[6:7], 0x3fd02a63724a7ffa, v[6:7]
	s_delay_alu instid0(VALU_DEP_2) | instskip(NEXT) | instid1(VALU_DEP_2)
	v_fmaak_f64 v[14:15], v[8:9], v[14:15], 0x3f56c16c1852b7b0
	v_add_f64_e64 v[6:7], v[6:7], -v[10:11]
	s_delay_alu instid0(VALU_DEP_2) | instskip(NEXT) | instid1(VALU_DEP_1)
	v_fmaak_f64 v[10:11], v[8:9], v[14:15], 0x3f81111111122322
	v_fmaak_f64 v[10:11], v[8:9], v[10:11], 0x3fa55555555502a1
	s_delay_alu instid0(VALU_DEP_1) | instskip(NEXT) | instid1(VALU_DEP_1)
	v_fmaak_f64 v[10:11], v[8:9], v[10:11], 0x3fc5555555555511
	v_fmaak_f64 v[10:11], v[8:9], v[10:11], 0x3fe000000000000b
	s_delay_alu instid0(VALU_DEP_1) | instskip(SKIP_1) | instid1(VALU_DEP_2)
	v_fma_f64 v[10:11], v[8:9], v[10:11], 1.0
	v_mul_f64_e32 v[6:7], 0.5, v[6:7]
	v_fma_f64 v[10:11], v[8:9], v[10:11], 1.0
	s_delay_alu instid0(VALU_DEP_2)
	v_mul_f64_e64 v[8:9], |v[4:5]|, v[6:7]
                                        ; implicit-def: $vgpr6_vgpr7
	v_cmpx_ngt_f64_e32 0, v[4:5]
	s_xor_b32 s22, exec_lo, s22
	s_cbranch_execz .LBB7_133
; %bb.132:
	s_delay_alu instid0(VALU_DEP_3) | instskip(SKIP_1) | instid1(VALU_DEP_2)
	v_ldexp_f64 v[6:7], v[10:11], v1
	v_cmp_nlt_f64_e64 vcc_lo, 0x40900000, |v[4:5]|
                                        ; implicit-def: $vgpr10_vgpr11
                                        ; implicit-def: $vgpr1
	v_cndmask_b32_e32 v5, 0x7ff00000, v7, vcc_lo
	s_delay_alu instid0(VALU_DEP_3) | instskip(NEXT) | instid1(VALU_DEP_1)
	v_cndmask_b32_e32 v4, 0, v6, vcc_lo
	v_mul_f64_e32 v[6:7], v[4:5], v[8:9]
                                        ; implicit-def: $vgpr4_vgpr5
                                        ; implicit-def: $vgpr8_vgpr9
.LBB7_133:
	s_and_not1_saveexec_b32 s22, s22
	s_cbranch_execz .LBB7_135
; %bb.134:
	s_delay_alu instid0(VALU_DEP_3) | instskip(SKIP_1) | instid1(VALU_DEP_2)
	v_ldexp_f64 v[6:7], -v[10:11], v1
	v_cmp_nlt_f64_e64 vcc_lo, 0x40900000, |v[4:5]|
	v_cndmask_b32_e32 v5, 0xfff00000, v7, vcc_lo
	s_delay_alu instid0(VALU_DEP_3) | instskip(NEXT) | instid1(VALU_DEP_1)
	v_cndmask_b32_e32 v4, 0, v6, vcc_lo
	v_mul_f64_e32 v[6:7], v[4:5], v[8:9]
.LBB7_135:
	s_or_b32 exec_lo, exec_lo, s22
                                        ; implicit-def: $vgpr4_vgpr5
.LBB7_136:
	s_and_not1_saveexec_b32 s22, s0
	s_cbranch_execz .LBB7_142
; %bb.137:
	v_and_b32_e32 v7, 0x7fffffff, v5
	v_mov_b32_e32 v6, v4
	s_mov_b64 s[24:25], 0x3c61556db352e8e6
	v_cmp_ngt_f64_e64 s0, 0, v[4:5]
	s_delay_alu instid0(VALU_DEP_2) | instskip(SKIP_1) | instid1(VALU_DEP_2)
	v_div_scale_f64 v[8:9], null, v[6:7], v[6:7], 0x40400000
	v_div_scale_f64 v[6:7], vcc_lo, 0x40400000, v[6:7], 0x40400000
	v_rcp_f64_e32 v[10:11], v[8:9]
	v_nop
	s_delay_alu instid0(TRANS32_DEP_1) | instskip(NEXT) | instid1(VALU_DEP_1)
	v_fma_f64 v[12:13], -v[8:9], v[10:11], 1.0
	v_fmac_f64_e32 v[10:11], v[10:11], v[12:13]
	s_delay_alu instid0(VALU_DEP_1) | instskip(NEXT) | instid1(VALU_DEP_1)
	v_fma_f64 v[12:13], -v[8:9], v[10:11], 1.0
	v_fmac_f64_e32 v[10:11], v[10:11], v[12:13]
	s_delay_alu instid0(VALU_DEP_1) | instskip(NEXT) | instid1(VALU_DEP_1)
	v_mul_f64_e32 v[12:13], v[6:7], v[10:11]
	v_fma_f64 v[6:7], -v[8:9], v[12:13], v[6:7]
	s_delay_alu instid0(VALU_DEP_1) | instskip(SKIP_1) | instid1(VALU_DEP_2)
	v_div_fmas_f64 v[6:7], v[6:7], v[10:11], v[12:13]
	v_cmp_nlt_f64_e64 vcc_lo, 0x40900000, |v[4:5]|
	v_div_fixup_f64 v[6:7], v[6:7], |v[4:5]|, 0x40400000
	s_delay_alu instid0(VALU_DEP_1) | instskip(NEXT) | instid1(VALU_DEP_1)
	v_add_f64_e32 v[6:7], -2.0, v[6:7]
	v_fmaak_f64 v[8:9], s[24:25], v[6:7], 0x3c545b8aea87b950
	s_mov_b64 s[24:25], 0x3ff71547652b82fe
	s_delay_alu instid0(SALU_CYCLE_1) | instskip(SKIP_1) | instid1(VALU_DEP_2)
	v_mul_f64_e64 v[12:13], |v[4:5]|, s[24:25]
	s_mov_b64 s[24:25], 0xbfe62e42fefa39ef
	v_fmaak_f64 v[10:11], v[6:7], v[8:9], 0xbc61556db352e8e6
	s_delay_alu instid0(VALU_DEP_1) | instskip(NEXT) | instid1(VALU_DEP_3)
	v_add_f64_e32 v[10:11], 0xbc8acea3b2532277, v[10:11]
	v_rndne_f64_e32 v[12:13], v[12:13]
	s_delay_alu instid0(VALU_DEP_2) | instskip(NEXT) | instid1(VALU_DEP_2)
	v_fma_f64 v[8:9], v[6:7], v[10:11], -v[8:9]
	v_fma_f64 v[14:15], v[12:13], s[24:25], |v[4:5]|
	s_mov_b64 s[24:25], 0x3e5ade156a5dcb37
	v_cvt_i32_f64_e32 v1, v[12:13]
	s_delay_alu instid0(VALU_DEP_3) | instskip(NEXT) | instid1(VALU_DEP_3)
	v_add_f64_e32 v[8:9], 0xbc82806c9c773320, v[8:9]
	v_fmamk_f64 v[14:15], v[12:13], 0xbc7abc9e3b39803f, v[14:15]
	s_delay_alu instid0(VALU_DEP_1) | instskip(NEXT) | instid1(VALU_DEP_3)
	v_fmaak_f64 v[16:17], s[24:25], v[14:15], 0x3e928af3fca7ab0c
	v_fma_f64 v[10:11], v[6:7], v[8:9], -v[10:11]
	s_delay_alu instid0(VALU_DEP_2) | instskip(NEXT) | instid1(VALU_DEP_1)
	v_fmaak_f64 v[16:17], v[14:15], v[16:17], 0x3ec71dee623fde64
	v_fmaak_f64 v[16:17], v[14:15], v[16:17], 0x3efa01997c89e6b0
	s_delay_alu instid0(VALU_DEP_1) | instskip(NEXT) | instid1(VALU_DEP_1)
	v_fmaak_f64 v[16:17], v[14:15], v[16:17], 0x3f2a01a014761f6e
	v_fmaak_f64 v[16:17], v[14:15], v[16:17], 0x3f56c16c1852b7b0
	s_delay_alu instid0(VALU_DEP_1) | instskip(SKIP_1) | instid1(VALU_DEP_2)
	v_fmaak_f64 v[16:17], v[14:15], v[16:17], 0x3f81111111122322
	v_add_f64_e32 v[10:11], 0x3cb55915fceb588a, v[10:11]
	v_fmaak_f64 v[16:17], v[14:15], v[16:17], 0x3fa55555555502a1
	s_delay_alu instid0(VALU_DEP_1) | instskip(NEXT) | instid1(VALU_DEP_1)
	v_fmaak_f64 v[16:17], v[14:15], v[16:17], 0x3fc5555555555511
	v_fmaak_f64 v[16:17], v[14:15], v[16:17], 0x3fe000000000000b
	s_delay_alu instid0(VALU_DEP_1) | instskip(SKIP_1) | instid1(VALU_DEP_1)
	v_fma_f64 v[16:17], v[14:15], v[16:17], 1.0
	v_fma_f64 v[8:9], v[6:7], v[10:11], -v[8:9]
	v_add_f64_e32 v[8:9], 0x3cb7d68e5f04a2d1, v[8:9]
	s_delay_alu instid0(VALU_DEP_1) | instskip(NEXT) | instid1(VALU_DEP_1)
	v_fma_f64 v[10:11], v[6:7], v[8:9], -v[10:11]
	v_add_f64_e32 v[10:11], 0xbce0efcd8bc4d22a, v[10:11]
	s_delay_alu instid0(VALU_DEP_1) | instskip(NEXT) | instid1(VALU_DEP_1)
	;; [unrolled: 3-line block ×18, first 2 shown]
	v_fma_f64 v[8:9], v[6:7], v[10:11], -v[8:9]
	v_add_f64_e32 v[8:9], 0xbf83fda053fcdb4c, v[8:9]
	s_delay_alu instid0(VALU_DEP_1) | instskip(SKIP_1) | instid1(VALU_DEP_2)
	v_fma_f64 v[6:7], v[6:7], v[8:9], -v[10:11]
	v_fma_f64 v[8:9], v[14:15], v[16:17], 1.0
	v_add_f64_e32 v[6:7], 0x3fe8ea18b55b1514, v[6:7]
	s_delay_alu instid0(VALU_DEP_2) | instskip(NEXT) | instid1(VALU_DEP_2)
	v_ldexp_f64 v[8:9], v[8:9], v1
	v_add_f64_e64 v[10:11], v[6:7], -v[10:11]
	s_delay_alu instid0(VALU_DEP_2) | instskip(NEXT) | instid1(VALU_DEP_3)
	v_cndmask_b32_e32 v9, 0x7ff00000, v9, vcc_lo
	v_cndmask_b32_e32 v8, 0, v8, vcc_lo
                                        ; implicit-def: $vgpr6_vgpr7
	s_and_saveexec_b32 s23, s0
	s_delay_alu instid0(SALU_CYCLE_1)
	s_xor_b32 s0, exec_lo, s23
	s_cbranch_execz .LBB7_139
; %bb.138:
	v_cmp_gt_f64_e64 s23, 0x10000000, |v[4:5]|
	s_delay_alu instid0(VALU_DEP_1) | instskip(NEXT) | instid1(VALU_DEP_1)
	v_cndmask_b32_e64 v1, 0, 0x100, s23
	v_ldexp_f64 v[4:5], |v[4:5]|, v1
	v_cndmask_b32_e64 v1, 0, 0xffffff80, s23
	s_delay_alu instid0(VALU_DEP_2) | instskip(SKIP_1) | instid1(TRANS32_DEP_1)
	v_rsq_f64_e32 v[6:7], v[4:5]
	v_cmp_class_f64_e64 vcc_lo, v[4:5], 0x260
	v_mul_f64_e32 v[12:13], v[4:5], v[6:7]
	v_mul_f64_e32 v[6:7], 0.5, v[6:7]
	s_delay_alu instid0(VALU_DEP_1) | instskip(NEXT) | instid1(VALU_DEP_1)
	v_fma_f64 v[14:15], -v[6:7], v[12:13], 0.5
	v_fmac_f64_e32 v[12:13], v[12:13], v[14:15]
	v_fmac_f64_e32 v[6:7], v[6:7], v[14:15]
	s_delay_alu instid0(VALU_DEP_2) | instskip(NEXT) | instid1(VALU_DEP_1)
	v_fma_f64 v[14:15], -v[12:13], v[12:13], v[4:5]
	v_fmac_f64_e32 v[12:13], v[14:15], v[6:7]
	s_delay_alu instid0(VALU_DEP_1) | instskip(NEXT) | instid1(VALU_DEP_1)
	v_fma_f64 v[14:15], -v[12:13], v[12:13], v[4:5]
	v_fmac_f64_e32 v[12:13], v[14:15], v[6:7]
	v_mul_f64_e32 v[6:7], 0.5, v[10:11]
	s_delay_alu instid0(VALU_DEP_2) | instskip(NEXT) | instid1(VALU_DEP_1)
	v_ldexp_f64 v[10:11], v[12:13], v1
	v_dual_mul_f64 v[6:7], v[8:9], v[6:7] :: v_dual_cndmask_b32 v5, v11, v5, vcc_lo
	s_delay_alu instid0(VALU_DEP_2) | instskip(NEXT) | instid1(VALU_DEP_1)
	v_cndmask_b32_e32 v4, v10, v4, vcc_lo
	v_div_scale_f64 v[8:9], null, v[4:5], v[4:5], v[6:7]
	s_delay_alu instid0(VALU_DEP_1) | instskip(SKIP_1) | instid1(TRANS32_DEP_1)
	v_rcp_f64_e32 v[10:11], v[8:9]
	v_nop
	v_fma_f64 v[12:13], -v[8:9], v[10:11], 1.0
	s_delay_alu instid0(VALU_DEP_1) | instskip(NEXT) | instid1(VALU_DEP_1)
	v_fmac_f64_e32 v[10:11], v[10:11], v[12:13]
	v_fma_f64 v[12:13], -v[8:9], v[10:11], 1.0
	s_delay_alu instid0(VALU_DEP_1) | instskip(SKIP_1) | instid1(VALU_DEP_1)
	v_fmac_f64_e32 v[10:11], v[10:11], v[12:13]
	v_div_scale_f64 v[12:13], vcc_lo, v[6:7], v[4:5], v[6:7]
	v_mul_f64_e32 v[14:15], v[12:13], v[10:11]
	s_delay_alu instid0(VALU_DEP_1) | instskip(NEXT) | instid1(VALU_DEP_1)
	v_fma_f64 v[8:9], -v[8:9], v[14:15], v[12:13]
	v_div_fmas_f64 v[8:9], v[8:9], v[10:11], v[14:15]
                                        ; implicit-def: $vgpr10_vgpr11
	s_delay_alu instid0(VALU_DEP_1)
	v_div_fixup_f64 v[6:7], v[8:9], v[4:5], v[6:7]
                                        ; implicit-def: $vgpr4_vgpr5
                                        ; implicit-def: $vgpr8_vgpr9
.LBB7_139:
	s_and_not1_saveexec_b32 s0, s0
	s_cbranch_execz .LBB7_141
; %bb.140:
	v_cmp_gt_f64_e64 s23, 0x10000000, |v[4:5]|
	s_delay_alu instid0(VALU_DEP_1) | instskip(NEXT) | instid1(VALU_DEP_1)
	v_cndmask_b32_e64 v1, 0, 0x100, s23
	v_ldexp_f64 v[4:5], |v[4:5]|, v1
	v_cndmask_b32_e64 v1, 0, 0xffffff80, s23
	s_delay_alu instid0(VALU_DEP_2) | instskip(SKIP_1) | instid1(TRANS32_DEP_1)
	v_rsq_f64_e32 v[6:7], v[4:5]
	v_cmp_class_f64_e64 vcc_lo, v[4:5], 0x260
	v_mul_f64_e32 v[12:13], v[4:5], v[6:7]
	v_mul_f64_e32 v[6:7], 0.5, v[6:7]
	s_delay_alu instid0(VALU_DEP_1) | instskip(NEXT) | instid1(VALU_DEP_1)
	v_fma_f64 v[14:15], -v[6:7], v[12:13], 0.5
	v_fmac_f64_e32 v[12:13], v[12:13], v[14:15]
	v_fmac_f64_e32 v[6:7], v[6:7], v[14:15]
	s_delay_alu instid0(VALU_DEP_2) | instskip(NEXT) | instid1(VALU_DEP_1)
	v_fma_f64 v[14:15], -v[12:13], v[12:13], v[4:5]
	v_fmac_f64_e32 v[12:13], v[14:15], v[6:7]
	s_delay_alu instid0(VALU_DEP_1) | instskip(NEXT) | instid1(VALU_DEP_1)
	v_fma_f64 v[14:15], -v[12:13], v[12:13], v[4:5]
	v_fmac_f64_e32 v[12:13], v[14:15], v[6:7]
	v_mul_f64_e32 v[6:7], -0.5, v[10:11]
	s_delay_alu instid0(VALU_DEP_2) | instskip(NEXT) | instid1(VALU_DEP_1)
	v_ldexp_f64 v[10:11], v[12:13], v1
	v_dual_mul_f64 v[6:7], v[8:9], v[6:7] :: v_dual_cndmask_b32 v5, v11, v5, vcc_lo
	s_delay_alu instid0(VALU_DEP_2) | instskip(NEXT) | instid1(VALU_DEP_1)
	v_cndmask_b32_e32 v4, v10, v4, vcc_lo
	v_div_scale_f64 v[8:9], null, v[4:5], v[4:5], v[6:7]
	s_delay_alu instid0(VALU_DEP_1) | instskip(SKIP_1) | instid1(TRANS32_DEP_1)
	v_rcp_f64_e32 v[10:11], v[8:9]
	v_nop
	v_fma_f64 v[12:13], -v[8:9], v[10:11], 1.0
	s_delay_alu instid0(VALU_DEP_1) | instskip(NEXT) | instid1(VALU_DEP_1)
	v_fmac_f64_e32 v[10:11], v[10:11], v[12:13]
	v_fma_f64 v[12:13], -v[8:9], v[10:11], 1.0
	s_delay_alu instid0(VALU_DEP_1) | instskip(SKIP_1) | instid1(VALU_DEP_1)
	v_fmac_f64_e32 v[10:11], v[10:11], v[12:13]
	v_div_scale_f64 v[12:13], vcc_lo, v[6:7], v[4:5], v[6:7]
	v_mul_f64_e32 v[14:15], v[12:13], v[10:11]
	s_delay_alu instid0(VALU_DEP_1) | instskip(NEXT) | instid1(VALU_DEP_1)
	v_fma_f64 v[8:9], -v[8:9], v[14:15], v[12:13]
	v_div_fmas_f64 v[8:9], v[8:9], v[10:11], v[14:15]
	s_delay_alu instid0(VALU_DEP_1)
	v_div_fixup_f64 v[6:7], v[8:9], v[4:5], v[6:7]
.LBB7_141:
	s_or_b32 exec_lo, exec_lo, s0
.LBB7_142:
	s_delay_alu instid0(SALU_CYCLE_1) | instskip(SKIP_4) | instid1(SALU_CYCLE_1)
	s_or_b32 exec_lo, exec_lo, s22
	v_add_nc_u32_e32 v0, 0x80, v0
	global_store_b64 v2, v[6:7], s[4:5]
	s_wait_xcnt 0x0
	s_or_b32 exec_lo, exec_lo, s9
	s_mov_b32 s9, exec_lo
	v_cmpx_gt_i32_e64 s34, v0
	s_cbranch_execnz .LBB7_15
.LBB7_143:
	s_or_b32 exec_lo, exec_lo, s9
	s_delay_alu instid0(SALU_CYCLE_1)
	s_mov_b32 s9, exec_lo
	v_cmpx_gt_i32_e64 s34, v0
	s_cbranch_execz .LBB7_171
.LBB7_144:
	s_and_not1_b32 vcc_lo, exec_lo, s30
	s_cbranch_vccnz .LBB7_149
; %bb.145:
	s_and_not1_b32 vcc_lo, exec_lo, s36
	s_cbranch_vccnz .LBB7_150
; %bb.146:
	s_add_co_i32 s0, s35, 1
	s_cmp_eq_u32 s29, 2
	s_cbranch_scc1 .LBB7_174
; %bb.147:
	v_dual_mov_b32 v2, 0 :: v_dual_mov_b32 v3, 0
	v_mov_b32_e32 v1, v0
	s_and_b32 s22, s0, 28
	s_mov_b32 s23, 0
	s_mov_b64 s[24:25], s[2:3]
	s_mov_b64 s[26:27], s[20:21]
.LBB7_148:                              ; =>This Inner Loop Header: Depth=1
	s_clause 0x1
	s_load_b256 s[40:47], s[24:25], 0x4
	s_load_b128 s[56:59], s[24:25], 0x24
	s_load_b256 s[48:55], s[26:27], 0x0
	s_add_co_i32 s23, s23, 4
	s_wait_xcnt 0x0
	s_add_nc_u64 s[24:25], s[24:25], 48
	s_cmp_eq_u32 s22, s23
	s_add_nc_u64 s[26:27], s[26:27], 32
	s_wait_kmcnt 0x0
	v_mul_hi_u32 v4, s41, v1
	s_delay_alu instid0(VALU_DEP_1) | instskip(NEXT) | instid1(VALU_DEP_1)
	v_add_nc_u32_e32 v4, v1, v4
	v_lshrrev_b32_e32 v4, s42, v4
	s_delay_alu instid0(VALU_DEP_1) | instskip(NEXT) | instid1(VALU_DEP_1)
	v_mul_hi_u32 v5, s44, v4
	v_add_nc_u32_e32 v5, v4, v5
	s_delay_alu instid0(VALU_DEP_1) | instskip(NEXT) | instid1(VALU_DEP_1)
	v_lshrrev_b32_e32 v5, s45, v5
	v_mul_hi_u32 v6, s47, v5
	s_delay_alu instid0(VALU_DEP_1) | instskip(SKIP_1) | instid1(VALU_DEP_1)
	v_add_nc_u32_e32 v6, v5, v6
	v_mul_lo_u32 v7, v4, s40
	v_sub_nc_u32_e32 v1, v1, v7
	v_mul_lo_u32 v7, v5, s43
	s_delay_alu instid0(VALU_DEP_4) | instskip(NEXT) | instid1(VALU_DEP_3)
	v_lshrrev_b32_e32 v6, s56, v6
	v_mad_u32 v3, v1, s49, v3
	v_mad_u32 v1, v1, s48, v2
	s_delay_alu instid0(VALU_DEP_4) | instskip(NEXT) | instid1(VALU_DEP_4)
	v_sub_nc_u32_e32 v2, v4, v7
	v_mul_hi_u32 v8, s58, v6
	v_mul_lo_u32 v4, v6, s46
	s_delay_alu instid0(VALU_DEP_3) | instskip(SKIP_1) | instid1(VALU_DEP_4)
	v_mad_u32 v3, v2, s51, v3
	v_mad_u32 v2, v2, s50, v1
	v_add_nc_u32_e32 v7, v6, v8
	s_delay_alu instid0(VALU_DEP_1) | instskip(NEXT) | instid1(VALU_DEP_1)
	v_dual_sub_nc_u32 v4, v5, v4 :: v_dual_lshrrev_b32 v1, s59, v7
	v_mad_u32 v3, v4, s53, v3
	s_delay_alu instid0(VALU_DEP_4) | instskip(NEXT) | instid1(VALU_DEP_3)
	v_mad_u32 v2, v4, s52, v2
	v_mul_lo_u32 v5, v1, s57
	s_delay_alu instid0(VALU_DEP_1) | instskip(NEXT) | instid1(VALU_DEP_1)
	v_sub_nc_u32_e32 v4, v6, v5
	v_mad_u32 v3, v4, s55, v3
	s_delay_alu instid0(VALU_DEP_4)
	v_mad_u32 v2, v4, s54, v2
	s_cbranch_scc0 .LBB7_148
	s_branch .LBB7_175
.LBB7_149:
                                        ; implicit-def: $vgpr3
	s_branch .LBB7_179
.LBB7_150:
	v_dual_mov_b32 v3, 0 :: v_dual_mov_b32 v2, 0
	s_branch .LBB7_178
.LBB7_151:
	v_mov_b64_e32 v[2:3], 0
	v_mov_b32_e32 v1, v0
	s_mov_b32 s22, 0
.LBB7_152:
	s_and_b32 s0, s0, 3
	s_mov_b32 s23, 0
	s_cmp_eq_u32 s0, 0
	s_cbranch_scc1 .LBB7_155
; %bb.153:
	s_lshl_b32 s24, s22, 3
	s_mov_b32 s25, s23
	s_mul_u64 s[26:27], s[22:23], 12
	s_add_nc_u64 s[24:25], s[2:3], s[24:25]
	s_delay_alu instid0(SALU_CYCLE_1)
	s_add_nc_u64 s[22:23], s[24:25], 0xc4
	s_add_nc_u64 s[24:25], s[2:3], s[26:27]
.LBB7_154:                              ; =>This Inner Loop Header: Depth=1
	s_load_b96 s[40:42], s[24:25], 0x4
	s_load_b64 s[26:27], s[22:23], 0x0
	s_add_co_i32 s0, s0, -1
	s_wait_xcnt 0x0
	s_add_nc_u64 s[24:25], s[24:25], 12
	s_cmp_lg_u32 s0, 0
	s_add_nc_u64 s[22:23], s[22:23], 8
	s_wait_kmcnt 0x0
	v_mul_hi_u32 v4, s41, v1
	s_delay_alu instid0(VALU_DEP_1) | instskip(NEXT) | instid1(VALU_DEP_1)
	v_add_nc_u32_e32 v4, v1, v4
	v_lshrrev_b32_e32 v4, s42, v4
	s_delay_alu instid0(VALU_DEP_1) | instskip(NEXT) | instid1(VALU_DEP_1)
	v_mul_lo_u32 v5, v4, s40
	v_sub_nc_u32_e32 v1, v1, v5
	s_delay_alu instid0(VALU_DEP_1)
	v_mad_u32 v3, v1, s27, v3
	v_mad_u32 v2, v1, s26, v2
	v_mov_b32_e32 v1, v4
	s_cbranch_scc1 .LBB7_154
.LBB7_155:
	s_cbranch_execnz .LBB7_158
.LBB7_156:
	v_mov_b32_e32 v1, 0
	s_and_not1_b32 vcc_lo, exec_lo, s33
	s_delay_alu instid0(VALU_DEP_1) | instskip(NEXT) | instid1(VALU_DEP_1)
	v_mul_u64_e32 v[2:3], s[16:17], v[0:1]
	v_add_nc_u32_e32 v2, v0, v3
	s_delay_alu instid0(VALU_DEP_1) | instskip(NEXT) | instid1(VALU_DEP_1)
	v_lshrrev_b32_e32 v4, s10, v2
	v_mul_lo_u32 v2, v4, s8
	s_delay_alu instid0(VALU_DEP_1) | instskip(NEXT) | instid1(VALU_DEP_1)
	v_sub_nc_u32_e32 v2, v0, v2
	v_mul_lo_u32 v3, v2, s13
	v_mul_lo_u32 v2, v2, s12
	s_cbranch_vccnz .LBB7_158
; %bb.157:
	v_mov_b32_e32 v5, v1
	s_delay_alu instid0(VALU_DEP_1) | instskip(NEXT) | instid1(VALU_DEP_1)
	v_mul_u64_e32 v[6:7], s[18:19], v[4:5]
	v_add_nc_u32_e32 v1, v4, v7
	s_delay_alu instid0(VALU_DEP_1) | instskip(NEXT) | instid1(VALU_DEP_1)
	v_lshrrev_b32_e32 v1, s1, v1
	v_mul_lo_u32 v1, v1, s11
	s_delay_alu instid0(VALU_DEP_1) | instskip(NEXT) | instid1(VALU_DEP_1)
	v_sub_nc_u32_e32 v1, v4, v1
	v_mad_u32 v2, v1, s14, v2
	v_mad_u32 v3, v1, s15, v3
.LBB7_158:
	global_load_b64 v[4:5], v3, s[6:7]
                                        ; implicit-def: $vgpr6_vgpr7
	s_wait_loadcnt 0x0
	v_cmp_ge_f64_e64 s0, 0x40200000, |v[4:5]|
	s_wait_xcnt 0x0
	s_and_saveexec_b32 s22, s0
	s_delay_alu instid0(SALU_CYCLE_1)
	s_xor_b32 s0, exec_lo, s22
	s_cbranch_execz .LBB7_164
; %bb.159:
	v_fma_f64 v[6:7], |v[4:5]|, 0.5, -2.0
	s_mov_b64 s[22:23], 0x3c499f2a0c3c4014
	s_delay_alu instid0(VALU_DEP_1) | instid1(SALU_CYCLE_1)
	v_fmaak_f64 v[8:9], s[22:23], v[6:7], 0xbc7857d0c38a0576
	s_mov_b64 s[22:23], 0x3ff71547652b82fe
	s_delay_alu instid0(SALU_CYCLE_1) | instskip(SKIP_1) | instid1(VALU_DEP_2)
	v_mul_f64_e64 v[12:13], |v[4:5]|, s[22:23]
	s_mov_b64 s[22:23], 0xbfe62e42fefa39ef
	v_fmaak_f64 v[10:11], v[6:7], v[8:9], 0xbc499f2a0c3c4014
	s_delay_alu instid0(VALU_DEP_1) | instskip(NEXT) | instid1(VALU_DEP_3)
	v_add_f64_e32 v[10:11], 0x3ca663e3e593bfac, v[10:11]
	v_rndne_f64_e32 v[12:13], v[12:13]
	s_delay_alu instid0(VALU_DEP_2) | instskip(NEXT) | instid1(VALU_DEP_2)
	v_fma_f64 v[8:9], v[6:7], v[10:11], -v[8:9]
	v_fma_f64 v[14:15], v[12:13], s[22:23], |v[4:5]|
	s_mov_b64 s[22:23], 0x3e5ade156a5dcb37
	v_cvt_i32_f64_e32 v1, v[12:13]
	s_delay_alu instid0(VALU_DEP_3) | instskip(NEXT) | instid1(VALU_DEP_1)
	v_add_f64_e32 v[8:9], 0xbcd3eaaa7e0d1573, v[8:9]
	v_fma_f64 v[10:11], v[6:7], v[8:9], -v[10:11]
	s_delay_alu instid0(VALU_DEP_1) | instskip(NEXT) | instid1(VALU_DEP_1)
	v_add_f64_e32 v[10:11], 0x3d011d7f0615290c, v[10:11]
	v_fma_f64 v[8:9], v[6:7], v[10:11], -v[8:9]
	s_delay_alu instid0(VALU_DEP_1) | instskip(NEXT) | instid1(VALU_DEP_1)
	;; [unrolled: 3-line block ×24, first 2 shown]
	v_add_f64_e32 v[8:9], 0xbfc694d10469192e, v[8:9]
	v_fma_f64 v[6:7], v[6:7], v[8:9], -v[10:11]
	v_fmamk_f64 v[8:9], v[12:13], 0xbc7abc9e3b39803f, v[14:15]
	s_delay_alu instid0(VALU_DEP_1) | instskip(SKIP_1) | instid1(VALU_DEP_1)
	v_fmaak_f64 v[14:15], s[22:23], v[8:9], 0x3e928af3fca7ab0c
	s_mov_b32 s22, exec_lo
	v_fmaak_f64 v[14:15], v[8:9], v[14:15], 0x3ec71dee623fde64
	s_delay_alu instid0(VALU_DEP_1) | instskip(NEXT) | instid1(VALU_DEP_1)
	v_fmaak_f64 v[14:15], v[8:9], v[14:15], 0x3efa01997c89e6b0
	v_fmaak_f64 v[14:15], v[8:9], v[14:15], 0x3f2a01a014761f6e
	v_add_f64_e32 v[6:7], 0x3fd02a63724a7ffa, v[6:7]
	s_delay_alu instid0(VALU_DEP_2) | instskip(NEXT) | instid1(VALU_DEP_2)
	v_fmaak_f64 v[14:15], v[8:9], v[14:15], 0x3f56c16c1852b7b0
	v_add_f64_e64 v[6:7], v[6:7], -v[10:11]
	s_delay_alu instid0(VALU_DEP_2) | instskip(NEXT) | instid1(VALU_DEP_1)
	v_fmaak_f64 v[10:11], v[8:9], v[14:15], 0x3f81111111122322
	v_fmaak_f64 v[10:11], v[8:9], v[10:11], 0x3fa55555555502a1
	s_delay_alu instid0(VALU_DEP_1) | instskip(NEXT) | instid1(VALU_DEP_1)
	v_fmaak_f64 v[10:11], v[8:9], v[10:11], 0x3fc5555555555511
	v_fmaak_f64 v[10:11], v[8:9], v[10:11], 0x3fe000000000000b
	s_delay_alu instid0(VALU_DEP_1) | instskip(SKIP_1) | instid1(VALU_DEP_2)
	v_fma_f64 v[10:11], v[8:9], v[10:11], 1.0
	v_mul_f64_e32 v[6:7], 0.5, v[6:7]
	v_fma_f64 v[10:11], v[8:9], v[10:11], 1.0
	s_delay_alu instid0(VALU_DEP_2)
	v_mul_f64_e64 v[8:9], |v[4:5]|, v[6:7]
                                        ; implicit-def: $vgpr6_vgpr7
	v_cmpx_ngt_f64_e32 0, v[4:5]
	s_xor_b32 s22, exec_lo, s22
	s_cbranch_execz .LBB7_161
; %bb.160:
	s_delay_alu instid0(VALU_DEP_3) | instskip(SKIP_1) | instid1(VALU_DEP_2)
	v_ldexp_f64 v[6:7], v[10:11], v1
	v_cmp_nlt_f64_e64 vcc_lo, 0x40900000, |v[4:5]|
                                        ; implicit-def: $vgpr10_vgpr11
                                        ; implicit-def: $vgpr1
	v_cndmask_b32_e32 v5, 0x7ff00000, v7, vcc_lo
	s_delay_alu instid0(VALU_DEP_3) | instskip(NEXT) | instid1(VALU_DEP_1)
	v_cndmask_b32_e32 v4, 0, v6, vcc_lo
	v_mul_f64_e32 v[6:7], v[4:5], v[8:9]
                                        ; implicit-def: $vgpr4_vgpr5
                                        ; implicit-def: $vgpr8_vgpr9
.LBB7_161:
	s_and_not1_saveexec_b32 s22, s22
	s_cbranch_execz .LBB7_163
; %bb.162:
	s_delay_alu instid0(VALU_DEP_3) | instskip(SKIP_1) | instid1(VALU_DEP_2)
	v_ldexp_f64 v[6:7], -v[10:11], v1
	v_cmp_nlt_f64_e64 vcc_lo, 0x40900000, |v[4:5]|
	v_cndmask_b32_e32 v5, 0xfff00000, v7, vcc_lo
	s_delay_alu instid0(VALU_DEP_3) | instskip(NEXT) | instid1(VALU_DEP_1)
	v_cndmask_b32_e32 v4, 0, v6, vcc_lo
	v_mul_f64_e32 v[6:7], v[4:5], v[8:9]
.LBB7_163:
	s_or_b32 exec_lo, exec_lo, s22
                                        ; implicit-def: $vgpr4_vgpr5
.LBB7_164:
	s_and_not1_saveexec_b32 s22, s0
	s_cbranch_execz .LBB7_170
; %bb.165:
	v_and_b32_e32 v7, 0x7fffffff, v5
	v_mov_b32_e32 v6, v4
	s_mov_b64 s[24:25], 0x3c61556db352e8e6
	v_cmp_ngt_f64_e64 s0, 0, v[4:5]
	s_delay_alu instid0(VALU_DEP_2) | instskip(SKIP_1) | instid1(VALU_DEP_2)
	v_div_scale_f64 v[8:9], null, v[6:7], v[6:7], 0x40400000
	v_div_scale_f64 v[6:7], vcc_lo, 0x40400000, v[6:7], 0x40400000
	v_rcp_f64_e32 v[10:11], v[8:9]
	v_nop
	s_delay_alu instid0(TRANS32_DEP_1) | instskip(NEXT) | instid1(VALU_DEP_1)
	v_fma_f64 v[12:13], -v[8:9], v[10:11], 1.0
	v_fmac_f64_e32 v[10:11], v[10:11], v[12:13]
	s_delay_alu instid0(VALU_DEP_1) | instskip(NEXT) | instid1(VALU_DEP_1)
	v_fma_f64 v[12:13], -v[8:9], v[10:11], 1.0
	v_fmac_f64_e32 v[10:11], v[10:11], v[12:13]
	s_delay_alu instid0(VALU_DEP_1) | instskip(NEXT) | instid1(VALU_DEP_1)
	v_mul_f64_e32 v[12:13], v[6:7], v[10:11]
	v_fma_f64 v[6:7], -v[8:9], v[12:13], v[6:7]
	s_delay_alu instid0(VALU_DEP_1) | instskip(SKIP_1) | instid1(VALU_DEP_2)
	v_div_fmas_f64 v[6:7], v[6:7], v[10:11], v[12:13]
	v_cmp_nlt_f64_e64 vcc_lo, 0x40900000, |v[4:5]|
	v_div_fixup_f64 v[6:7], v[6:7], |v[4:5]|, 0x40400000
	s_delay_alu instid0(VALU_DEP_1) | instskip(NEXT) | instid1(VALU_DEP_1)
	v_add_f64_e32 v[6:7], -2.0, v[6:7]
	v_fmaak_f64 v[8:9], s[24:25], v[6:7], 0x3c545b8aea87b950
	s_mov_b64 s[24:25], 0x3ff71547652b82fe
	s_delay_alu instid0(SALU_CYCLE_1) | instskip(SKIP_1) | instid1(VALU_DEP_2)
	v_mul_f64_e64 v[12:13], |v[4:5]|, s[24:25]
	s_mov_b64 s[24:25], 0xbfe62e42fefa39ef
	v_fmaak_f64 v[10:11], v[6:7], v[8:9], 0xbc61556db352e8e6
	s_delay_alu instid0(VALU_DEP_1) | instskip(NEXT) | instid1(VALU_DEP_3)
	v_add_f64_e32 v[10:11], 0xbc8acea3b2532277, v[10:11]
	v_rndne_f64_e32 v[12:13], v[12:13]
	s_delay_alu instid0(VALU_DEP_2) | instskip(NEXT) | instid1(VALU_DEP_2)
	v_fma_f64 v[8:9], v[6:7], v[10:11], -v[8:9]
	v_fma_f64 v[14:15], v[12:13], s[24:25], |v[4:5]|
	s_mov_b64 s[24:25], 0x3e5ade156a5dcb37
	v_cvt_i32_f64_e32 v1, v[12:13]
	s_delay_alu instid0(VALU_DEP_3) | instskip(NEXT) | instid1(VALU_DEP_3)
	v_add_f64_e32 v[8:9], 0xbc82806c9c773320, v[8:9]
	v_fmamk_f64 v[14:15], v[12:13], 0xbc7abc9e3b39803f, v[14:15]
	s_delay_alu instid0(VALU_DEP_1) | instskip(NEXT) | instid1(VALU_DEP_3)
	v_fmaak_f64 v[16:17], s[24:25], v[14:15], 0x3e928af3fca7ab0c
	v_fma_f64 v[10:11], v[6:7], v[8:9], -v[10:11]
	s_delay_alu instid0(VALU_DEP_2) | instskip(NEXT) | instid1(VALU_DEP_1)
	v_fmaak_f64 v[16:17], v[14:15], v[16:17], 0x3ec71dee623fde64
	v_fmaak_f64 v[16:17], v[14:15], v[16:17], 0x3efa01997c89e6b0
	s_delay_alu instid0(VALU_DEP_1) | instskip(NEXT) | instid1(VALU_DEP_1)
	v_fmaak_f64 v[16:17], v[14:15], v[16:17], 0x3f2a01a014761f6e
	v_fmaak_f64 v[16:17], v[14:15], v[16:17], 0x3f56c16c1852b7b0
	s_delay_alu instid0(VALU_DEP_1) | instskip(SKIP_1) | instid1(VALU_DEP_2)
	v_fmaak_f64 v[16:17], v[14:15], v[16:17], 0x3f81111111122322
	v_add_f64_e32 v[10:11], 0x3cb55915fceb588a, v[10:11]
	v_fmaak_f64 v[16:17], v[14:15], v[16:17], 0x3fa55555555502a1
	s_delay_alu instid0(VALU_DEP_1) | instskip(NEXT) | instid1(VALU_DEP_1)
	v_fmaak_f64 v[16:17], v[14:15], v[16:17], 0x3fc5555555555511
	v_fmaak_f64 v[16:17], v[14:15], v[16:17], 0x3fe000000000000b
	s_delay_alu instid0(VALU_DEP_1) | instskip(SKIP_1) | instid1(VALU_DEP_1)
	v_fma_f64 v[16:17], v[14:15], v[16:17], 1.0
	v_fma_f64 v[8:9], v[6:7], v[10:11], -v[8:9]
	v_add_f64_e32 v[8:9], 0x3cb7d68e5f04a2d1, v[8:9]
	s_delay_alu instid0(VALU_DEP_1) | instskip(NEXT) | instid1(VALU_DEP_1)
	v_fma_f64 v[10:11], v[6:7], v[8:9], -v[10:11]
	v_add_f64_e32 v[10:11], 0xbce0efcd8bc4d22a, v[10:11]
	s_delay_alu instid0(VALU_DEP_1) | instskip(NEXT) | instid1(VALU_DEP_1)
	;; [unrolled: 3-line block ×18, first 2 shown]
	v_fma_f64 v[8:9], v[6:7], v[10:11], -v[8:9]
	v_add_f64_e32 v[8:9], 0xbf83fda053fcdb4c, v[8:9]
	s_delay_alu instid0(VALU_DEP_1) | instskip(SKIP_1) | instid1(VALU_DEP_2)
	v_fma_f64 v[6:7], v[6:7], v[8:9], -v[10:11]
	v_fma_f64 v[8:9], v[14:15], v[16:17], 1.0
	v_add_f64_e32 v[6:7], 0x3fe8ea18b55b1514, v[6:7]
	s_delay_alu instid0(VALU_DEP_2) | instskip(NEXT) | instid1(VALU_DEP_2)
	v_ldexp_f64 v[8:9], v[8:9], v1
	v_add_f64_e64 v[10:11], v[6:7], -v[10:11]
	s_delay_alu instid0(VALU_DEP_2) | instskip(NEXT) | instid1(VALU_DEP_3)
	v_cndmask_b32_e32 v9, 0x7ff00000, v9, vcc_lo
	v_cndmask_b32_e32 v8, 0, v8, vcc_lo
                                        ; implicit-def: $vgpr6_vgpr7
	s_and_saveexec_b32 s23, s0
	s_delay_alu instid0(SALU_CYCLE_1)
	s_xor_b32 s0, exec_lo, s23
	s_cbranch_execz .LBB7_167
; %bb.166:
	v_cmp_gt_f64_e64 s23, 0x10000000, |v[4:5]|
	s_delay_alu instid0(VALU_DEP_1) | instskip(NEXT) | instid1(VALU_DEP_1)
	v_cndmask_b32_e64 v1, 0, 0x100, s23
	v_ldexp_f64 v[4:5], |v[4:5]|, v1
	v_cndmask_b32_e64 v1, 0, 0xffffff80, s23
	s_delay_alu instid0(VALU_DEP_2) | instskip(SKIP_1) | instid1(TRANS32_DEP_1)
	v_rsq_f64_e32 v[6:7], v[4:5]
	v_cmp_class_f64_e64 vcc_lo, v[4:5], 0x260
	v_mul_f64_e32 v[12:13], v[4:5], v[6:7]
	v_mul_f64_e32 v[6:7], 0.5, v[6:7]
	s_delay_alu instid0(VALU_DEP_1) | instskip(NEXT) | instid1(VALU_DEP_1)
	v_fma_f64 v[14:15], -v[6:7], v[12:13], 0.5
	v_fmac_f64_e32 v[12:13], v[12:13], v[14:15]
	v_fmac_f64_e32 v[6:7], v[6:7], v[14:15]
	s_delay_alu instid0(VALU_DEP_2) | instskip(NEXT) | instid1(VALU_DEP_1)
	v_fma_f64 v[14:15], -v[12:13], v[12:13], v[4:5]
	v_fmac_f64_e32 v[12:13], v[14:15], v[6:7]
	s_delay_alu instid0(VALU_DEP_1) | instskip(NEXT) | instid1(VALU_DEP_1)
	v_fma_f64 v[14:15], -v[12:13], v[12:13], v[4:5]
	v_fmac_f64_e32 v[12:13], v[14:15], v[6:7]
	v_mul_f64_e32 v[6:7], 0.5, v[10:11]
	s_delay_alu instid0(VALU_DEP_2) | instskip(NEXT) | instid1(VALU_DEP_1)
	v_ldexp_f64 v[10:11], v[12:13], v1
	v_dual_mul_f64 v[6:7], v[8:9], v[6:7] :: v_dual_cndmask_b32 v5, v11, v5, vcc_lo
	s_delay_alu instid0(VALU_DEP_2) | instskip(NEXT) | instid1(VALU_DEP_1)
	v_cndmask_b32_e32 v4, v10, v4, vcc_lo
	v_div_scale_f64 v[8:9], null, v[4:5], v[4:5], v[6:7]
	s_delay_alu instid0(VALU_DEP_1) | instskip(SKIP_1) | instid1(TRANS32_DEP_1)
	v_rcp_f64_e32 v[10:11], v[8:9]
	v_nop
	v_fma_f64 v[12:13], -v[8:9], v[10:11], 1.0
	s_delay_alu instid0(VALU_DEP_1) | instskip(NEXT) | instid1(VALU_DEP_1)
	v_fmac_f64_e32 v[10:11], v[10:11], v[12:13]
	v_fma_f64 v[12:13], -v[8:9], v[10:11], 1.0
	s_delay_alu instid0(VALU_DEP_1) | instskip(SKIP_1) | instid1(VALU_DEP_1)
	v_fmac_f64_e32 v[10:11], v[10:11], v[12:13]
	v_div_scale_f64 v[12:13], vcc_lo, v[6:7], v[4:5], v[6:7]
	v_mul_f64_e32 v[14:15], v[12:13], v[10:11]
	s_delay_alu instid0(VALU_DEP_1) | instskip(NEXT) | instid1(VALU_DEP_1)
	v_fma_f64 v[8:9], -v[8:9], v[14:15], v[12:13]
	v_div_fmas_f64 v[8:9], v[8:9], v[10:11], v[14:15]
                                        ; implicit-def: $vgpr10_vgpr11
	s_delay_alu instid0(VALU_DEP_1)
	v_div_fixup_f64 v[6:7], v[8:9], v[4:5], v[6:7]
                                        ; implicit-def: $vgpr4_vgpr5
                                        ; implicit-def: $vgpr8_vgpr9
.LBB7_167:
	s_and_not1_saveexec_b32 s0, s0
	s_cbranch_execz .LBB7_169
; %bb.168:
	v_cmp_gt_f64_e64 s23, 0x10000000, |v[4:5]|
	s_delay_alu instid0(VALU_DEP_1) | instskip(NEXT) | instid1(VALU_DEP_1)
	v_cndmask_b32_e64 v1, 0, 0x100, s23
	v_ldexp_f64 v[4:5], |v[4:5]|, v1
	v_cndmask_b32_e64 v1, 0, 0xffffff80, s23
	s_delay_alu instid0(VALU_DEP_2) | instskip(SKIP_1) | instid1(TRANS32_DEP_1)
	v_rsq_f64_e32 v[6:7], v[4:5]
	v_cmp_class_f64_e64 vcc_lo, v[4:5], 0x260
	v_mul_f64_e32 v[12:13], v[4:5], v[6:7]
	v_mul_f64_e32 v[6:7], 0.5, v[6:7]
	s_delay_alu instid0(VALU_DEP_1) | instskip(NEXT) | instid1(VALU_DEP_1)
	v_fma_f64 v[14:15], -v[6:7], v[12:13], 0.5
	v_fmac_f64_e32 v[12:13], v[12:13], v[14:15]
	v_fmac_f64_e32 v[6:7], v[6:7], v[14:15]
	s_delay_alu instid0(VALU_DEP_2) | instskip(NEXT) | instid1(VALU_DEP_1)
	v_fma_f64 v[14:15], -v[12:13], v[12:13], v[4:5]
	v_fmac_f64_e32 v[12:13], v[14:15], v[6:7]
	s_delay_alu instid0(VALU_DEP_1) | instskip(NEXT) | instid1(VALU_DEP_1)
	v_fma_f64 v[14:15], -v[12:13], v[12:13], v[4:5]
	v_fmac_f64_e32 v[12:13], v[14:15], v[6:7]
	v_mul_f64_e32 v[6:7], -0.5, v[10:11]
	s_delay_alu instid0(VALU_DEP_2) | instskip(NEXT) | instid1(VALU_DEP_1)
	v_ldexp_f64 v[10:11], v[12:13], v1
	v_dual_mul_f64 v[6:7], v[8:9], v[6:7] :: v_dual_cndmask_b32 v5, v11, v5, vcc_lo
	s_delay_alu instid0(VALU_DEP_2) | instskip(NEXT) | instid1(VALU_DEP_1)
	v_cndmask_b32_e32 v4, v10, v4, vcc_lo
	v_div_scale_f64 v[8:9], null, v[4:5], v[4:5], v[6:7]
	s_delay_alu instid0(VALU_DEP_1) | instskip(SKIP_1) | instid1(TRANS32_DEP_1)
	v_rcp_f64_e32 v[10:11], v[8:9]
	v_nop
	v_fma_f64 v[12:13], -v[8:9], v[10:11], 1.0
	s_delay_alu instid0(VALU_DEP_1) | instskip(NEXT) | instid1(VALU_DEP_1)
	v_fmac_f64_e32 v[10:11], v[10:11], v[12:13]
	v_fma_f64 v[12:13], -v[8:9], v[10:11], 1.0
	s_delay_alu instid0(VALU_DEP_1) | instskip(SKIP_1) | instid1(VALU_DEP_1)
	v_fmac_f64_e32 v[10:11], v[10:11], v[12:13]
	v_div_scale_f64 v[12:13], vcc_lo, v[6:7], v[4:5], v[6:7]
	v_mul_f64_e32 v[14:15], v[12:13], v[10:11]
	s_delay_alu instid0(VALU_DEP_1) | instskip(NEXT) | instid1(VALU_DEP_1)
	v_fma_f64 v[8:9], -v[8:9], v[14:15], v[12:13]
	v_div_fmas_f64 v[8:9], v[8:9], v[10:11], v[14:15]
	s_delay_alu instid0(VALU_DEP_1)
	v_div_fixup_f64 v[6:7], v[8:9], v[4:5], v[6:7]
.LBB7_169:
	s_or_b32 exec_lo, exec_lo, s0
.LBB7_170:
	s_delay_alu instid0(SALU_CYCLE_1) | instskip(SKIP_4) | instid1(SALU_CYCLE_1)
	s_or_b32 exec_lo, exec_lo, s22
	v_add_nc_u32_e32 v0, 0x80, v0
	global_store_b64 v2, v[6:7], s[4:5]
	s_wait_xcnt 0x0
	s_or_b32 exec_lo, exec_lo, s9
	s_mov_b32 s9, exec_lo
	v_cmpx_gt_i32_e64 s34, v0
	s_cbranch_execnz .LBB7_144
.LBB7_171:
	s_or_b32 exec_lo, exec_lo, s9
	s_delay_alu instid0(SALU_CYCLE_1)
	s_mov_b32 s9, exec_lo
	v_cmpx_gt_i32_e64 s34, v0
	s_cbranch_execnz .LBB7_194
.LBB7_172:
	s_or_b32 exec_lo, exec_lo, s9
                                        ; implicit-def: $vgpr8
                                        ; implicit-def: $vgpr0
	s_and_not1_saveexec_b32 s0, s31
	s_cbranch_execnz .LBB7_8
.LBB7_173:
	s_endpgm
.LBB7_174:
	v_mov_b64_e32 v[2:3], 0
	v_mov_b32_e32 v1, v0
	s_mov_b32 s22, 0
.LBB7_175:
	s_and_b32 s0, s0, 3
	s_mov_b32 s23, 0
	s_cmp_eq_u32 s0, 0
	s_cbranch_scc1 .LBB7_178
; %bb.176:
	s_lshl_b32 s24, s22, 3
	s_mov_b32 s25, s23
	s_mul_u64 s[26:27], s[22:23], 12
	s_add_nc_u64 s[24:25], s[2:3], s[24:25]
	s_delay_alu instid0(SALU_CYCLE_1)
	s_add_nc_u64 s[22:23], s[24:25], 0xc4
	s_add_nc_u64 s[24:25], s[2:3], s[26:27]
.LBB7_177:                              ; =>This Inner Loop Header: Depth=1
	s_load_b96 s[40:42], s[24:25], 0x4
	s_load_b64 s[26:27], s[22:23], 0x0
	s_add_co_i32 s0, s0, -1
	s_wait_xcnt 0x0
	s_add_nc_u64 s[24:25], s[24:25], 12
	s_cmp_lg_u32 s0, 0
	s_add_nc_u64 s[22:23], s[22:23], 8
	s_wait_kmcnt 0x0
	v_mul_hi_u32 v4, s41, v1
	s_delay_alu instid0(VALU_DEP_1) | instskip(NEXT) | instid1(VALU_DEP_1)
	v_add_nc_u32_e32 v4, v1, v4
	v_lshrrev_b32_e32 v4, s42, v4
	s_delay_alu instid0(VALU_DEP_1) | instskip(NEXT) | instid1(VALU_DEP_1)
	v_mul_lo_u32 v5, v4, s40
	v_sub_nc_u32_e32 v1, v1, v5
	s_delay_alu instid0(VALU_DEP_1)
	v_mad_u32 v3, v1, s27, v3
	v_mad_u32 v2, v1, s26, v2
	v_mov_b32_e32 v1, v4
	s_cbranch_scc1 .LBB7_177
.LBB7_178:
	s_cbranch_execnz .LBB7_181
.LBB7_179:
	v_mov_b32_e32 v1, 0
	s_and_not1_b32 vcc_lo, exec_lo, s33
	s_delay_alu instid0(VALU_DEP_1) | instskip(NEXT) | instid1(VALU_DEP_1)
	v_mul_u64_e32 v[2:3], s[16:17], v[0:1]
	v_add_nc_u32_e32 v2, v0, v3
	s_delay_alu instid0(VALU_DEP_1) | instskip(NEXT) | instid1(VALU_DEP_1)
	v_lshrrev_b32_e32 v4, s10, v2
	v_mul_lo_u32 v2, v4, s8
	s_delay_alu instid0(VALU_DEP_1) | instskip(NEXT) | instid1(VALU_DEP_1)
	v_sub_nc_u32_e32 v2, v0, v2
	v_mul_lo_u32 v3, v2, s13
	v_mul_lo_u32 v2, v2, s12
	s_cbranch_vccnz .LBB7_181
; %bb.180:
	v_mov_b32_e32 v5, v1
	s_delay_alu instid0(VALU_DEP_1) | instskip(NEXT) | instid1(VALU_DEP_1)
	v_mul_u64_e32 v[6:7], s[18:19], v[4:5]
	v_add_nc_u32_e32 v1, v4, v7
	s_delay_alu instid0(VALU_DEP_1) | instskip(NEXT) | instid1(VALU_DEP_1)
	v_lshrrev_b32_e32 v1, s1, v1
	v_mul_lo_u32 v1, v1, s11
	s_delay_alu instid0(VALU_DEP_1) | instskip(NEXT) | instid1(VALU_DEP_1)
	v_sub_nc_u32_e32 v1, v4, v1
	v_mad_u32 v2, v1, s14, v2
	v_mad_u32 v3, v1, s15, v3
.LBB7_181:
	global_load_b64 v[4:5], v3, s[6:7]
                                        ; implicit-def: $vgpr6_vgpr7
	s_wait_loadcnt 0x0
	v_cmp_ge_f64_e64 s0, 0x40200000, |v[4:5]|
	s_wait_xcnt 0x0
	s_and_saveexec_b32 s22, s0
	s_delay_alu instid0(SALU_CYCLE_1)
	s_xor_b32 s0, exec_lo, s22
	s_cbranch_execz .LBB7_187
; %bb.182:
	v_fma_f64 v[6:7], |v[4:5]|, 0.5, -2.0
	s_mov_b64 s[22:23], 0x3c499f2a0c3c4014
	s_delay_alu instid0(VALU_DEP_1) | instid1(SALU_CYCLE_1)
	v_fmaak_f64 v[8:9], s[22:23], v[6:7], 0xbc7857d0c38a0576
	s_mov_b64 s[22:23], 0x3ff71547652b82fe
	s_delay_alu instid0(SALU_CYCLE_1) | instskip(SKIP_1) | instid1(VALU_DEP_2)
	v_mul_f64_e64 v[12:13], |v[4:5]|, s[22:23]
	s_mov_b64 s[22:23], 0xbfe62e42fefa39ef
	v_fmaak_f64 v[10:11], v[6:7], v[8:9], 0xbc499f2a0c3c4014
	s_delay_alu instid0(VALU_DEP_1) | instskip(NEXT) | instid1(VALU_DEP_3)
	v_add_f64_e32 v[10:11], 0x3ca663e3e593bfac, v[10:11]
	v_rndne_f64_e32 v[12:13], v[12:13]
	s_delay_alu instid0(VALU_DEP_2) | instskip(NEXT) | instid1(VALU_DEP_2)
	v_fma_f64 v[8:9], v[6:7], v[10:11], -v[8:9]
	v_fma_f64 v[14:15], v[12:13], s[22:23], |v[4:5]|
	s_mov_b64 s[22:23], 0x3e5ade156a5dcb37
	v_cvt_i32_f64_e32 v1, v[12:13]
	s_delay_alu instid0(VALU_DEP_3) | instskip(NEXT) | instid1(VALU_DEP_1)
	v_add_f64_e32 v[8:9], 0xbcd3eaaa7e0d1573, v[8:9]
	v_fma_f64 v[10:11], v[6:7], v[8:9], -v[10:11]
	s_delay_alu instid0(VALU_DEP_1) | instskip(NEXT) | instid1(VALU_DEP_1)
	v_add_f64_e32 v[10:11], 0x3d011d7f0615290c, v[10:11]
	v_fma_f64 v[8:9], v[6:7], v[10:11], -v[8:9]
	s_delay_alu instid0(VALU_DEP_1) | instskip(NEXT) | instid1(VALU_DEP_1)
	;; [unrolled: 3-line block ×24, first 2 shown]
	v_add_f64_e32 v[8:9], 0xbfc694d10469192e, v[8:9]
	v_fma_f64 v[6:7], v[6:7], v[8:9], -v[10:11]
	v_fmamk_f64 v[8:9], v[12:13], 0xbc7abc9e3b39803f, v[14:15]
	s_delay_alu instid0(VALU_DEP_1) | instskip(SKIP_1) | instid1(VALU_DEP_1)
	v_fmaak_f64 v[14:15], s[22:23], v[8:9], 0x3e928af3fca7ab0c
	s_mov_b32 s22, exec_lo
	v_fmaak_f64 v[14:15], v[8:9], v[14:15], 0x3ec71dee623fde64
	s_delay_alu instid0(VALU_DEP_1) | instskip(NEXT) | instid1(VALU_DEP_1)
	v_fmaak_f64 v[14:15], v[8:9], v[14:15], 0x3efa01997c89e6b0
	v_fmaak_f64 v[14:15], v[8:9], v[14:15], 0x3f2a01a014761f6e
	v_add_f64_e32 v[6:7], 0x3fd02a63724a7ffa, v[6:7]
	s_delay_alu instid0(VALU_DEP_2) | instskip(NEXT) | instid1(VALU_DEP_2)
	v_fmaak_f64 v[14:15], v[8:9], v[14:15], 0x3f56c16c1852b7b0
	v_add_f64_e64 v[6:7], v[6:7], -v[10:11]
	s_delay_alu instid0(VALU_DEP_2) | instskip(NEXT) | instid1(VALU_DEP_1)
	v_fmaak_f64 v[10:11], v[8:9], v[14:15], 0x3f81111111122322
	v_fmaak_f64 v[10:11], v[8:9], v[10:11], 0x3fa55555555502a1
	s_delay_alu instid0(VALU_DEP_1) | instskip(NEXT) | instid1(VALU_DEP_1)
	v_fmaak_f64 v[10:11], v[8:9], v[10:11], 0x3fc5555555555511
	v_fmaak_f64 v[10:11], v[8:9], v[10:11], 0x3fe000000000000b
	s_delay_alu instid0(VALU_DEP_1) | instskip(SKIP_1) | instid1(VALU_DEP_2)
	v_fma_f64 v[10:11], v[8:9], v[10:11], 1.0
	v_mul_f64_e32 v[6:7], 0.5, v[6:7]
	v_fma_f64 v[10:11], v[8:9], v[10:11], 1.0
	s_delay_alu instid0(VALU_DEP_2)
	v_mul_f64_e64 v[8:9], |v[4:5]|, v[6:7]
                                        ; implicit-def: $vgpr6_vgpr7
	v_cmpx_ngt_f64_e32 0, v[4:5]
	s_xor_b32 s22, exec_lo, s22
	s_cbranch_execz .LBB7_184
; %bb.183:
	s_delay_alu instid0(VALU_DEP_3) | instskip(SKIP_1) | instid1(VALU_DEP_2)
	v_ldexp_f64 v[6:7], v[10:11], v1
	v_cmp_nlt_f64_e64 vcc_lo, 0x40900000, |v[4:5]|
                                        ; implicit-def: $vgpr10_vgpr11
                                        ; implicit-def: $vgpr1
	v_cndmask_b32_e32 v5, 0x7ff00000, v7, vcc_lo
	s_delay_alu instid0(VALU_DEP_3) | instskip(NEXT) | instid1(VALU_DEP_1)
	v_cndmask_b32_e32 v4, 0, v6, vcc_lo
	v_mul_f64_e32 v[6:7], v[4:5], v[8:9]
                                        ; implicit-def: $vgpr4_vgpr5
                                        ; implicit-def: $vgpr8_vgpr9
.LBB7_184:
	s_and_not1_saveexec_b32 s22, s22
	s_cbranch_execz .LBB7_186
; %bb.185:
	s_delay_alu instid0(VALU_DEP_3) | instskip(SKIP_1) | instid1(VALU_DEP_2)
	v_ldexp_f64 v[6:7], -v[10:11], v1
	v_cmp_nlt_f64_e64 vcc_lo, 0x40900000, |v[4:5]|
	v_cndmask_b32_e32 v5, 0xfff00000, v7, vcc_lo
	s_delay_alu instid0(VALU_DEP_3) | instskip(NEXT) | instid1(VALU_DEP_1)
	v_cndmask_b32_e32 v4, 0, v6, vcc_lo
	v_mul_f64_e32 v[6:7], v[4:5], v[8:9]
.LBB7_186:
	s_or_b32 exec_lo, exec_lo, s22
                                        ; implicit-def: $vgpr4_vgpr5
.LBB7_187:
	s_and_not1_saveexec_b32 s22, s0
	s_cbranch_execz .LBB7_193
; %bb.188:
	v_and_b32_e32 v7, 0x7fffffff, v5
	v_mov_b32_e32 v6, v4
	s_mov_b64 s[24:25], 0x3c61556db352e8e6
	v_cmp_ngt_f64_e64 s0, 0, v[4:5]
	s_delay_alu instid0(VALU_DEP_2) | instskip(SKIP_1) | instid1(VALU_DEP_2)
	v_div_scale_f64 v[8:9], null, v[6:7], v[6:7], 0x40400000
	v_div_scale_f64 v[6:7], vcc_lo, 0x40400000, v[6:7], 0x40400000
	v_rcp_f64_e32 v[10:11], v[8:9]
	v_nop
	s_delay_alu instid0(TRANS32_DEP_1) | instskip(NEXT) | instid1(VALU_DEP_1)
	v_fma_f64 v[12:13], -v[8:9], v[10:11], 1.0
	v_fmac_f64_e32 v[10:11], v[10:11], v[12:13]
	s_delay_alu instid0(VALU_DEP_1) | instskip(NEXT) | instid1(VALU_DEP_1)
	v_fma_f64 v[12:13], -v[8:9], v[10:11], 1.0
	v_fmac_f64_e32 v[10:11], v[10:11], v[12:13]
	s_delay_alu instid0(VALU_DEP_1) | instskip(NEXT) | instid1(VALU_DEP_1)
	v_mul_f64_e32 v[12:13], v[6:7], v[10:11]
	v_fma_f64 v[6:7], -v[8:9], v[12:13], v[6:7]
	s_delay_alu instid0(VALU_DEP_1) | instskip(SKIP_1) | instid1(VALU_DEP_2)
	v_div_fmas_f64 v[6:7], v[6:7], v[10:11], v[12:13]
	v_cmp_nlt_f64_e64 vcc_lo, 0x40900000, |v[4:5]|
	v_div_fixup_f64 v[6:7], v[6:7], |v[4:5]|, 0x40400000
	s_delay_alu instid0(VALU_DEP_1) | instskip(NEXT) | instid1(VALU_DEP_1)
	v_add_f64_e32 v[6:7], -2.0, v[6:7]
	v_fmaak_f64 v[8:9], s[24:25], v[6:7], 0x3c545b8aea87b950
	s_mov_b64 s[24:25], 0x3ff71547652b82fe
	s_delay_alu instid0(SALU_CYCLE_1) | instskip(SKIP_1) | instid1(VALU_DEP_2)
	v_mul_f64_e64 v[12:13], |v[4:5]|, s[24:25]
	s_mov_b64 s[24:25], 0xbfe62e42fefa39ef
	v_fmaak_f64 v[10:11], v[6:7], v[8:9], 0xbc61556db352e8e6
	s_delay_alu instid0(VALU_DEP_1) | instskip(NEXT) | instid1(VALU_DEP_3)
	v_add_f64_e32 v[10:11], 0xbc8acea3b2532277, v[10:11]
	v_rndne_f64_e32 v[12:13], v[12:13]
	s_delay_alu instid0(VALU_DEP_2) | instskip(NEXT) | instid1(VALU_DEP_2)
	v_fma_f64 v[8:9], v[6:7], v[10:11], -v[8:9]
	v_fma_f64 v[14:15], v[12:13], s[24:25], |v[4:5]|
	s_mov_b64 s[24:25], 0x3e5ade156a5dcb37
	v_cvt_i32_f64_e32 v1, v[12:13]
	s_delay_alu instid0(VALU_DEP_3) | instskip(NEXT) | instid1(VALU_DEP_3)
	v_add_f64_e32 v[8:9], 0xbc82806c9c773320, v[8:9]
	v_fmamk_f64 v[14:15], v[12:13], 0xbc7abc9e3b39803f, v[14:15]
	s_delay_alu instid0(VALU_DEP_1) | instskip(NEXT) | instid1(VALU_DEP_3)
	v_fmaak_f64 v[16:17], s[24:25], v[14:15], 0x3e928af3fca7ab0c
	v_fma_f64 v[10:11], v[6:7], v[8:9], -v[10:11]
	s_delay_alu instid0(VALU_DEP_2) | instskip(NEXT) | instid1(VALU_DEP_1)
	v_fmaak_f64 v[16:17], v[14:15], v[16:17], 0x3ec71dee623fde64
	v_fmaak_f64 v[16:17], v[14:15], v[16:17], 0x3efa01997c89e6b0
	s_delay_alu instid0(VALU_DEP_1) | instskip(NEXT) | instid1(VALU_DEP_1)
	v_fmaak_f64 v[16:17], v[14:15], v[16:17], 0x3f2a01a014761f6e
	v_fmaak_f64 v[16:17], v[14:15], v[16:17], 0x3f56c16c1852b7b0
	s_delay_alu instid0(VALU_DEP_1) | instskip(SKIP_1) | instid1(VALU_DEP_2)
	v_fmaak_f64 v[16:17], v[14:15], v[16:17], 0x3f81111111122322
	v_add_f64_e32 v[10:11], 0x3cb55915fceb588a, v[10:11]
	v_fmaak_f64 v[16:17], v[14:15], v[16:17], 0x3fa55555555502a1
	s_delay_alu instid0(VALU_DEP_1) | instskip(NEXT) | instid1(VALU_DEP_1)
	v_fmaak_f64 v[16:17], v[14:15], v[16:17], 0x3fc5555555555511
	v_fmaak_f64 v[16:17], v[14:15], v[16:17], 0x3fe000000000000b
	s_delay_alu instid0(VALU_DEP_1) | instskip(SKIP_1) | instid1(VALU_DEP_1)
	v_fma_f64 v[16:17], v[14:15], v[16:17], 1.0
	v_fma_f64 v[8:9], v[6:7], v[10:11], -v[8:9]
	v_add_f64_e32 v[8:9], 0x3cb7d68e5f04a2d1, v[8:9]
	s_delay_alu instid0(VALU_DEP_1) | instskip(NEXT) | instid1(VALU_DEP_1)
	v_fma_f64 v[10:11], v[6:7], v[8:9], -v[10:11]
	v_add_f64_e32 v[10:11], 0xbce0efcd8bc4d22a, v[10:11]
	s_delay_alu instid0(VALU_DEP_1) | instskip(NEXT) | instid1(VALU_DEP_1)
	;; [unrolled: 3-line block ×18, first 2 shown]
	v_fma_f64 v[8:9], v[6:7], v[10:11], -v[8:9]
	v_add_f64_e32 v[8:9], 0xbf83fda053fcdb4c, v[8:9]
	s_delay_alu instid0(VALU_DEP_1) | instskip(SKIP_1) | instid1(VALU_DEP_2)
	v_fma_f64 v[6:7], v[6:7], v[8:9], -v[10:11]
	v_fma_f64 v[8:9], v[14:15], v[16:17], 1.0
	v_add_f64_e32 v[6:7], 0x3fe8ea18b55b1514, v[6:7]
	s_delay_alu instid0(VALU_DEP_2) | instskip(NEXT) | instid1(VALU_DEP_2)
	v_ldexp_f64 v[8:9], v[8:9], v1
	v_add_f64_e64 v[10:11], v[6:7], -v[10:11]
	s_delay_alu instid0(VALU_DEP_2) | instskip(NEXT) | instid1(VALU_DEP_3)
	v_cndmask_b32_e32 v9, 0x7ff00000, v9, vcc_lo
	v_cndmask_b32_e32 v8, 0, v8, vcc_lo
                                        ; implicit-def: $vgpr6_vgpr7
	s_and_saveexec_b32 s23, s0
	s_delay_alu instid0(SALU_CYCLE_1)
	s_xor_b32 s0, exec_lo, s23
	s_cbranch_execz .LBB7_190
; %bb.189:
	v_cmp_gt_f64_e64 s23, 0x10000000, |v[4:5]|
	s_delay_alu instid0(VALU_DEP_1) | instskip(NEXT) | instid1(VALU_DEP_1)
	v_cndmask_b32_e64 v1, 0, 0x100, s23
	v_ldexp_f64 v[4:5], |v[4:5]|, v1
	v_cndmask_b32_e64 v1, 0, 0xffffff80, s23
	s_delay_alu instid0(VALU_DEP_2) | instskip(SKIP_1) | instid1(TRANS32_DEP_1)
	v_rsq_f64_e32 v[6:7], v[4:5]
	v_cmp_class_f64_e64 vcc_lo, v[4:5], 0x260
	v_mul_f64_e32 v[12:13], v[4:5], v[6:7]
	v_mul_f64_e32 v[6:7], 0.5, v[6:7]
	s_delay_alu instid0(VALU_DEP_1) | instskip(NEXT) | instid1(VALU_DEP_1)
	v_fma_f64 v[14:15], -v[6:7], v[12:13], 0.5
	v_fmac_f64_e32 v[12:13], v[12:13], v[14:15]
	v_fmac_f64_e32 v[6:7], v[6:7], v[14:15]
	s_delay_alu instid0(VALU_DEP_2) | instskip(NEXT) | instid1(VALU_DEP_1)
	v_fma_f64 v[14:15], -v[12:13], v[12:13], v[4:5]
	v_fmac_f64_e32 v[12:13], v[14:15], v[6:7]
	s_delay_alu instid0(VALU_DEP_1) | instskip(NEXT) | instid1(VALU_DEP_1)
	v_fma_f64 v[14:15], -v[12:13], v[12:13], v[4:5]
	v_fmac_f64_e32 v[12:13], v[14:15], v[6:7]
	v_mul_f64_e32 v[6:7], 0.5, v[10:11]
	s_delay_alu instid0(VALU_DEP_2) | instskip(NEXT) | instid1(VALU_DEP_1)
	v_ldexp_f64 v[10:11], v[12:13], v1
	v_dual_mul_f64 v[6:7], v[8:9], v[6:7] :: v_dual_cndmask_b32 v5, v11, v5, vcc_lo
	s_delay_alu instid0(VALU_DEP_2) | instskip(NEXT) | instid1(VALU_DEP_1)
	v_cndmask_b32_e32 v4, v10, v4, vcc_lo
	v_div_scale_f64 v[8:9], null, v[4:5], v[4:5], v[6:7]
	s_delay_alu instid0(VALU_DEP_1) | instskip(SKIP_1) | instid1(TRANS32_DEP_1)
	v_rcp_f64_e32 v[10:11], v[8:9]
	v_nop
	v_fma_f64 v[12:13], -v[8:9], v[10:11], 1.0
	s_delay_alu instid0(VALU_DEP_1) | instskip(NEXT) | instid1(VALU_DEP_1)
	v_fmac_f64_e32 v[10:11], v[10:11], v[12:13]
	v_fma_f64 v[12:13], -v[8:9], v[10:11], 1.0
	s_delay_alu instid0(VALU_DEP_1) | instskip(SKIP_1) | instid1(VALU_DEP_1)
	v_fmac_f64_e32 v[10:11], v[10:11], v[12:13]
	v_div_scale_f64 v[12:13], vcc_lo, v[6:7], v[4:5], v[6:7]
	v_mul_f64_e32 v[14:15], v[12:13], v[10:11]
	s_delay_alu instid0(VALU_DEP_1) | instskip(NEXT) | instid1(VALU_DEP_1)
	v_fma_f64 v[8:9], -v[8:9], v[14:15], v[12:13]
	v_div_fmas_f64 v[8:9], v[8:9], v[10:11], v[14:15]
                                        ; implicit-def: $vgpr10_vgpr11
	s_delay_alu instid0(VALU_DEP_1)
	v_div_fixup_f64 v[6:7], v[8:9], v[4:5], v[6:7]
                                        ; implicit-def: $vgpr4_vgpr5
                                        ; implicit-def: $vgpr8_vgpr9
.LBB7_190:
	s_and_not1_saveexec_b32 s0, s0
	s_cbranch_execz .LBB7_192
; %bb.191:
	v_cmp_gt_f64_e64 s23, 0x10000000, |v[4:5]|
	s_delay_alu instid0(VALU_DEP_1) | instskip(NEXT) | instid1(VALU_DEP_1)
	v_cndmask_b32_e64 v1, 0, 0x100, s23
	v_ldexp_f64 v[4:5], |v[4:5]|, v1
	v_cndmask_b32_e64 v1, 0, 0xffffff80, s23
	s_delay_alu instid0(VALU_DEP_2) | instskip(SKIP_1) | instid1(TRANS32_DEP_1)
	v_rsq_f64_e32 v[6:7], v[4:5]
	v_cmp_class_f64_e64 vcc_lo, v[4:5], 0x260
	v_mul_f64_e32 v[12:13], v[4:5], v[6:7]
	v_mul_f64_e32 v[6:7], 0.5, v[6:7]
	s_delay_alu instid0(VALU_DEP_1) | instskip(NEXT) | instid1(VALU_DEP_1)
	v_fma_f64 v[14:15], -v[6:7], v[12:13], 0.5
	v_fmac_f64_e32 v[12:13], v[12:13], v[14:15]
	v_fmac_f64_e32 v[6:7], v[6:7], v[14:15]
	s_delay_alu instid0(VALU_DEP_2) | instskip(NEXT) | instid1(VALU_DEP_1)
	v_fma_f64 v[14:15], -v[12:13], v[12:13], v[4:5]
	v_fmac_f64_e32 v[12:13], v[14:15], v[6:7]
	s_delay_alu instid0(VALU_DEP_1) | instskip(NEXT) | instid1(VALU_DEP_1)
	v_fma_f64 v[14:15], -v[12:13], v[12:13], v[4:5]
	v_fmac_f64_e32 v[12:13], v[14:15], v[6:7]
	v_mul_f64_e32 v[6:7], -0.5, v[10:11]
	s_delay_alu instid0(VALU_DEP_2) | instskip(NEXT) | instid1(VALU_DEP_1)
	v_ldexp_f64 v[10:11], v[12:13], v1
	v_dual_mul_f64 v[6:7], v[8:9], v[6:7] :: v_dual_cndmask_b32 v5, v11, v5, vcc_lo
	s_delay_alu instid0(VALU_DEP_2) | instskip(NEXT) | instid1(VALU_DEP_1)
	v_cndmask_b32_e32 v4, v10, v4, vcc_lo
	v_div_scale_f64 v[8:9], null, v[4:5], v[4:5], v[6:7]
	s_delay_alu instid0(VALU_DEP_1) | instskip(SKIP_1) | instid1(TRANS32_DEP_1)
	v_rcp_f64_e32 v[10:11], v[8:9]
	v_nop
	v_fma_f64 v[12:13], -v[8:9], v[10:11], 1.0
	s_delay_alu instid0(VALU_DEP_1) | instskip(NEXT) | instid1(VALU_DEP_1)
	v_fmac_f64_e32 v[10:11], v[10:11], v[12:13]
	v_fma_f64 v[12:13], -v[8:9], v[10:11], 1.0
	s_delay_alu instid0(VALU_DEP_1) | instskip(SKIP_1) | instid1(VALU_DEP_1)
	v_fmac_f64_e32 v[10:11], v[10:11], v[12:13]
	v_div_scale_f64 v[12:13], vcc_lo, v[6:7], v[4:5], v[6:7]
	v_mul_f64_e32 v[14:15], v[12:13], v[10:11]
	s_delay_alu instid0(VALU_DEP_1) | instskip(NEXT) | instid1(VALU_DEP_1)
	v_fma_f64 v[8:9], -v[8:9], v[14:15], v[12:13]
	v_div_fmas_f64 v[8:9], v[8:9], v[10:11], v[14:15]
	s_delay_alu instid0(VALU_DEP_1)
	v_div_fixup_f64 v[6:7], v[8:9], v[4:5], v[6:7]
.LBB7_192:
	s_or_b32 exec_lo, exec_lo, s0
.LBB7_193:
	s_delay_alu instid0(SALU_CYCLE_1) | instskip(SKIP_4) | instid1(SALU_CYCLE_1)
	s_or_b32 exec_lo, exec_lo, s22
	v_add_nc_u32_e32 v0, 0x80, v0
	global_store_b64 v2, v[6:7], s[4:5]
	s_wait_xcnt 0x0
	s_or_b32 exec_lo, exec_lo, s9
	s_mov_b32 s9, exec_lo
	v_cmpx_gt_i32_e64 s34, v0
	s_cbranch_execz .LBB7_172
.LBB7_194:
	s_and_not1_b32 vcc_lo, exec_lo, s30
	s_cbranch_vccnz .LBB7_199
; %bb.195:
	s_and_not1_b32 vcc_lo, exec_lo, s36
	s_cbranch_vccnz .LBB7_200
; %bb.196:
	s_add_co_i32 s35, s35, 1
	s_cmp_eq_u32 s29, 2
	s_cbranch_scc1 .LBB7_201
; %bb.197:
	v_dual_mov_b32 v2, 0 :: v_dual_mov_b32 v3, 0
	v_mov_b32_e32 v1, v0
	s_and_b32 s22, s35, 28
	s_mov_b32 s0, 0
	s_mov_b64 s[24:25], s[2:3]
.LBB7_198:                              ; =>This Inner Loop Header: Depth=1
	s_clause 0x1
	s_load_b256 s[36:43], s[24:25], 0x4
	s_load_b128 s[52:55], s[24:25], 0x24
	s_load_b256 s[44:51], s[20:21], 0x0
	s_add_co_i32 s0, s0, 4
	s_wait_xcnt 0x0
	s_add_nc_u64 s[24:25], s[24:25], 48
	s_cmp_eq_u32 s22, s0
	s_add_nc_u64 s[20:21], s[20:21], 32
	s_wait_kmcnt 0x0
	v_mul_hi_u32 v4, s37, v1
	s_delay_alu instid0(VALU_DEP_1) | instskip(NEXT) | instid1(VALU_DEP_1)
	v_add_nc_u32_e32 v4, v1, v4
	v_lshrrev_b32_e32 v4, s38, v4
	s_delay_alu instid0(VALU_DEP_1) | instskip(NEXT) | instid1(VALU_DEP_1)
	v_mul_hi_u32 v5, s40, v4
	v_add_nc_u32_e32 v5, v4, v5
	s_delay_alu instid0(VALU_DEP_1) | instskip(NEXT) | instid1(VALU_DEP_1)
	v_lshrrev_b32_e32 v5, s41, v5
	v_mul_hi_u32 v6, s43, v5
	s_delay_alu instid0(VALU_DEP_1) | instskip(SKIP_1) | instid1(VALU_DEP_1)
	v_add_nc_u32_e32 v6, v5, v6
	v_mul_lo_u32 v7, v4, s36
	v_sub_nc_u32_e32 v1, v1, v7
	v_mul_lo_u32 v7, v5, s39
	s_delay_alu instid0(VALU_DEP_4) | instskip(NEXT) | instid1(VALU_DEP_3)
	v_lshrrev_b32_e32 v6, s52, v6
	v_mad_u32 v3, v1, s45, v3
	v_mad_u32 v1, v1, s44, v2
	s_delay_alu instid0(VALU_DEP_4) | instskip(NEXT) | instid1(VALU_DEP_4)
	v_sub_nc_u32_e32 v2, v4, v7
	v_mul_hi_u32 v8, s54, v6
	v_mul_lo_u32 v4, v6, s42
	s_delay_alu instid0(VALU_DEP_3) | instskip(SKIP_1) | instid1(VALU_DEP_4)
	v_mad_u32 v3, v2, s47, v3
	v_mad_u32 v2, v2, s46, v1
	v_add_nc_u32_e32 v7, v6, v8
	s_delay_alu instid0(VALU_DEP_1) | instskip(NEXT) | instid1(VALU_DEP_1)
	v_dual_sub_nc_u32 v4, v5, v4 :: v_dual_lshrrev_b32 v1, s55, v7
	v_mad_u32 v3, v4, s49, v3
	s_delay_alu instid0(VALU_DEP_4) | instskip(NEXT) | instid1(VALU_DEP_3)
	v_mad_u32 v2, v4, s48, v2
	v_mul_lo_u32 v5, v1, s53
	s_delay_alu instid0(VALU_DEP_1) | instskip(NEXT) | instid1(VALU_DEP_1)
	v_sub_nc_u32_e32 v4, v6, v5
	v_mad_u32 v3, v4, s51, v3
	s_delay_alu instid0(VALU_DEP_4)
	v_mad_u32 v2, v4, s50, v2
	s_cbranch_scc0 .LBB7_198
	s_branch .LBB7_202
.LBB7_199:
                                        ; implicit-def: $vgpr3
	s_branch .LBB7_206
.LBB7_200:
	v_dual_mov_b32 v3, 0 :: v_dual_mov_b32 v2, 0
	s_branch .LBB7_205
.LBB7_201:
	v_mov_b64_e32 v[2:3], 0
	v_mov_b32_e32 v1, v0
	s_mov_b32 s22, 0
.LBB7_202:
	s_and_b32 s0, s35, 3
	s_mov_b32 s23, 0
	s_cmp_eq_u32 s0, 0
	s_cbranch_scc1 .LBB7_205
; %bb.203:
	s_lshl_b32 s20, s22, 3
	s_mov_b32 s21, s23
	s_mul_u64 s[22:23], s[22:23], 12
	s_add_nc_u64 s[20:21], s[2:3], s[20:21]
	s_add_nc_u64 s[22:23], s[2:3], s[22:23]
	;; [unrolled: 1-line block ×3, first 2 shown]
.LBB7_204:                              ; =>This Inner Loop Header: Depth=1
	s_load_b96 s[24:26], s[22:23], 0x4
	s_add_co_i32 s0, s0, -1
	s_wait_xcnt 0x0
	s_add_nc_u64 s[22:23], s[22:23], 12
	s_cmp_lg_u32 s0, 0
	s_wait_kmcnt 0x0
	v_mul_hi_u32 v4, s25, v1
	s_delay_alu instid0(VALU_DEP_1) | instskip(NEXT) | instid1(VALU_DEP_1)
	v_add_nc_u32_e32 v4, v1, v4
	v_lshrrev_b32_e32 v4, s26, v4
	s_load_b64 s[26:27], s[20:21], 0x0
	s_wait_xcnt 0x0
	s_add_nc_u64 s[20:21], s[20:21], 8
	s_delay_alu instid0(VALU_DEP_1) | instskip(NEXT) | instid1(VALU_DEP_1)
	v_mul_lo_u32 v5, v4, s24
	v_sub_nc_u32_e32 v1, v1, v5
	s_wait_kmcnt 0x0
	s_delay_alu instid0(VALU_DEP_1)
	v_mad_u32 v3, v1, s27, v3
	v_mad_u32 v2, v1, s26, v2
	v_mov_b32_e32 v1, v4
	s_cbranch_scc1 .LBB7_204
.LBB7_205:
	s_cbranch_execnz .LBB7_208
.LBB7_206:
	v_mov_b32_e32 v1, 0
	s_and_not1_b32 vcc_lo, exec_lo, s33
	s_delay_alu instid0(VALU_DEP_1) | instskip(NEXT) | instid1(VALU_DEP_1)
	v_mul_u64_e32 v[2:3], s[16:17], v[0:1]
	v_add_nc_u32_e32 v2, v0, v3
	s_delay_alu instid0(VALU_DEP_1) | instskip(NEXT) | instid1(VALU_DEP_1)
	v_lshrrev_b32_e32 v4, s10, v2
	v_mul_lo_u32 v2, v4, s8
	s_delay_alu instid0(VALU_DEP_1) | instskip(NEXT) | instid1(VALU_DEP_1)
	v_sub_nc_u32_e32 v0, v0, v2
	v_mul_lo_u32 v3, v0, s13
	v_mul_lo_u32 v2, v0, s12
	s_cbranch_vccnz .LBB7_208
; %bb.207:
	v_mov_b32_e32 v5, v1
	s_delay_alu instid0(VALU_DEP_1) | instskip(NEXT) | instid1(VALU_DEP_1)
	v_mul_u64_e32 v[0:1], s[18:19], v[4:5]
	v_add_nc_u32_e32 v0, v4, v1
	s_delay_alu instid0(VALU_DEP_1) | instskip(NEXT) | instid1(VALU_DEP_1)
	v_lshrrev_b32_e32 v0, s1, v0
	v_mul_lo_u32 v0, v0, s11
	s_delay_alu instid0(VALU_DEP_1) | instskip(NEXT) | instid1(VALU_DEP_1)
	v_sub_nc_u32_e32 v0, v4, v0
	v_mad_u32 v2, v0, s14, v2
	v_mad_u32 v3, v0, s15, v3
.LBB7_208:
	global_load_b64 v[0:1], v3, s[6:7]
                                        ; implicit-def: $vgpr4_vgpr5
	s_wait_loadcnt 0x0
	v_cmp_ge_f64_e64 s0, 0x40200000, |v[0:1]|
	s_wait_xcnt 0x0
	s_and_saveexec_b32 s1, s0
	s_delay_alu instid0(SALU_CYCLE_1)
	s_xor_b32 s0, exec_lo, s1
	s_cbranch_execz .LBB7_214
; %bb.209:
	v_fma_f64 v[4:5], |v[0:1]|, 0.5, -2.0
	s_mov_b64 s[6:7], 0x3c499f2a0c3c4014
	s_mov_b32 s1, exec_lo
	s_delay_alu instid0(VALU_DEP_1) | instskip(SKIP_1) | instid1(SALU_CYCLE_1)
	v_fmaak_f64 v[6:7], s[6:7], v[4:5], 0xbc7857d0c38a0576
	s_mov_b64 s[6:7], 0x3ff71547652b82fe
	v_mul_f64_e64 v[10:11], |v[0:1]|, s[6:7]
	s_mov_b64 s[6:7], 0xbfe62e42fefa39ef
	s_delay_alu instid0(VALU_DEP_2) | instskip(NEXT) | instid1(VALU_DEP_1)
	v_fmaak_f64 v[8:9], v[4:5], v[6:7], 0xbc499f2a0c3c4014
	v_add_f64_e32 v[8:9], 0x3ca663e3e593bfac, v[8:9]
	s_delay_alu instid0(VALU_DEP_3) | instskip(NEXT) | instid1(VALU_DEP_2)
	v_rndne_f64_e32 v[10:11], v[10:11]
	v_fma_f64 v[6:7], v[4:5], v[8:9], -v[6:7]
	s_delay_alu instid0(VALU_DEP_2) | instskip(SKIP_2) | instid1(VALU_DEP_3)
	v_fma_f64 v[12:13], v[10:11], s[6:7], |v[0:1]|
	s_mov_b64 s[6:7], 0x3e5ade156a5dcb37
	v_cvt_i32_f64_e32 v3, v[10:11]
	v_add_f64_e32 v[6:7], 0xbcd3eaaa7e0d1573, v[6:7]
	s_delay_alu instid0(VALU_DEP_1) | instskip(NEXT) | instid1(VALU_DEP_1)
	v_fma_f64 v[8:9], v[4:5], v[6:7], -v[8:9]
	v_add_f64_e32 v[8:9], 0x3d011d7f0615290c, v[8:9]
	s_delay_alu instid0(VALU_DEP_1) | instskip(NEXT) | instid1(VALU_DEP_1)
	v_fma_f64 v[6:7], v[4:5], v[8:9], -v[6:7]
	;; [unrolled: 3-line block ×24, first 2 shown]
	v_add_f64_e32 v[6:7], 0xbfc694d10469192e, v[6:7]
	s_delay_alu instid0(VALU_DEP_1) | instskip(SKIP_1) | instid1(VALU_DEP_1)
	v_fma_f64 v[4:5], v[4:5], v[6:7], -v[8:9]
	v_fmamk_f64 v[6:7], v[10:11], 0xbc7abc9e3b39803f, v[12:13]
	v_fmaak_f64 v[12:13], s[6:7], v[6:7], 0x3e928af3fca7ab0c
	s_delay_alu instid0(VALU_DEP_1) | instskip(NEXT) | instid1(VALU_DEP_1)
	v_fmaak_f64 v[12:13], v[6:7], v[12:13], 0x3ec71dee623fde64
	v_fmaak_f64 v[12:13], v[6:7], v[12:13], 0x3efa01997c89e6b0
	s_delay_alu instid0(VALU_DEP_1) | instskip(SKIP_1) | instid1(VALU_DEP_2)
	v_fmaak_f64 v[12:13], v[6:7], v[12:13], 0x3f2a01a014761f6e
	v_add_f64_e32 v[4:5], 0x3fd02a63724a7ffa, v[4:5]
	v_fmaak_f64 v[12:13], v[6:7], v[12:13], 0x3f56c16c1852b7b0
	s_delay_alu instid0(VALU_DEP_2) | instskip(NEXT) | instid1(VALU_DEP_2)
	v_add_f64_e64 v[4:5], v[4:5], -v[8:9]
	v_fmaak_f64 v[8:9], v[6:7], v[12:13], 0x3f81111111122322
	s_delay_alu instid0(VALU_DEP_1) | instskip(NEXT) | instid1(VALU_DEP_1)
	v_fmaak_f64 v[8:9], v[6:7], v[8:9], 0x3fa55555555502a1
	v_fmaak_f64 v[8:9], v[6:7], v[8:9], 0x3fc5555555555511
	s_delay_alu instid0(VALU_DEP_1) | instskip(NEXT) | instid1(VALU_DEP_1)
	v_fmaak_f64 v[8:9], v[6:7], v[8:9], 0x3fe000000000000b
	v_fma_f64 v[8:9], v[6:7], v[8:9], 1.0
	v_mul_f64_e32 v[4:5], 0.5, v[4:5]
	s_delay_alu instid0(VALU_DEP_2) | instskip(NEXT) | instid1(VALU_DEP_2)
	v_fma_f64 v[8:9], v[6:7], v[8:9], 1.0
	v_mul_f64_e64 v[6:7], |v[0:1]|, v[4:5]
                                        ; implicit-def: $vgpr4_vgpr5
	v_cmpx_ngt_f64_e32 0, v[0:1]
	s_xor_b32 s1, exec_lo, s1
	s_cbranch_execz .LBB7_211
; %bb.210:
	s_delay_alu instid0(VALU_DEP_3) | instskip(SKIP_1) | instid1(VALU_DEP_2)
	v_ldexp_f64 v[4:5], v[8:9], v3
	v_cmp_nlt_f64_e64 vcc_lo, 0x40900000, |v[0:1]|
                                        ; implicit-def: $vgpr8_vgpr9
                                        ; implicit-def: $vgpr3
	v_cndmask_b32_e32 v1, 0x7ff00000, v5, vcc_lo
	s_delay_alu instid0(VALU_DEP_3) | instskip(NEXT) | instid1(VALU_DEP_1)
	v_cndmask_b32_e32 v0, 0, v4, vcc_lo
	v_mul_f64_e32 v[4:5], v[0:1], v[6:7]
                                        ; implicit-def: $vgpr0_vgpr1
                                        ; implicit-def: $vgpr6_vgpr7
.LBB7_211:
	s_and_not1_saveexec_b32 s1, s1
	s_cbranch_execz .LBB7_213
; %bb.212:
	s_delay_alu instid0(VALU_DEP_3) | instskip(SKIP_1) | instid1(VALU_DEP_2)
	v_ldexp_f64 v[4:5], -v[8:9], v3
	v_cmp_nlt_f64_e64 vcc_lo, 0x40900000, |v[0:1]|
	v_cndmask_b32_e32 v1, 0xfff00000, v5, vcc_lo
	s_delay_alu instid0(VALU_DEP_3) | instskip(NEXT) | instid1(VALU_DEP_1)
	v_cndmask_b32_e32 v0, 0, v4, vcc_lo
	v_mul_f64_e32 v[4:5], v[0:1], v[6:7]
.LBB7_213:
	s_or_b32 exec_lo, exec_lo, s1
                                        ; implicit-def: $vgpr0_vgpr1
.LBB7_214:
	s_and_not1_saveexec_b32 s1, s0
	s_cbranch_execz .LBB7_220
; %bb.215:
	v_and_b32_e32 v5, 0x7fffffff, v1
	v_mov_b32_e32 v4, v0
	s_mov_b64 s[6:7], 0x3c61556db352e8e6
	v_cmp_ngt_f64_e64 s0, 0, v[0:1]
	s_delay_alu instid0(VALU_DEP_2) | instskip(SKIP_1) | instid1(VALU_DEP_2)
	v_div_scale_f64 v[6:7], null, v[4:5], v[4:5], 0x40400000
	v_div_scale_f64 v[4:5], vcc_lo, 0x40400000, v[4:5], 0x40400000
	v_rcp_f64_e32 v[8:9], v[6:7]
	v_nop
	s_delay_alu instid0(TRANS32_DEP_1) | instskip(NEXT) | instid1(VALU_DEP_1)
	v_fma_f64 v[10:11], -v[6:7], v[8:9], 1.0
	v_fmac_f64_e32 v[8:9], v[8:9], v[10:11]
	s_delay_alu instid0(VALU_DEP_1) | instskip(NEXT) | instid1(VALU_DEP_1)
	v_fma_f64 v[10:11], -v[6:7], v[8:9], 1.0
	v_fmac_f64_e32 v[8:9], v[8:9], v[10:11]
	s_delay_alu instid0(VALU_DEP_1) | instskip(NEXT) | instid1(VALU_DEP_1)
	v_mul_f64_e32 v[10:11], v[4:5], v[8:9]
	v_fma_f64 v[4:5], -v[6:7], v[10:11], v[4:5]
	s_delay_alu instid0(VALU_DEP_1) | instskip(SKIP_1) | instid1(VALU_DEP_2)
	v_div_fmas_f64 v[4:5], v[4:5], v[8:9], v[10:11]
	v_cmp_nlt_f64_e64 vcc_lo, 0x40900000, |v[0:1]|
	v_div_fixup_f64 v[4:5], v[4:5], |v[0:1]|, 0x40400000
	s_delay_alu instid0(VALU_DEP_1) | instskip(NEXT) | instid1(VALU_DEP_1)
	v_add_f64_e32 v[4:5], -2.0, v[4:5]
	v_fmaak_f64 v[6:7], s[6:7], v[4:5], 0x3c545b8aea87b950
	s_mov_b64 s[6:7], 0x3ff71547652b82fe
	s_delay_alu instid0(SALU_CYCLE_1) | instskip(SKIP_1) | instid1(VALU_DEP_2)
	v_mul_f64_e64 v[10:11], |v[0:1]|, s[6:7]
	s_mov_b64 s[6:7], 0xbfe62e42fefa39ef
	v_fmaak_f64 v[8:9], v[4:5], v[6:7], 0xbc61556db352e8e6
	s_delay_alu instid0(VALU_DEP_1) | instskip(NEXT) | instid1(VALU_DEP_3)
	v_add_f64_e32 v[8:9], 0xbc8acea3b2532277, v[8:9]
	v_rndne_f64_e32 v[10:11], v[10:11]
	s_delay_alu instid0(VALU_DEP_2) | instskip(NEXT) | instid1(VALU_DEP_2)
	v_fma_f64 v[6:7], v[4:5], v[8:9], -v[6:7]
	v_fma_f64 v[12:13], v[10:11], s[6:7], |v[0:1]|
	s_mov_b64 s[6:7], 0x3e5ade156a5dcb37
	v_cvt_i32_f64_e32 v3, v[10:11]
	s_delay_alu instid0(VALU_DEP_3) | instskip(NEXT) | instid1(VALU_DEP_3)
	v_add_f64_e32 v[6:7], 0xbc82806c9c773320, v[6:7]
	v_fmamk_f64 v[12:13], v[10:11], 0xbc7abc9e3b39803f, v[12:13]
	s_delay_alu instid0(VALU_DEP_1) | instskip(NEXT) | instid1(VALU_DEP_3)
	v_fmaak_f64 v[14:15], s[6:7], v[12:13], 0x3e928af3fca7ab0c
	v_fma_f64 v[8:9], v[4:5], v[6:7], -v[8:9]
	s_delay_alu instid0(VALU_DEP_2) | instskip(NEXT) | instid1(VALU_DEP_1)
	v_fmaak_f64 v[14:15], v[12:13], v[14:15], 0x3ec71dee623fde64
	v_fmaak_f64 v[14:15], v[12:13], v[14:15], 0x3efa01997c89e6b0
	s_delay_alu instid0(VALU_DEP_1) | instskip(NEXT) | instid1(VALU_DEP_1)
	v_fmaak_f64 v[14:15], v[12:13], v[14:15], 0x3f2a01a014761f6e
	v_fmaak_f64 v[14:15], v[12:13], v[14:15], 0x3f56c16c1852b7b0
	s_delay_alu instid0(VALU_DEP_1) | instskip(SKIP_1) | instid1(VALU_DEP_2)
	v_fmaak_f64 v[14:15], v[12:13], v[14:15], 0x3f81111111122322
	v_add_f64_e32 v[8:9], 0x3cb55915fceb588a, v[8:9]
	v_fmaak_f64 v[14:15], v[12:13], v[14:15], 0x3fa55555555502a1
	s_delay_alu instid0(VALU_DEP_1) | instskip(NEXT) | instid1(VALU_DEP_1)
	v_fmaak_f64 v[14:15], v[12:13], v[14:15], 0x3fc5555555555511
	v_fmaak_f64 v[14:15], v[12:13], v[14:15], 0x3fe000000000000b
	s_delay_alu instid0(VALU_DEP_1) | instskip(SKIP_1) | instid1(VALU_DEP_1)
	v_fma_f64 v[14:15], v[12:13], v[14:15], 1.0
	v_fma_f64 v[6:7], v[4:5], v[8:9], -v[6:7]
	v_add_f64_e32 v[6:7], 0x3cb7d68e5f04a2d1, v[6:7]
	s_delay_alu instid0(VALU_DEP_1) | instskip(NEXT) | instid1(VALU_DEP_1)
	v_fma_f64 v[8:9], v[4:5], v[6:7], -v[8:9]
	v_add_f64_e32 v[8:9], 0xbce0efcd8bc4d22a, v[8:9]
	s_delay_alu instid0(VALU_DEP_1) | instskip(NEXT) | instid1(VALU_DEP_1)
	;; [unrolled: 3-line block ×18, first 2 shown]
	v_fma_f64 v[6:7], v[4:5], v[8:9], -v[6:7]
	v_add_f64_e32 v[6:7], 0xbf83fda053fcdb4c, v[6:7]
	s_delay_alu instid0(VALU_DEP_1) | instskip(SKIP_1) | instid1(VALU_DEP_2)
	v_fma_f64 v[4:5], v[4:5], v[6:7], -v[8:9]
	v_fma_f64 v[6:7], v[12:13], v[14:15], 1.0
	v_add_f64_e32 v[4:5], 0x3fe8ea18b55b1514, v[4:5]
	s_delay_alu instid0(VALU_DEP_2) | instskip(NEXT) | instid1(VALU_DEP_2)
	v_ldexp_f64 v[6:7], v[6:7], v3
	v_add_f64_e64 v[8:9], v[4:5], -v[8:9]
	s_delay_alu instid0(VALU_DEP_2) | instskip(NEXT) | instid1(VALU_DEP_3)
	v_cndmask_b32_e32 v7, 0x7ff00000, v7, vcc_lo
	v_cndmask_b32_e32 v6, 0, v6, vcc_lo
                                        ; implicit-def: $vgpr4_vgpr5
	s_and_saveexec_b32 s6, s0
	s_delay_alu instid0(SALU_CYCLE_1)
	s_xor_b32 s0, exec_lo, s6
	s_cbranch_execz .LBB7_217
; %bb.216:
	v_cmp_gt_f64_e64 s6, 0x10000000, |v[0:1]|
	s_delay_alu instid0(VALU_DEP_1) | instskip(NEXT) | instid1(VALU_DEP_1)
	v_cndmask_b32_e64 v3, 0, 0x100, s6
	v_ldexp_f64 v[0:1], |v[0:1]|, v3
	v_cndmask_b32_e64 v3, 0, 0xffffff80, s6
	s_delay_alu instid0(VALU_DEP_2) | instskip(SKIP_1) | instid1(TRANS32_DEP_1)
	v_rsq_f64_e32 v[4:5], v[0:1]
	v_cmp_class_f64_e64 vcc_lo, v[0:1], 0x260
	v_mul_f64_e32 v[10:11], v[0:1], v[4:5]
	v_mul_f64_e32 v[4:5], 0.5, v[4:5]
	s_delay_alu instid0(VALU_DEP_1) | instskip(NEXT) | instid1(VALU_DEP_1)
	v_fma_f64 v[12:13], -v[4:5], v[10:11], 0.5
	v_fmac_f64_e32 v[10:11], v[10:11], v[12:13]
	v_fmac_f64_e32 v[4:5], v[4:5], v[12:13]
	s_delay_alu instid0(VALU_DEP_2) | instskip(NEXT) | instid1(VALU_DEP_1)
	v_fma_f64 v[12:13], -v[10:11], v[10:11], v[0:1]
	v_fmac_f64_e32 v[10:11], v[12:13], v[4:5]
	s_delay_alu instid0(VALU_DEP_1) | instskip(NEXT) | instid1(VALU_DEP_1)
	v_fma_f64 v[12:13], -v[10:11], v[10:11], v[0:1]
	v_fmac_f64_e32 v[10:11], v[12:13], v[4:5]
	v_mul_f64_e32 v[4:5], 0.5, v[8:9]
	s_delay_alu instid0(VALU_DEP_2) | instskip(NEXT) | instid1(VALU_DEP_2)
	v_ldexp_f64 v[8:9], v[10:11], v3
	v_mul_f64_e32 v[4:5], v[6:7], v[4:5]
	s_delay_alu instid0(VALU_DEP_2) | instskip(NEXT) | instid1(VALU_DEP_1)
	v_dual_cndmask_b32 v1, v9, v1 :: v_dual_cndmask_b32 v0, v8, v0
	v_div_scale_f64 v[6:7], null, v[0:1], v[0:1], v[4:5]
	s_delay_alu instid0(VALU_DEP_1) | instskip(SKIP_1) | instid1(TRANS32_DEP_1)
	v_rcp_f64_e32 v[8:9], v[6:7]
	v_nop
	v_fma_f64 v[10:11], -v[6:7], v[8:9], 1.0
	s_delay_alu instid0(VALU_DEP_1) | instskip(NEXT) | instid1(VALU_DEP_1)
	v_fmac_f64_e32 v[8:9], v[8:9], v[10:11]
	v_fma_f64 v[10:11], -v[6:7], v[8:9], 1.0
	s_delay_alu instid0(VALU_DEP_1) | instskip(SKIP_1) | instid1(VALU_DEP_1)
	v_fmac_f64_e32 v[8:9], v[8:9], v[10:11]
	v_div_scale_f64 v[10:11], vcc_lo, v[4:5], v[0:1], v[4:5]
	v_mul_f64_e32 v[12:13], v[10:11], v[8:9]
	s_delay_alu instid0(VALU_DEP_1) | instskip(NEXT) | instid1(VALU_DEP_1)
	v_fma_f64 v[6:7], -v[6:7], v[12:13], v[10:11]
	v_div_fmas_f64 v[6:7], v[6:7], v[8:9], v[12:13]
                                        ; implicit-def: $vgpr8_vgpr9
	s_delay_alu instid0(VALU_DEP_1)
	v_div_fixup_f64 v[4:5], v[6:7], v[0:1], v[4:5]
                                        ; implicit-def: $vgpr0_vgpr1
                                        ; implicit-def: $vgpr6_vgpr7
.LBB7_217:
	s_and_not1_saveexec_b32 s0, s0
	s_cbranch_execz .LBB7_219
; %bb.218:
	v_cmp_gt_f64_e64 s6, 0x10000000, |v[0:1]|
	s_delay_alu instid0(VALU_DEP_1) | instskip(NEXT) | instid1(VALU_DEP_1)
	v_cndmask_b32_e64 v3, 0, 0x100, s6
	v_ldexp_f64 v[0:1], |v[0:1]|, v3
	v_cndmask_b32_e64 v3, 0, 0xffffff80, s6
	s_delay_alu instid0(VALU_DEP_2) | instskip(SKIP_1) | instid1(TRANS32_DEP_1)
	v_rsq_f64_e32 v[4:5], v[0:1]
	v_cmp_class_f64_e64 vcc_lo, v[0:1], 0x260
	v_mul_f64_e32 v[10:11], v[0:1], v[4:5]
	v_mul_f64_e32 v[4:5], 0.5, v[4:5]
	s_delay_alu instid0(VALU_DEP_1) | instskip(NEXT) | instid1(VALU_DEP_1)
	v_fma_f64 v[12:13], -v[4:5], v[10:11], 0.5
	v_fmac_f64_e32 v[10:11], v[10:11], v[12:13]
	v_fmac_f64_e32 v[4:5], v[4:5], v[12:13]
	s_delay_alu instid0(VALU_DEP_2) | instskip(NEXT) | instid1(VALU_DEP_1)
	v_fma_f64 v[12:13], -v[10:11], v[10:11], v[0:1]
	v_fmac_f64_e32 v[10:11], v[12:13], v[4:5]
	s_delay_alu instid0(VALU_DEP_1) | instskip(NEXT) | instid1(VALU_DEP_1)
	v_fma_f64 v[12:13], -v[10:11], v[10:11], v[0:1]
	v_fmac_f64_e32 v[10:11], v[12:13], v[4:5]
	v_mul_f64_e32 v[4:5], -0.5, v[8:9]
	s_delay_alu instid0(VALU_DEP_2) | instskip(NEXT) | instid1(VALU_DEP_2)
	v_ldexp_f64 v[8:9], v[10:11], v3
	v_mul_f64_e32 v[4:5], v[6:7], v[4:5]
	s_delay_alu instid0(VALU_DEP_2) | instskip(NEXT) | instid1(VALU_DEP_1)
	v_dual_cndmask_b32 v1, v9, v1 :: v_dual_cndmask_b32 v0, v8, v0
	v_div_scale_f64 v[6:7], null, v[0:1], v[0:1], v[4:5]
	s_delay_alu instid0(VALU_DEP_1) | instskip(SKIP_1) | instid1(TRANS32_DEP_1)
	v_rcp_f64_e32 v[8:9], v[6:7]
	v_nop
	v_fma_f64 v[10:11], -v[6:7], v[8:9], 1.0
	s_delay_alu instid0(VALU_DEP_1) | instskip(NEXT) | instid1(VALU_DEP_1)
	v_fmac_f64_e32 v[8:9], v[8:9], v[10:11]
	v_fma_f64 v[10:11], -v[6:7], v[8:9], 1.0
	s_delay_alu instid0(VALU_DEP_1) | instskip(SKIP_1) | instid1(VALU_DEP_1)
	v_fmac_f64_e32 v[8:9], v[8:9], v[10:11]
	v_div_scale_f64 v[10:11], vcc_lo, v[4:5], v[0:1], v[4:5]
	v_mul_f64_e32 v[12:13], v[10:11], v[8:9]
	s_delay_alu instid0(VALU_DEP_1) | instskip(NEXT) | instid1(VALU_DEP_1)
	v_fma_f64 v[6:7], -v[6:7], v[12:13], v[10:11]
	v_div_fmas_f64 v[6:7], v[6:7], v[8:9], v[12:13]
	s_delay_alu instid0(VALU_DEP_1)
	v_div_fixup_f64 v[4:5], v[6:7], v[0:1], v[4:5]
.LBB7_219:
	s_or_b32 exec_lo, exec_lo, s0
.LBB7_220:
	s_delay_alu instid0(SALU_CYCLE_1)
	s_or_b32 exec_lo, exec_lo, s1
	global_store_b64 v2, v[4:5], s[4:5]
	s_wait_xcnt 0x0
	s_or_b32 exec_lo, exec_lo, s9
                                        ; implicit-def: $vgpr8
                                        ; implicit-def: $vgpr0
	s_and_not1_saveexec_b32 s0, s31
	s_cbranch_execz .LBB7_173
	s_branch .LBB7_8
	.section	.rodata,"a",@progbits
	.p2align	6, 0x0
	.amdhsa_kernel _ZN2at6native32elementwise_kernel_manual_unrollILi128ELi4EZNS0_22gpu_kernel_impl_nocastIZZZNS0_12_GLOBAL__N_130modified_bessel_i1_kernel_cudaERNS_18TensorIteratorBaseEENKUlvE_clEvENKUlvE_clEvEUldE_EEvS5_RKT_EUlibE_EEviT1_
		.amdhsa_group_segment_fixed_size 0
		.amdhsa_private_segment_fixed_size 0
		.amdhsa_kernarg_size 360
		.amdhsa_user_sgpr_count 2
		.amdhsa_user_sgpr_dispatch_ptr 0
		.amdhsa_user_sgpr_queue_ptr 0
		.amdhsa_user_sgpr_kernarg_segment_ptr 1
		.amdhsa_user_sgpr_dispatch_id 0
		.amdhsa_user_sgpr_kernarg_preload_length 0
		.amdhsa_user_sgpr_kernarg_preload_offset 0
		.amdhsa_user_sgpr_private_segment_size 0
		.amdhsa_wavefront_size32 1
		.amdhsa_uses_dynamic_stack 0
		.amdhsa_enable_private_segment 0
		.amdhsa_system_sgpr_workgroup_id_x 1
		.amdhsa_system_sgpr_workgroup_id_y 0
		.amdhsa_system_sgpr_workgroup_id_z 0
		.amdhsa_system_sgpr_workgroup_info 0
		.amdhsa_system_vgpr_workitem_id 0
		.amdhsa_next_free_vgpr 28
		.amdhsa_next_free_sgpr 60
		.amdhsa_named_barrier_count 0
		.amdhsa_reserve_vcc 1
		.amdhsa_float_round_mode_32 0
		.amdhsa_float_round_mode_16_64 0
		.amdhsa_float_denorm_mode_32 3
		.amdhsa_float_denorm_mode_16_64 3
		.amdhsa_fp16_overflow 0
		.amdhsa_memory_ordered 1
		.amdhsa_forward_progress 1
		.amdhsa_inst_pref_size 213
		.amdhsa_round_robin_scheduling 0
		.amdhsa_exception_fp_ieee_invalid_op 0
		.amdhsa_exception_fp_denorm_src 0
		.amdhsa_exception_fp_ieee_div_zero 0
		.amdhsa_exception_fp_ieee_overflow 0
		.amdhsa_exception_fp_ieee_underflow 0
		.amdhsa_exception_fp_ieee_inexact 0
		.amdhsa_exception_int_div_zero 0
	.end_amdhsa_kernel
	.section	.text._ZN2at6native32elementwise_kernel_manual_unrollILi128ELi4EZNS0_22gpu_kernel_impl_nocastIZZZNS0_12_GLOBAL__N_130modified_bessel_i1_kernel_cudaERNS_18TensorIteratorBaseEENKUlvE_clEvENKUlvE_clEvEUldE_EEvS5_RKT_EUlibE_EEviT1_,"axG",@progbits,_ZN2at6native32elementwise_kernel_manual_unrollILi128ELi4EZNS0_22gpu_kernel_impl_nocastIZZZNS0_12_GLOBAL__N_130modified_bessel_i1_kernel_cudaERNS_18TensorIteratorBaseEENKUlvE_clEvENKUlvE_clEvEUldE_EEvS5_RKT_EUlibE_EEviT1_,comdat
.Lfunc_end7:
	.size	_ZN2at6native32elementwise_kernel_manual_unrollILi128ELi4EZNS0_22gpu_kernel_impl_nocastIZZZNS0_12_GLOBAL__N_130modified_bessel_i1_kernel_cudaERNS_18TensorIteratorBaseEENKUlvE_clEvENKUlvE_clEvEUldE_EEvS5_RKT_EUlibE_EEviT1_, .Lfunc_end7-_ZN2at6native32elementwise_kernel_manual_unrollILi128ELi4EZNS0_22gpu_kernel_impl_nocastIZZZNS0_12_GLOBAL__N_130modified_bessel_i1_kernel_cudaERNS_18TensorIteratorBaseEENKUlvE_clEvENKUlvE_clEvEUldE_EEvS5_RKT_EUlibE_EEviT1_
                                        ; -- End function
	.set _ZN2at6native32elementwise_kernel_manual_unrollILi128ELi4EZNS0_22gpu_kernel_impl_nocastIZZZNS0_12_GLOBAL__N_130modified_bessel_i1_kernel_cudaERNS_18TensorIteratorBaseEENKUlvE_clEvENKUlvE_clEvEUldE_EEvS5_RKT_EUlibE_EEviT1_.num_vgpr, 28
	.set _ZN2at6native32elementwise_kernel_manual_unrollILi128ELi4EZNS0_22gpu_kernel_impl_nocastIZZZNS0_12_GLOBAL__N_130modified_bessel_i1_kernel_cudaERNS_18TensorIteratorBaseEENKUlvE_clEvENKUlvE_clEvEUldE_EEvS5_RKT_EUlibE_EEviT1_.num_agpr, 0
	.set _ZN2at6native32elementwise_kernel_manual_unrollILi128ELi4EZNS0_22gpu_kernel_impl_nocastIZZZNS0_12_GLOBAL__N_130modified_bessel_i1_kernel_cudaERNS_18TensorIteratorBaseEENKUlvE_clEvENKUlvE_clEvEUldE_EEvS5_RKT_EUlibE_EEviT1_.numbered_sgpr, 60
	.set _ZN2at6native32elementwise_kernel_manual_unrollILi128ELi4EZNS0_22gpu_kernel_impl_nocastIZZZNS0_12_GLOBAL__N_130modified_bessel_i1_kernel_cudaERNS_18TensorIteratorBaseEENKUlvE_clEvENKUlvE_clEvEUldE_EEvS5_RKT_EUlibE_EEviT1_.num_named_barrier, 0
	.set _ZN2at6native32elementwise_kernel_manual_unrollILi128ELi4EZNS0_22gpu_kernel_impl_nocastIZZZNS0_12_GLOBAL__N_130modified_bessel_i1_kernel_cudaERNS_18TensorIteratorBaseEENKUlvE_clEvENKUlvE_clEvEUldE_EEvS5_RKT_EUlibE_EEviT1_.private_seg_size, 0
	.set _ZN2at6native32elementwise_kernel_manual_unrollILi128ELi4EZNS0_22gpu_kernel_impl_nocastIZZZNS0_12_GLOBAL__N_130modified_bessel_i1_kernel_cudaERNS_18TensorIteratorBaseEENKUlvE_clEvENKUlvE_clEvEUldE_EEvS5_RKT_EUlibE_EEviT1_.uses_vcc, 1
	.set _ZN2at6native32elementwise_kernel_manual_unrollILi128ELi4EZNS0_22gpu_kernel_impl_nocastIZZZNS0_12_GLOBAL__N_130modified_bessel_i1_kernel_cudaERNS_18TensorIteratorBaseEENKUlvE_clEvENKUlvE_clEvEUldE_EEvS5_RKT_EUlibE_EEviT1_.uses_flat_scratch, 0
	.set _ZN2at6native32elementwise_kernel_manual_unrollILi128ELi4EZNS0_22gpu_kernel_impl_nocastIZZZNS0_12_GLOBAL__N_130modified_bessel_i1_kernel_cudaERNS_18TensorIteratorBaseEENKUlvE_clEvENKUlvE_clEvEUldE_EEvS5_RKT_EUlibE_EEviT1_.has_dyn_sized_stack, 0
	.set _ZN2at6native32elementwise_kernel_manual_unrollILi128ELi4EZNS0_22gpu_kernel_impl_nocastIZZZNS0_12_GLOBAL__N_130modified_bessel_i1_kernel_cudaERNS_18TensorIteratorBaseEENKUlvE_clEvENKUlvE_clEvEUldE_EEvS5_RKT_EUlibE_EEviT1_.has_recursion, 0
	.set _ZN2at6native32elementwise_kernel_manual_unrollILi128ELi4EZNS0_22gpu_kernel_impl_nocastIZZZNS0_12_GLOBAL__N_130modified_bessel_i1_kernel_cudaERNS_18TensorIteratorBaseEENKUlvE_clEvENKUlvE_clEvEUldE_EEvS5_RKT_EUlibE_EEviT1_.has_indirect_call, 0
	.section	.AMDGPU.csdata,"",@progbits
; Kernel info:
; codeLenInByte = 27228
; TotalNumSgprs: 62
; NumVgprs: 28
; ScratchSize: 0
; MemoryBound: 0
; FloatMode: 240
; IeeeMode: 1
; LDSByteSize: 0 bytes/workgroup (compile time only)
; SGPRBlocks: 0
; VGPRBlocks: 1
; NumSGPRsForWavesPerEU: 62
; NumVGPRsForWavesPerEU: 28
; NamedBarCnt: 0
; Occupancy: 16
; WaveLimiterHint : 1
; COMPUTE_PGM_RSRC2:SCRATCH_EN: 0
; COMPUTE_PGM_RSRC2:USER_SGPR: 2
; COMPUTE_PGM_RSRC2:TRAP_HANDLER: 0
; COMPUTE_PGM_RSRC2:TGID_X_EN: 1
; COMPUTE_PGM_RSRC2:TGID_Y_EN: 0
; COMPUTE_PGM_RSRC2:TGID_Z_EN: 0
; COMPUTE_PGM_RSRC2:TIDIG_COMP_CNT: 0
	.section	.text._ZN2at6native32elementwise_kernel_manual_unrollILi128ELi4EZNS0_15gpu_kernel_implIZZZNS0_12_GLOBAL__N_130modified_bessel_i1_kernel_cudaERNS_18TensorIteratorBaseEENKUlvE_clEvENKUlvE_clEvEUldE_EEvS5_RKT_EUlibE_EEviT1_,"axG",@progbits,_ZN2at6native32elementwise_kernel_manual_unrollILi128ELi4EZNS0_15gpu_kernel_implIZZZNS0_12_GLOBAL__N_130modified_bessel_i1_kernel_cudaERNS_18TensorIteratorBaseEENKUlvE_clEvENKUlvE_clEvEUldE_EEvS5_RKT_EUlibE_EEviT1_,comdat
	.globl	_ZN2at6native32elementwise_kernel_manual_unrollILi128ELi4EZNS0_15gpu_kernel_implIZZZNS0_12_GLOBAL__N_130modified_bessel_i1_kernel_cudaERNS_18TensorIteratorBaseEENKUlvE_clEvENKUlvE_clEvEUldE_EEvS5_RKT_EUlibE_EEviT1_ ; -- Begin function _ZN2at6native32elementwise_kernel_manual_unrollILi128ELi4EZNS0_15gpu_kernel_implIZZZNS0_12_GLOBAL__N_130modified_bessel_i1_kernel_cudaERNS_18TensorIteratorBaseEENKUlvE_clEvENKUlvE_clEvEUldE_EEvS5_RKT_EUlibE_EEviT1_
	.p2align	8
	.type	_ZN2at6native32elementwise_kernel_manual_unrollILi128ELi4EZNS0_15gpu_kernel_implIZZZNS0_12_GLOBAL__N_130modified_bessel_i1_kernel_cudaERNS_18TensorIteratorBaseEENKUlvE_clEvENKUlvE_clEvEUldE_EEvS5_RKT_EUlibE_EEviT1_,@function
_ZN2at6native32elementwise_kernel_manual_unrollILi128ELi4EZNS0_15gpu_kernel_implIZZZNS0_12_GLOBAL__N_130modified_bessel_i1_kernel_cudaERNS_18TensorIteratorBaseEENKUlvE_clEvENKUlvE_clEvEUldE_EEvS5_RKT_EUlibE_EEviT1_: ; @_ZN2at6native32elementwise_kernel_manual_unrollILi128ELi4EZNS0_15gpu_kernel_implIZZZNS0_12_GLOBAL__N_130modified_bessel_i1_kernel_cudaERNS_18TensorIteratorBaseEENKUlvE_clEvENKUlvE_clEvEUldE_EEvS5_RKT_EUlibE_EEviT1_
; %bb.0:
	v_mov_b32_e32 v1, 0
	s_bfe_u32 s9, ttmp6, 0x4000c
	s_clause 0x1
	s_load_b32 s12, s[0:1], 0x0
	s_load_b128 s[4:7], s[0:1], 0x8
	s_add_co_i32 s9, s9, 1
	s_and_b32 s10, ttmp6, 15
	global_load_u16 v1, v1, s[0:1] offset:33
	s_load_b64 s[2:3], s[0:1], 0x18
	s_wait_xcnt 0x0
	s_mul_i32 s1, ttmp9, s9
	s_getreg_b32 s11, hwreg(HW_REG_IB_STS2, 6, 4)
	s_add_co_i32 s10, s10, s1
	s_mov_b32 s1, 0
	s_wait_loadcnt 0x0
	v_readfirstlane_b32 s8, v1
	s_and_b32 s0, 0xffff, s8
	s_delay_alu instid0(SALU_CYCLE_1) | instskip(SKIP_3) | instid1(SALU_CYCLE_1)
	s_lshr_b32 s9, s0, 8
	s_cmp_eq_u32 s11, 0
	s_mov_b32 s11, 0
	s_cselect_b32 s0, ttmp9, s10
	v_lshl_or_b32 v14, s0, 9, v0
	s_mov_b32 s0, exec_lo
	s_delay_alu instid0(VALU_DEP_1) | instskip(SKIP_1) | instid1(VALU_DEP_1)
	v_or_b32_e32 v0, 0x180, v14
	s_wait_kmcnt 0x0
	v_cmpx_le_i32_e64 s12, v0
	s_xor_b32 s10, exec_lo, s0
	s_cbranch_execz .LBB8_1079
; %bb.1:
	s_mov_b32 s17, -1
	s_mov_b32 s15, 0
	s_mov_b32 s13, 0
	s_mov_b32 s14, exec_lo
	v_cmpx_gt_i32_e64 s12, v14
	s_cbranch_execz .LBB8_264
; %bb.2:
	v_mul_lo_u32 v0, v14, s3
	s_and_b32 s0, 0xffff, s9
	s_delay_alu instid0(SALU_CYCLE_1) | instskip(NEXT) | instid1(VALU_DEP_1)
	s_cmp_lt_i32 s0, 11
	v_ashrrev_i32_e32 v1, 31, v0
	s_delay_alu instid0(VALU_DEP_1)
	v_add_nc_u64_e32 v[0:1], s[6:7], v[0:1]
	s_cbranch_scc1 .LBB8_9
; %bb.3:
	s_cmp_gt_i32 s0, 25
	s_cbranch_scc0 .LBB8_30
; %bb.4:
	s_cmp_gt_i32 s0, 28
	s_cbranch_scc0 .LBB8_33
	;; [unrolled: 3-line block ×4, first 2 shown]
; %bb.7:
	s_cmp_eq_u32 s0, 46
	s_mov_b32 s16, 0
	s_cbranch_scc0 .LBB8_39
; %bb.8:
	global_load_b32 v2, v[0:1], off
	s_mov_b32 s11, -1
	s_wait_loadcnt 0x0
	v_lshlrev_b32_e32 v2, 16, v2
	s_delay_alu instid0(VALU_DEP_1)
	v_cvt_f64_f32_e32 v[2:3], v2
	s_branch .LBB8_41
.LBB8_9:
                                        ; implicit-def: $vgpr2_vgpr3
	s_cbranch_execnz .LBB8_214
.LBB8_10:
	s_and_not1_b32 vcc_lo, exec_lo, s11
	s_cbranch_vccnz .LBB8_261
.LBB8_11:
	s_wait_loadcnt 0x0
	s_delay_alu instid0(VALU_DEP_1) | instskip(SKIP_1) | instid1(SALU_CYCLE_1)
	v_cmp_ge_f64_e64 s0, 0x40200000, |v[2:3]|
                                        ; implicit-def: $vgpr0_vgpr1
	s_and_saveexec_b32 s11, s0
	s_xor_b32 s0, exec_lo, s11
	s_cbranch_execz .LBB8_17
; %bb.12:
	v_fma_f64 v[0:1], |v[2:3]|, 0.5, -2.0
	s_mov_b64 s[16:17], 0x3c499f2a0c3c4014
	s_mov_b32 s11, exec_lo
	s_delay_alu instid0(VALU_DEP_1) | instskip(SKIP_1) | instid1(SALU_CYCLE_1)
	v_fmaak_f64 v[4:5], s[16:17], v[0:1], 0xbc7857d0c38a0576
	s_mov_b64 s[16:17], 0x3ff71547652b82fe
	v_mul_f64_e64 v[8:9], |v[2:3]|, s[16:17]
	s_mov_b64 s[16:17], 0xbfe62e42fefa39ef
	s_delay_alu instid0(VALU_DEP_2) | instskip(NEXT) | instid1(VALU_DEP_1)
	v_fmaak_f64 v[6:7], v[0:1], v[4:5], 0xbc499f2a0c3c4014
	v_add_f64_e32 v[6:7], 0x3ca663e3e593bfac, v[6:7]
	s_delay_alu instid0(VALU_DEP_3) | instskip(NEXT) | instid1(VALU_DEP_2)
	v_rndne_f64_e32 v[8:9], v[8:9]
	v_fma_f64 v[4:5], v[0:1], v[6:7], -v[4:5]
	s_delay_alu instid0(VALU_DEP_2) | instskip(SKIP_1) | instid1(VALU_DEP_2)
	v_fma_f64 v[10:11], v[8:9], s[16:17], |v[2:3]|
	s_mov_b64 s[16:17], 0x3e5ade156a5dcb37
	v_add_f64_e32 v[4:5], 0xbcd3eaaa7e0d1573, v[4:5]
	s_delay_alu instid0(VALU_DEP_1) | instskip(NEXT) | instid1(VALU_DEP_1)
	v_fma_f64 v[6:7], v[0:1], v[4:5], -v[6:7]
	v_add_f64_e32 v[6:7], 0x3d011d7f0615290c, v[6:7]
	s_delay_alu instid0(VALU_DEP_1) | instskip(NEXT) | instid1(VALU_DEP_1)
	v_fma_f64 v[4:5], v[0:1], v[6:7], -v[4:5]
	;; [unrolled: 3-line block ×24, first 2 shown]
	v_add_f64_e32 v[4:5], 0xbfc694d10469192e, v[4:5]
	s_delay_alu instid0(VALU_DEP_1) | instskip(SKIP_2) | instid1(VALU_DEP_2)
	v_fma_f64 v[0:1], v[0:1], v[4:5], -v[6:7]
	v_fmamk_f64 v[4:5], v[8:9], 0xbc7abc9e3b39803f, v[10:11]
	v_cvt_i32_f64_e32 v8, v[8:9]
	v_fmaak_f64 v[10:11], s[16:17], v[4:5], 0x3e928af3fca7ab0c
	s_delay_alu instid0(VALU_DEP_1) | instskip(NEXT) | instid1(VALU_DEP_1)
	v_fmaak_f64 v[10:11], v[4:5], v[10:11], 0x3ec71dee623fde64
	v_fmaak_f64 v[10:11], v[4:5], v[10:11], 0x3efa01997c89e6b0
	s_delay_alu instid0(VALU_DEP_1) | instskip(SKIP_1) | instid1(VALU_DEP_2)
	v_fmaak_f64 v[10:11], v[4:5], v[10:11], 0x3f2a01a014761f6e
	v_add_f64_e32 v[0:1], 0x3fd02a63724a7ffa, v[0:1]
	v_fmaak_f64 v[10:11], v[4:5], v[10:11], 0x3f56c16c1852b7b0
	s_delay_alu instid0(VALU_DEP_2) | instskip(NEXT) | instid1(VALU_DEP_2)
	v_add_f64_e64 v[0:1], v[0:1], -v[6:7]
	v_fmaak_f64 v[6:7], v[4:5], v[10:11], 0x3f81111111122322
	s_delay_alu instid0(VALU_DEP_1) | instskip(NEXT) | instid1(VALU_DEP_1)
	v_fmaak_f64 v[6:7], v[4:5], v[6:7], 0x3fa55555555502a1
	v_fmaak_f64 v[6:7], v[4:5], v[6:7], 0x3fc5555555555511
	s_delay_alu instid0(VALU_DEP_1) | instskip(NEXT) | instid1(VALU_DEP_1)
	v_fmaak_f64 v[6:7], v[4:5], v[6:7], 0x3fe000000000000b
	v_fma_f64 v[6:7], v[4:5], v[6:7], 1.0
	v_mul_f64_e32 v[0:1], 0.5, v[0:1]
	s_delay_alu instid0(VALU_DEP_2) | instskip(NEXT) | instid1(VALU_DEP_2)
	v_fma_f64 v[6:7], v[4:5], v[6:7], 1.0
	v_mul_f64_e64 v[4:5], |v[2:3]|, v[0:1]
                                        ; implicit-def: $vgpr0_vgpr1
	v_cmpx_ngt_f64_e32 0, v[2:3]
	s_xor_b32 s11, exec_lo, s11
	s_cbranch_execz .LBB8_14
; %bb.13:
	s_delay_alu instid0(VALU_DEP_3) | instskip(SKIP_1) | instid1(VALU_DEP_2)
	v_ldexp_f64 v[0:1], v[6:7], v8
	v_cmp_nlt_f64_e64 vcc_lo, 0x40900000, |v[2:3]|
                                        ; implicit-def: $vgpr6_vgpr7
                                        ; implicit-def: $vgpr8
                                        ; implicit-def: $vgpr2_vgpr3
	v_cndmask_b32_e32 v1, 0x7ff00000, v1, vcc_lo
	s_delay_alu instid0(VALU_DEP_3) | instskip(NEXT) | instid1(VALU_DEP_1)
	v_cndmask_b32_e32 v0, 0, v0, vcc_lo
	v_mul_f64_e32 v[0:1], v[0:1], v[4:5]
                                        ; implicit-def: $vgpr4_vgpr5
.LBB8_14:
	s_and_not1_saveexec_b32 s11, s11
	s_cbranch_execz .LBB8_16
; %bb.15:
	s_delay_alu instid0(VALU_DEP_3) | instskip(SKIP_1) | instid1(VALU_DEP_2)
	v_ldexp_f64 v[0:1], -v[6:7], v8
	v_cmp_nlt_f64_e64 vcc_lo, 0x40900000, |v[2:3]|
	v_cndmask_b32_e32 v1, 0xfff00000, v1, vcc_lo
	s_delay_alu instid0(VALU_DEP_3) | instskip(NEXT) | instid1(VALU_DEP_1)
	v_cndmask_b32_e32 v0, 0, v0, vcc_lo
	v_mul_f64_e32 v[0:1], v[0:1], v[4:5]
.LBB8_16:
	s_or_b32 exec_lo, exec_lo, s11
                                        ; implicit-def: $vgpr2_vgpr3
.LBB8_17:
	s_and_not1_saveexec_b32 s11, s0
	s_cbranch_execz .LBB8_23
; %bb.18:
	v_and_b32_e32 v1, 0x7fffffff, v3
	v_mov_b32_e32 v0, v2
	s_mov_b64 s[16:17], 0x3c61556db352e8e6
	v_cmp_ngt_f64_e64 s0, 0, v[2:3]
	s_delay_alu instid0(VALU_DEP_2) | instskip(SKIP_1) | instid1(VALU_DEP_2)
	v_div_scale_f64 v[4:5], null, v[0:1], v[0:1], 0x40400000
	v_div_scale_f64 v[0:1], vcc_lo, 0x40400000, v[0:1], 0x40400000
	v_rcp_f64_e32 v[6:7], v[4:5]
	v_nop
	s_delay_alu instid0(TRANS32_DEP_1) | instskip(NEXT) | instid1(VALU_DEP_1)
	v_fma_f64 v[8:9], -v[4:5], v[6:7], 1.0
	v_fmac_f64_e32 v[6:7], v[6:7], v[8:9]
	s_delay_alu instid0(VALU_DEP_1) | instskip(NEXT) | instid1(VALU_DEP_1)
	v_fma_f64 v[8:9], -v[4:5], v[6:7], 1.0
	v_fmac_f64_e32 v[6:7], v[6:7], v[8:9]
	s_delay_alu instid0(VALU_DEP_1) | instskip(NEXT) | instid1(VALU_DEP_1)
	v_mul_f64_e32 v[8:9], v[0:1], v[6:7]
	v_fma_f64 v[0:1], -v[4:5], v[8:9], v[0:1]
	s_delay_alu instid0(VALU_DEP_1) | instskip(SKIP_1) | instid1(VALU_DEP_2)
	v_div_fmas_f64 v[0:1], v[0:1], v[6:7], v[8:9]
	v_cmp_nlt_f64_e64 vcc_lo, 0x40900000, |v[2:3]|
	v_div_fixup_f64 v[0:1], v[0:1], |v[2:3]|, 0x40400000
	s_delay_alu instid0(VALU_DEP_1) | instskip(NEXT) | instid1(VALU_DEP_1)
	v_add_f64_e32 v[0:1], -2.0, v[0:1]
	v_fmaak_f64 v[4:5], s[16:17], v[0:1], 0x3c545b8aea87b950
	s_mov_b64 s[16:17], 0x3ff71547652b82fe
	s_delay_alu instid0(SALU_CYCLE_1) | instskip(SKIP_1) | instid1(VALU_DEP_2)
	v_mul_f64_e64 v[8:9], |v[2:3]|, s[16:17]
	s_mov_b64 s[16:17], 0xbfe62e42fefa39ef
	v_fmaak_f64 v[6:7], v[0:1], v[4:5], 0xbc61556db352e8e6
	s_delay_alu instid0(VALU_DEP_1) | instskip(NEXT) | instid1(VALU_DEP_3)
	v_add_f64_e32 v[6:7], 0xbc8acea3b2532277, v[6:7]
	v_rndne_f64_e32 v[8:9], v[8:9]
	s_delay_alu instid0(VALU_DEP_2) | instskip(NEXT) | instid1(VALU_DEP_2)
	v_fma_f64 v[4:5], v[0:1], v[6:7], -v[4:5]
	v_fma_f64 v[10:11], v[8:9], s[16:17], |v[2:3]|
	s_mov_b64 s[16:17], 0x3e5ade156a5dcb37
	s_delay_alu instid0(VALU_DEP_2) | instskip(NEXT) | instid1(VALU_DEP_2)
	v_add_f64_e32 v[4:5], 0xbc82806c9c773320, v[4:5]
	v_fmamk_f64 v[10:11], v[8:9], 0xbc7abc9e3b39803f, v[10:11]
	v_cvt_i32_f64_e32 v8, v[8:9]
	s_delay_alu instid0(VALU_DEP_2) | instskip(NEXT) | instid1(VALU_DEP_4)
	v_fmaak_f64 v[12:13], s[16:17], v[10:11], 0x3e928af3fca7ab0c
	v_fma_f64 v[6:7], v[0:1], v[4:5], -v[6:7]
	s_delay_alu instid0(VALU_DEP_2) | instskip(NEXT) | instid1(VALU_DEP_1)
	v_fmaak_f64 v[12:13], v[10:11], v[12:13], 0x3ec71dee623fde64
	v_fmaak_f64 v[12:13], v[10:11], v[12:13], 0x3efa01997c89e6b0
	s_delay_alu instid0(VALU_DEP_1) | instskip(NEXT) | instid1(VALU_DEP_1)
	v_fmaak_f64 v[12:13], v[10:11], v[12:13], 0x3f2a01a014761f6e
	v_fmaak_f64 v[12:13], v[10:11], v[12:13], 0x3f56c16c1852b7b0
	s_delay_alu instid0(VALU_DEP_1) | instskip(SKIP_1) | instid1(VALU_DEP_2)
	v_fmaak_f64 v[12:13], v[10:11], v[12:13], 0x3f81111111122322
	v_add_f64_e32 v[6:7], 0x3cb55915fceb588a, v[6:7]
	v_fmaak_f64 v[12:13], v[10:11], v[12:13], 0x3fa55555555502a1
	s_delay_alu instid0(VALU_DEP_1) | instskip(NEXT) | instid1(VALU_DEP_1)
	v_fmaak_f64 v[12:13], v[10:11], v[12:13], 0x3fc5555555555511
	v_fmaak_f64 v[12:13], v[10:11], v[12:13], 0x3fe000000000000b
	s_delay_alu instid0(VALU_DEP_1) | instskip(SKIP_1) | instid1(VALU_DEP_1)
	v_fma_f64 v[12:13], v[10:11], v[12:13], 1.0
	v_fma_f64 v[4:5], v[0:1], v[6:7], -v[4:5]
	v_add_f64_e32 v[4:5], 0x3cb7d68e5f04a2d1, v[4:5]
	s_delay_alu instid0(VALU_DEP_1) | instskip(NEXT) | instid1(VALU_DEP_1)
	v_fma_f64 v[6:7], v[0:1], v[4:5], -v[6:7]
	v_add_f64_e32 v[6:7], 0xbce0efcd8bc4d22a, v[6:7]
	s_delay_alu instid0(VALU_DEP_1) | instskip(NEXT) | instid1(VALU_DEP_1)
	;; [unrolled: 3-line block ×18, first 2 shown]
	v_fma_f64 v[4:5], v[0:1], v[6:7], -v[4:5]
	v_add_f64_e32 v[4:5], 0xbf83fda053fcdb4c, v[4:5]
	s_delay_alu instid0(VALU_DEP_1) | instskip(SKIP_1) | instid1(VALU_DEP_2)
	v_fma_f64 v[0:1], v[0:1], v[4:5], -v[6:7]
	v_fma_f64 v[4:5], v[10:11], v[12:13], 1.0
	v_add_f64_e32 v[0:1], 0x3fe8ea18b55b1514, v[0:1]
	s_delay_alu instid0(VALU_DEP_2) | instskip(NEXT) | instid1(VALU_DEP_2)
	v_ldexp_f64 v[4:5], v[4:5], v8
	v_add_f64_e64 v[6:7], v[0:1], -v[6:7]
	s_delay_alu instid0(VALU_DEP_2) | instskip(NEXT) | instid1(VALU_DEP_3)
	v_cndmask_b32_e32 v5, 0x7ff00000, v5, vcc_lo
	v_cndmask_b32_e32 v4, 0, v4, vcc_lo
                                        ; implicit-def: $vgpr0_vgpr1
	s_and_saveexec_b32 s16, s0
	s_delay_alu instid0(SALU_CYCLE_1)
	s_xor_b32 s0, exec_lo, s16
	s_cbranch_execz .LBB8_20
; %bb.19:
	v_cmp_gt_f64_e64 s16, 0x10000000, |v[2:3]|
	s_delay_alu instid0(VALU_DEP_1) | instskip(NEXT) | instid1(VALU_DEP_1)
	v_cndmask_b32_e64 v0, 0, 0x100, s16
	v_ldexp_f64 v[0:1], |v[2:3]|, v0
	s_delay_alu instid0(VALU_DEP_1) | instskip(SKIP_1) | instid1(TRANS32_DEP_1)
	v_rsq_f64_e32 v[2:3], v[0:1]
	v_cmp_class_f64_e64 vcc_lo, v[0:1], 0x260
	v_mul_f64_e32 v[8:9], v[0:1], v[2:3]
	v_mul_f64_e32 v[2:3], 0.5, v[2:3]
	s_delay_alu instid0(VALU_DEP_1) | instskip(NEXT) | instid1(VALU_DEP_1)
	v_fma_f64 v[10:11], -v[2:3], v[8:9], 0.5
	v_fmac_f64_e32 v[8:9], v[8:9], v[10:11]
	v_fmac_f64_e32 v[2:3], v[2:3], v[10:11]
	s_delay_alu instid0(VALU_DEP_2) | instskip(NEXT) | instid1(VALU_DEP_1)
	v_fma_f64 v[10:11], -v[8:9], v[8:9], v[0:1]
	v_fmac_f64_e32 v[8:9], v[10:11], v[2:3]
	s_delay_alu instid0(VALU_DEP_1) | instskip(NEXT) | instid1(VALU_DEP_1)
	v_fma_f64 v[10:11], -v[8:9], v[8:9], v[0:1]
	v_fmac_f64_e32 v[8:9], v[10:11], v[2:3]
	v_mul_f64_e32 v[2:3], 0.5, v[6:7]
	v_cndmask_b32_e64 v6, 0, 0xffffff80, s16
	s_delay_alu instid0(VALU_DEP_1) | instskip(NEXT) | instid1(VALU_DEP_1)
	v_ldexp_f64 v[6:7], v[8:9], v6
	v_dual_mul_f64 v[2:3], v[4:5], v[2:3] :: v_dual_cndmask_b32 v1, v7, v1, vcc_lo
	s_delay_alu instid0(VALU_DEP_2) | instskip(NEXT) | instid1(VALU_DEP_1)
	v_cndmask_b32_e32 v0, v6, v0, vcc_lo
	v_div_scale_f64 v[4:5], null, v[0:1], v[0:1], v[2:3]
	s_delay_alu instid0(VALU_DEP_1) | instskip(SKIP_1) | instid1(TRANS32_DEP_1)
	v_rcp_f64_e32 v[6:7], v[4:5]
	v_nop
	v_fma_f64 v[8:9], -v[4:5], v[6:7], 1.0
	s_delay_alu instid0(VALU_DEP_1) | instskip(NEXT) | instid1(VALU_DEP_1)
	v_fmac_f64_e32 v[6:7], v[6:7], v[8:9]
	v_fma_f64 v[8:9], -v[4:5], v[6:7], 1.0
	s_delay_alu instid0(VALU_DEP_1) | instskip(SKIP_1) | instid1(VALU_DEP_1)
	v_fmac_f64_e32 v[6:7], v[6:7], v[8:9]
	v_div_scale_f64 v[8:9], vcc_lo, v[2:3], v[0:1], v[2:3]
	v_mul_f64_e32 v[10:11], v[8:9], v[6:7]
	s_delay_alu instid0(VALU_DEP_1) | instskip(NEXT) | instid1(VALU_DEP_1)
	v_fma_f64 v[4:5], -v[4:5], v[10:11], v[8:9]
	v_div_fmas_f64 v[4:5], v[4:5], v[6:7], v[10:11]
                                        ; implicit-def: $vgpr6_vgpr7
	s_delay_alu instid0(VALU_DEP_1)
	v_div_fixup_f64 v[0:1], v[4:5], v[0:1], v[2:3]
                                        ; implicit-def: $vgpr2_vgpr3
                                        ; implicit-def: $vgpr4_vgpr5
.LBB8_20:
	s_and_not1_saveexec_b32 s0, s0
	s_cbranch_execz .LBB8_22
; %bb.21:
	v_cmp_gt_f64_e64 s16, 0x10000000, |v[2:3]|
	s_delay_alu instid0(VALU_DEP_1) | instskip(NEXT) | instid1(VALU_DEP_1)
	v_cndmask_b32_e64 v0, 0, 0x100, s16
	v_ldexp_f64 v[0:1], |v[2:3]|, v0
	s_delay_alu instid0(VALU_DEP_1) | instskip(SKIP_1) | instid1(TRANS32_DEP_1)
	v_rsq_f64_e32 v[2:3], v[0:1]
	v_cmp_class_f64_e64 vcc_lo, v[0:1], 0x260
	v_mul_f64_e32 v[8:9], v[0:1], v[2:3]
	v_mul_f64_e32 v[2:3], 0.5, v[2:3]
	s_delay_alu instid0(VALU_DEP_1) | instskip(NEXT) | instid1(VALU_DEP_1)
	v_fma_f64 v[10:11], -v[2:3], v[8:9], 0.5
	v_fmac_f64_e32 v[8:9], v[8:9], v[10:11]
	v_fmac_f64_e32 v[2:3], v[2:3], v[10:11]
	s_delay_alu instid0(VALU_DEP_2) | instskip(NEXT) | instid1(VALU_DEP_1)
	v_fma_f64 v[10:11], -v[8:9], v[8:9], v[0:1]
	v_fmac_f64_e32 v[8:9], v[10:11], v[2:3]
	s_delay_alu instid0(VALU_DEP_1) | instskip(NEXT) | instid1(VALU_DEP_1)
	v_fma_f64 v[10:11], -v[8:9], v[8:9], v[0:1]
	v_fmac_f64_e32 v[8:9], v[10:11], v[2:3]
	v_mul_f64_e32 v[2:3], -0.5, v[6:7]
	v_cndmask_b32_e64 v6, 0, 0xffffff80, s16
	s_delay_alu instid0(VALU_DEP_1) | instskip(NEXT) | instid1(VALU_DEP_1)
	v_ldexp_f64 v[6:7], v[8:9], v6
	v_dual_mul_f64 v[2:3], v[4:5], v[2:3] :: v_dual_cndmask_b32 v1, v7, v1, vcc_lo
	s_delay_alu instid0(VALU_DEP_2) | instskip(NEXT) | instid1(VALU_DEP_1)
	v_cndmask_b32_e32 v0, v6, v0, vcc_lo
	v_div_scale_f64 v[4:5], null, v[0:1], v[0:1], v[2:3]
	s_delay_alu instid0(VALU_DEP_1) | instskip(SKIP_1) | instid1(TRANS32_DEP_1)
	v_rcp_f64_e32 v[6:7], v[4:5]
	v_nop
	v_fma_f64 v[8:9], -v[4:5], v[6:7], 1.0
	s_delay_alu instid0(VALU_DEP_1) | instskip(NEXT) | instid1(VALU_DEP_1)
	v_fmac_f64_e32 v[6:7], v[6:7], v[8:9]
	v_fma_f64 v[8:9], -v[4:5], v[6:7], 1.0
	s_delay_alu instid0(VALU_DEP_1) | instskip(SKIP_1) | instid1(VALU_DEP_1)
	v_fmac_f64_e32 v[6:7], v[6:7], v[8:9]
	v_div_scale_f64 v[8:9], vcc_lo, v[2:3], v[0:1], v[2:3]
	v_mul_f64_e32 v[10:11], v[8:9], v[6:7]
	s_delay_alu instid0(VALU_DEP_1) | instskip(NEXT) | instid1(VALU_DEP_1)
	v_fma_f64 v[4:5], -v[4:5], v[10:11], v[8:9]
	v_div_fmas_f64 v[4:5], v[4:5], v[6:7], v[10:11]
	s_delay_alu instid0(VALU_DEP_1)
	v_div_fixup_f64 v[0:1], v[4:5], v[0:1], v[2:3]
.LBB8_22:
	s_or_b32 exec_lo, exec_lo, s0
.LBB8_23:
	s_delay_alu instid0(SALU_CYCLE_1) | instskip(SKIP_2) | instid1(SALU_CYCLE_1)
	s_or_b32 exec_lo, exec_lo, s11
	v_mul_lo_u32 v2, v14, s2
	s_and_b32 s11, s8, 0xff
	s_cmp_lt_i32 s11, 11
	s_delay_alu instid0(VALU_DEP_1) | instskip(NEXT) | instid1(VALU_DEP_1)
	v_ashrrev_i32_e32 v3, 31, v2
	v_add_nc_u64_e32 v[4:5], s[4:5], v[2:3]
	s_cbranch_scc1 .LBB8_31
; %bb.24:
	s_and_b32 s16, 0xffff, s11
	s_delay_alu instid0(SALU_CYCLE_1)
	s_cmp_gt_i32 s16, 25
	s_cbranch_scc0 .LBB8_34
; %bb.25:
	s_cmp_gt_i32 s16, 28
	s_cbranch_scc0 .LBB8_36
; %bb.26:
	;; [unrolled: 3-line block ×4, first 2 shown]
	s_mov_b32 s18, 0
	s_mov_b32 s0, -1
	s_cmp_eq_u32 s16, 46
	s_mov_b32 s17, 0
	s_cbranch_scc0 .LBB8_45
; %bb.29:
	s_delay_alu instid0(VALU_DEP_4) | instskip(SKIP_2) | instid1(VALU_DEP_1)
	v_cvt_f32_f64_e32 v2, v[0:1]
	s_mov_b32 s17, -1
	s_mov_b32 s0, 0
	v_bfe_u32 v3, v2, 16, 1
	v_cmp_o_f32_e32 vcc_lo, v2, v2
	s_delay_alu instid0(VALU_DEP_2) | instskip(NEXT) | instid1(VALU_DEP_1)
	v_add3_u32 v3, v2, v3, 0x7fff
	v_lshrrev_b32_e32 v3, 16, v3
	s_delay_alu instid0(VALU_DEP_1)
	v_cndmask_b32_e32 v2, 0x7fc0, v3, vcc_lo
	global_store_b32 v[4:5], v2, off
	s_branch .LBB8_45
.LBB8_30:
                                        ; implicit-def: $vgpr2_vgpr3
	s_cbranch_execnz .LBB8_179
	s_branch .LBB8_213
.LBB8_31:
	s_mov_b32 s0, 0
	s_mov_b32 s17, 0
	s_cbranch_execnz .LBB8_114
.LBB8_32:
	s_and_not1_b32 vcc_lo, exec_lo, s17
	s_cbranch_vccnz .LBB8_262
	s_branch .LBB8_152
.LBB8_33:
	s_mov_b32 s16, -1
                                        ; implicit-def: $vgpr2_vgpr3
	s_branch .LBB8_160
.LBB8_34:
	s_mov_b32 s18, -1
	s_mov_b32 s0, 0
	s_mov_b32 s17, 0
	s_branch .LBB8_72
.LBB8_35:
	s_mov_b32 s16, -1
                                        ; implicit-def: $vgpr2_vgpr3
	s_branch .LBB8_155
.LBB8_36:
	s_mov_b32 s18, -1
	s_mov_b32 s0, 0
	s_mov_b32 s17, 0
	s_branch .LBB8_55
.LBB8_37:
	s_mov_b32 s16, -1
	s_branch .LBB8_40
.LBB8_38:
	s_mov_b32 s18, -1
	s_mov_b32 s0, 0
	s_mov_b32 s17, 0
	s_branch .LBB8_51
.LBB8_39:
	s_mov_b32 s13, -1
.LBB8_40:
                                        ; implicit-def: $vgpr2_vgpr3
.LBB8_41:
	s_and_b32 vcc_lo, exec_lo, s16
	s_cbranch_vccz .LBB8_154
; %bb.42:
	s_cmp_eq_u32 s0, 44
	s_cbranch_scc0 .LBB8_153
; %bb.43:
	global_load_u8 v4, v[0:1], off
	s_mov_b32 s13, 0
	s_mov_b32 s11, -1
	s_wait_loadcnt 0x0
	v_cmp_ne_u32_e32 vcc_lo, 0xff, v4
	v_lshlrev_b32_e32 v2, 23, v4
	s_delay_alu instid0(VALU_DEP_1) | instskip(NEXT) | instid1(VALU_DEP_1)
	v_cvt_f64_f32_e32 v[2:3], v2
	v_cndmask_b32_e32 v2, 0x20000000, v2, vcc_lo
	s_delay_alu instid0(VALU_DEP_2) | instskip(SKIP_1) | instid1(VALU_DEP_2)
	v_cndmask_b32_e32 v3, 0x7ff80000, v3, vcc_lo
	v_cmp_ne_u32_e32 vcc_lo, 0, v4
	v_cndmask_b32_e32 v3, 0x38000000, v3, vcc_lo
	s_delay_alu instid0(VALU_DEP_4)
	v_cndmask_b32_e32 v2, 0, v2, vcc_lo
	s_branch .LBB8_154
.LBB8_44:
	s_mov_b32 s18, -1
	s_mov_b32 s0, 0
	s_mov_b32 s17, 0
.LBB8_45:
	s_and_b32 vcc_lo, exec_lo, s18
	s_cbranch_vccz .LBB8_50
; %bb.46:
	s_cmp_eq_u32 s16, 44
	s_mov_b32 s0, -1
	s_cbranch_scc0 .LBB8_50
; %bb.47:
	s_wait_xcnt 0x0
	s_delay_alu instid0(VALU_DEP_4) | instskip(SKIP_2) | instid1(VALU_DEP_2)
	v_cvt_f32_f64_e32 v2, v[0:1]
	v_mov_b32_e32 v3, 0xff
	s_mov_b32 s17, exec_lo
	v_bfe_u32 v6, v2, 23, 8
	s_delay_alu instid0(VALU_DEP_1)
	v_cmpx_ne_u32_e32 0xff, v6
	s_cbranch_execz .LBB8_49
; %bb.48:
	v_and_b32_e32 v3, 0x400000, v2
	v_and_or_b32 v6, 0x3fffff, v2, v6
	v_lshrrev_b32_e32 v2, 23, v2
	s_delay_alu instid0(VALU_DEP_3) | instskip(NEXT) | instid1(VALU_DEP_3)
	v_cmp_ne_u32_e32 vcc_lo, 0, v3
	v_cmp_ne_u32_e64 s0, 0, v6
	s_and_b32 s0, vcc_lo, s0
	s_delay_alu instid0(SALU_CYCLE_1) | instskip(NEXT) | instid1(VALU_DEP_1)
	v_cndmask_b32_e64 v3, 0, 1, s0
	v_add_nc_u32_e32 v3, v2, v3
.LBB8_49:
	s_or_b32 exec_lo, exec_lo, s17
	s_mov_b32 s17, -1
	s_mov_b32 s0, 0
	global_store_b8 v[4:5], v3, off
.LBB8_50:
	s_mov_b32 s18, 0
.LBB8_51:
	s_delay_alu instid0(SALU_CYCLE_1)
	s_and_b32 vcc_lo, exec_lo, s18
	s_cbranch_vccz .LBB8_54
; %bb.52:
	s_cmp_eq_u32 s16, 29
	s_mov_b32 s0, -1
	s_cbranch_scc0 .LBB8_54
; %bb.53:
	s_wait_xcnt 0x0
	s_delay_alu instid0(VALU_DEP_4) | instskip(SKIP_3) | instid1(VALU_DEP_1)
	v_trunc_f64_e32 v[2:3], v[0:1]
	s_mov_b32 s17, -1
	s_mov_b32 s0, 0
	s_mov_b32 s18, 0
	v_ldexp_f64 v[6:7], v[2:3], 0xffffffe0
	s_delay_alu instid0(VALU_DEP_1) | instskip(NEXT) | instid1(VALU_DEP_1)
	v_floor_f64_e32 v[6:7], v[6:7]
	v_fmamk_f64 v[2:3], v[6:7], 0xc1f00000, v[2:3]
	v_cvt_u32_f64_e32 v7, v[6:7]
	s_delay_alu instid0(VALU_DEP_2)
	v_cvt_u32_f64_e32 v6, v[2:3]
	global_store_b64 v[4:5], v[6:7], off
	s_branch .LBB8_55
.LBB8_54:
	s_mov_b32 s18, 0
.LBB8_55:
	s_delay_alu instid0(SALU_CYCLE_1)
	s_and_b32 vcc_lo, exec_lo, s18
	s_cbranch_vccz .LBB8_71
; %bb.56:
	s_cmp_lt_i32 s16, 27
	s_mov_b32 s17, -1
	s_cbranch_scc1 .LBB8_62
; %bb.57:
	s_wait_xcnt 0x0
	s_delay_alu instid0(VALU_DEP_4)
	v_cvt_u32_f64_e32 v2, v[0:1]
	s_cmp_gt_i32 s16, 27
	s_cbranch_scc0 .LBB8_59
; %bb.58:
	s_mov_b32 s17, 0
	global_store_b32 v[4:5], v2, off
.LBB8_59:
	s_and_not1_b32 vcc_lo, exec_lo, s17
	s_cbranch_vccnz .LBB8_61
; %bb.60:
	global_store_b16 v[4:5], v2, off
.LBB8_61:
	s_mov_b32 s17, 0
.LBB8_62:
	s_delay_alu instid0(SALU_CYCLE_1)
	s_and_not1_b32 vcc_lo, exec_lo, s17
	s_cbranch_vccnz .LBB8_70
; %bb.63:
	s_wait_xcnt 0x0
	s_delay_alu instid0(VALU_DEP_4) | instskip(SKIP_2) | instid1(VALU_DEP_2)
	v_cvt_f32_f64_e32 v2, v[0:1]
	v_mov_b32_e32 v6, 0x80
	s_mov_b32 s17, exec_lo
	v_and_b32_e32 v3, 0x7fffffff, v2
	s_delay_alu instid0(VALU_DEP_1)
	v_cmpx_gt_u32_e32 0x43800000, v3
	s_cbranch_execz .LBB8_69
; %bb.64:
	v_cmp_lt_u32_e32 vcc_lo, 0x3bffffff, v3
	s_mov_b32 s18, 0
                                        ; implicit-def: $vgpr3
	s_and_saveexec_b32 s19, vcc_lo
	s_delay_alu instid0(SALU_CYCLE_1)
	s_xor_b32 s19, exec_lo, s19
	s_cbranch_execz .LBB8_303
; %bb.65:
	v_bfe_u32 v3, v2, 20, 1
	s_mov_b32 s18, exec_lo
	s_delay_alu instid0(VALU_DEP_1) | instskip(NEXT) | instid1(VALU_DEP_1)
	v_add3_u32 v3, v2, v3, 0x487ffff
	v_lshrrev_b32_e32 v3, 20, v3
	s_and_not1_saveexec_b32 s19, s19
	s_cbranch_execnz .LBB8_304
.LBB8_66:
	s_or_b32 exec_lo, exec_lo, s19
	v_mov_b32_e32 v6, 0
	s_and_saveexec_b32 s19, s18
.LBB8_67:
	v_lshrrev_b32_e32 v2, 24, v2
	s_delay_alu instid0(VALU_DEP_1)
	v_and_or_b32 v6, 0x80, v2, v3
.LBB8_68:
	s_or_b32 exec_lo, exec_lo, s19
.LBB8_69:
	s_delay_alu instid0(SALU_CYCLE_1)
	s_or_b32 exec_lo, exec_lo, s17
	global_store_b8 v[4:5], v6, off
.LBB8_70:
	s_mov_b32 s17, -1
.LBB8_71:
	s_mov_b32 s18, 0
.LBB8_72:
	s_delay_alu instid0(SALU_CYCLE_1)
	s_and_b32 vcc_lo, exec_lo, s18
	s_cbranch_vccz .LBB8_113
; %bb.73:
	s_cmp_gt_i32 s16, 22
	s_mov_b32 s18, -1
	s_cbranch_scc0 .LBB8_105
; %bb.74:
	s_cmp_lt_i32 s16, 24
	s_mov_b32 s17, -1
	s_cbranch_scc1 .LBB8_94
; %bb.75:
	s_cmp_gt_i32 s16, 24
	s_cbranch_scc0 .LBB8_83
; %bb.76:
	s_wait_xcnt 0x0
	s_delay_alu instid0(VALU_DEP_4) | instskip(SKIP_2) | instid1(VALU_DEP_2)
	v_cvt_f32_f64_e32 v2, v[0:1]
	v_mov_b32_e32 v6, 0x80
	s_mov_b32 s17, exec_lo
	v_and_b32_e32 v3, 0x7fffffff, v2
	s_delay_alu instid0(VALU_DEP_1)
	v_cmpx_gt_u32_e32 0x47800000, v3
	s_cbranch_execz .LBB8_82
; %bb.77:
	v_cmp_lt_u32_e32 vcc_lo, 0x37ffffff, v3
	s_mov_b32 s18, 0
                                        ; implicit-def: $vgpr3
	s_and_saveexec_b32 s19, vcc_lo
	s_delay_alu instid0(SALU_CYCLE_1)
	s_xor_b32 s19, exec_lo, s19
	s_cbranch_execz .LBB8_307
; %bb.78:
	v_bfe_u32 v3, v2, 21, 1
	s_mov_b32 s18, exec_lo
	s_delay_alu instid0(VALU_DEP_1) | instskip(NEXT) | instid1(VALU_DEP_1)
	v_add3_u32 v3, v2, v3, 0x88fffff
	v_lshrrev_b32_e32 v3, 21, v3
	s_and_not1_saveexec_b32 s19, s19
	s_cbranch_execnz .LBB8_308
.LBB8_79:
	s_or_b32 exec_lo, exec_lo, s19
	v_mov_b32_e32 v6, 0
	s_and_saveexec_b32 s19, s18
.LBB8_80:
	v_lshrrev_b32_e32 v2, 24, v2
	s_delay_alu instid0(VALU_DEP_1)
	v_and_or_b32 v6, 0x80, v2, v3
.LBB8_81:
	s_or_b32 exec_lo, exec_lo, s19
.LBB8_82:
	s_delay_alu instid0(SALU_CYCLE_1)
	s_or_b32 exec_lo, exec_lo, s17
	s_mov_b32 s17, 0
	global_store_b8 v[4:5], v6, off
.LBB8_83:
	s_and_b32 vcc_lo, exec_lo, s17
	s_cbranch_vccz .LBB8_93
; %bb.84:
	s_wait_xcnt 0x0
	s_delay_alu instid0(VALU_DEP_4) | instskip(SKIP_1) | instid1(VALU_DEP_1)
	v_cvt_f32_f64_e32 v2, v[0:1]
	s_mov_b32 s17, exec_lo
                                        ; implicit-def: $vgpr3
	v_and_b32_e32 v6, 0x7fffffff, v2
	s_delay_alu instid0(VALU_DEP_1)
	v_cmpx_gt_u32_e32 0x43f00000, v6
	s_xor_b32 s17, exec_lo, s17
	s_cbranch_execz .LBB8_90
; %bb.85:
	s_mov_b32 s18, exec_lo
                                        ; implicit-def: $vgpr3
	v_cmpx_lt_u32_e32 0x3c7fffff, v6
	s_xor_b32 s18, exec_lo, s18
; %bb.86:
	v_bfe_u32 v3, v2, 20, 1
	s_delay_alu instid0(VALU_DEP_1) | instskip(NEXT) | instid1(VALU_DEP_1)
	v_add3_u32 v3, v2, v3, 0x407ffff
	v_and_b32_e32 v6, 0xff00000, v3
	v_lshrrev_b32_e32 v3, 20, v3
	s_delay_alu instid0(VALU_DEP_2) | instskip(NEXT) | instid1(VALU_DEP_2)
	v_cmp_ne_u32_e32 vcc_lo, 0x7f00000, v6
	v_cndmask_b32_e32 v3, 0x7e, v3, vcc_lo
; %bb.87:
	s_and_not1_saveexec_b32 s18, s18
; %bb.88:
	v_add_f32_e64 v3, 0x46800000, |v2|
; %bb.89:
	s_or_b32 exec_lo, exec_lo, s18
                                        ; implicit-def: $vgpr6
.LBB8_90:
	s_and_not1_saveexec_b32 s17, s17
; %bb.91:
	v_mov_b32_e32 v3, 0x7f
	v_cmp_lt_u32_e32 vcc_lo, 0x7f800000, v6
	s_delay_alu instid0(VALU_DEP_2)
	v_cndmask_b32_e32 v3, 0x7e, v3, vcc_lo
; %bb.92:
	s_or_b32 exec_lo, exec_lo, s17
	v_lshrrev_b32_e32 v2, 24, v2
	s_delay_alu instid0(VALU_DEP_1)
	v_and_or_b32 v2, 0x80, v2, v3
	global_store_b8 v[4:5], v2, off
.LBB8_93:
	s_mov_b32 s17, 0
.LBB8_94:
	s_delay_alu instid0(SALU_CYCLE_1)
	s_and_not1_b32 vcc_lo, exec_lo, s17
	s_cbranch_vccnz .LBB8_104
; %bb.95:
	s_wait_xcnt 0x0
	s_delay_alu instid0(VALU_DEP_4) | instskip(SKIP_1) | instid1(VALU_DEP_1)
	v_cvt_f32_f64_e32 v2, v[0:1]
	s_mov_b32 s17, exec_lo
                                        ; implicit-def: $vgpr3
	v_and_b32_e32 v6, 0x7fffffff, v2
	s_delay_alu instid0(VALU_DEP_1)
	v_cmpx_gt_u32_e32 0x47800000, v6
	s_xor_b32 s17, exec_lo, s17
	s_cbranch_execz .LBB8_101
; %bb.96:
	s_mov_b32 s18, exec_lo
                                        ; implicit-def: $vgpr3
	v_cmpx_lt_u32_e32 0x387fffff, v6
	s_xor_b32 s18, exec_lo, s18
; %bb.97:
	v_bfe_u32 v3, v2, 21, 1
	s_delay_alu instid0(VALU_DEP_1) | instskip(NEXT) | instid1(VALU_DEP_1)
	v_add3_u32 v3, v2, v3, 0x80fffff
	v_lshrrev_b32_e32 v3, 21, v3
; %bb.98:
	s_and_not1_saveexec_b32 s18, s18
; %bb.99:
	v_add_f32_e64 v3, 0x43000000, |v2|
; %bb.100:
	s_or_b32 exec_lo, exec_lo, s18
                                        ; implicit-def: $vgpr6
.LBB8_101:
	s_and_not1_saveexec_b32 s17, s17
; %bb.102:
	v_mov_b32_e32 v3, 0x7f
	v_cmp_lt_u32_e32 vcc_lo, 0x7f800000, v6
	s_delay_alu instid0(VALU_DEP_2)
	v_cndmask_b32_e32 v3, 0x7c, v3, vcc_lo
; %bb.103:
	s_or_b32 exec_lo, exec_lo, s17
	v_lshrrev_b32_e32 v2, 24, v2
	s_delay_alu instid0(VALU_DEP_1)
	v_and_or_b32 v2, 0x80, v2, v3
	global_store_b8 v[4:5], v2, off
.LBB8_104:
	s_mov_b32 s18, 0
	s_mov_b32 s17, -1
.LBB8_105:
	s_and_not1_b32 vcc_lo, exec_lo, s18
	s_cbranch_vccnz .LBB8_113
; %bb.106:
	s_cmp_gt_i32 s16, 14
	s_mov_b32 s18, -1
	s_cbranch_scc0 .LBB8_110
; %bb.107:
	s_cmp_eq_u32 s16, 15
	s_mov_b32 s0, -1
	s_cbranch_scc0 .LBB8_109
; %bb.108:
	s_wait_xcnt 0x0
	s_delay_alu instid0(VALU_DEP_4) | instskip(SKIP_2) | instid1(VALU_DEP_1)
	v_cvt_f32_f64_e32 v2, v[0:1]
	s_mov_b32 s17, -1
	s_mov_b32 s0, 0
	v_bfe_u32 v3, v2, 16, 1
	v_cmp_o_f32_e32 vcc_lo, v2, v2
	s_delay_alu instid0(VALU_DEP_2) | instskip(NEXT) | instid1(VALU_DEP_1)
	v_add3_u32 v3, v2, v3, 0x7fff
	v_lshrrev_b32_e32 v3, 16, v3
	s_delay_alu instid0(VALU_DEP_1)
	v_cndmask_b32_e32 v2, 0x7fc0, v3, vcc_lo
	global_store_b16 v[4:5], v2, off
.LBB8_109:
	s_mov_b32 s18, 0
.LBB8_110:
	s_delay_alu instid0(SALU_CYCLE_1)
	s_and_b32 vcc_lo, exec_lo, s18
	s_cbranch_vccz .LBB8_113
; %bb.111:
	s_cmp_eq_u32 s16, 11
	s_mov_b32 s0, -1
	s_cbranch_scc0 .LBB8_113
; %bb.112:
	s_delay_alu instid0(VALU_DEP_4)
	v_cmp_neq_f64_e32 vcc_lo, 0, v[0:1]
	s_mov_b32 s17, -1
	s_mov_b32 s0, 0
	s_wait_xcnt 0x0
	v_cndmask_b32_e64 v2, 0, 1, vcc_lo
	global_store_b8 v[4:5], v2, off
.LBB8_113:
	s_branch .LBB8_32
.LBB8_114:
	s_and_b32 s11, 0xffff, s11
	s_mov_b32 s16, -1
	s_cmp_lt_i32 s11, 5
	s_cbranch_scc1 .LBB8_135
; %bb.115:
	s_cmp_lt_i32 s11, 8
	s_cbranch_scc1 .LBB8_125
; %bb.116:
	;; [unrolled: 3-line block ×3, first 2 shown]
	s_cmp_gt_i32 s11, 9
	s_cbranch_scc0 .LBB8_119
; %bb.118:
	s_wait_xcnt 0x0
	v_mov_b32_e32 v2, 0
	s_mov_b32 s16, 0
	s_delay_alu instid0(VALU_DEP_1)
	v_mov_b32_e32 v3, v2
	global_store_b128 v[4:5], v[0:3], off
.LBB8_119:
	s_and_not1_b32 vcc_lo, exec_lo, s16
	s_cbranch_vccnz .LBB8_121
; %bb.120:
	s_wait_xcnt 0x0
	s_delay_alu instid0(VALU_DEP_4)
	v_cvt_f32_f64_e32 v2, v[0:1]
	v_mov_b32_e32 v3, 0
	global_store_b64 v[4:5], v[2:3], off
.LBB8_121:
	s_mov_b32 s16, 0
.LBB8_122:
	s_delay_alu instid0(SALU_CYCLE_1)
	s_and_not1_b32 vcc_lo, exec_lo, s16
	s_cbranch_vccnz .LBB8_124
; %bb.123:
	s_wait_xcnt 0x0
	s_delay_alu instid0(VALU_DEP_4) | instskip(SKIP_2) | instid1(VALU_DEP_3)
	v_and_or_b32 v2, 0x1ff, v1, v0
	v_lshrrev_b32_e32 v3, 8, v1
	v_bfe_u32 v6, v1, 20, 11
	v_cmp_ne_u32_e32 vcc_lo, 0, v2
	s_delay_alu instid0(VALU_DEP_2) | instskip(SKIP_1) | instid1(VALU_DEP_1)
	v_sub_nc_u32_e32 v7, 0x3f1, v6
	v_cndmask_b32_e64 v2, 0, 1, vcc_lo
	v_and_or_b32 v2, 0xffe, v3, v2
	s_delay_alu instid0(VALU_DEP_3) | instskip(NEXT) | instid1(VALU_DEP_2)
	v_med3_i32 v3, v7, 0, 13
	v_or_b32_e32 v7, 0x1000, v2
	s_delay_alu instid0(VALU_DEP_1) | instskip(NEXT) | instid1(VALU_DEP_1)
	v_lshrrev_b32_e32 v8, v3, v7
	v_lshlrev_b32_e32 v3, v3, v8
	s_delay_alu instid0(VALU_DEP_1) | instskip(SKIP_1) | instid1(VALU_DEP_1)
	v_cmp_ne_u32_e32 vcc_lo, v3, v7
	v_cndmask_b32_e64 v3, 0, 1, vcc_lo
	v_or_b32_e32 v3, v8, v3
	v_add_nc_u32_e32 v6, 0xfffffc10, v6
	s_delay_alu instid0(VALU_DEP_1) | instskip(SKIP_1) | instid1(VALU_DEP_2)
	v_lshl_or_b32 v7, v6, 12, v2
	v_cmp_gt_i32_e32 vcc_lo, 1, v6
	v_cndmask_b32_e32 v3, v7, v3, vcc_lo
	s_delay_alu instid0(VALU_DEP_1) | instskip(NEXT) | instid1(VALU_DEP_1)
	v_dual_lshrrev_b32 v3, 2, v3 :: v_dual_bitop2_b32 v7, 7, v3 bitop3:0x40
	v_cmp_lt_i32_e32 vcc_lo, 5, v7
	v_cndmask_b32_e64 v8, 0, 1, vcc_lo
	v_cmp_eq_u32_e32 vcc_lo, 3, v7
	v_cndmask_b32_e64 v7, 0, 1, vcc_lo
	v_cmp_ne_u32_e32 vcc_lo, 0, v2
	s_delay_alu instid0(VALU_DEP_2) | instskip(NEXT) | instid1(VALU_DEP_1)
	v_or_b32_e32 v7, v7, v8
	v_dual_mov_b32 v8, 0x7e00 :: v_dual_add_nc_u32 v3, v3, v7
	s_delay_alu instid0(VALU_DEP_1) | instskip(SKIP_2) | instid1(VALU_DEP_4)
	v_cndmask_b32_e32 v2, 0x7c00, v8, vcc_lo
	v_cmp_gt_i32_e32 vcc_lo, 31, v6
	v_lshrrev_b32_e32 v7, 16, v1
	v_cndmask_b32_e32 v3, 0x7c00, v3, vcc_lo
	v_cmp_eq_u32_e32 vcc_lo, 0x40f, v6
	s_delay_alu instid0(VALU_DEP_2) | instskip(NEXT) | instid1(VALU_DEP_4)
	v_cndmask_b32_e32 v2, v3, v2, vcc_lo
	v_and_b32_e32 v3, 0x8000, v7
	s_delay_alu instid0(VALU_DEP_1)
	v_bitop3_b32 v2, v3, 0xffff, v2 bitop3:0xc8
	global_store_b32 v[4:5], v2, off
.LBB8_124:
	s_mov_b32 s16, 0
.LBB8_125:
	s_delay_alu instid0(SALU_CYCLE_1)
	s_and_not1_b32 vcc_lo, exec_lo, s16
	s_cbranch_vccnz .LBB8_134
; %bb.126:
	s_cmp_lt_i32 s11, 6
	s_mov_b32 s16, -1
	s_cbranch_scc1 .LBB8_132
; %bb.127:
	s_cmp_gt_i32 s11, 6
	s_cbranch_scc0 .LBB8_129
; %bb.128:
	s_mov_b32 s16, 0
	global_store_b64 v[4:5], v[0:1], off
.LBB8_129:
	s_and_not1_b32 vcc_lo, exec_lo, s16
	s_cbranch_vccnz .LBB8_131
; %bb.130:
	s_wait_xcnt 0x0
	s_delay_alu instid0(VALU_DEP_4)
	v_cvt_f32_f64_e32 v2, v[0:1]
	global_store_b32 v[4:5], v2, off
.LBB8_131:
	s_mov_b32 s16, 0
.LBB8_132:
	s_delay_alu instid0(SALU_CYCLE_1)
	s_and_not1_b32 vcc_lo, exec_lo, s16
	s_cbranch_vccnz .LBB8_134
; %bb.133:
	s_wait_xcnt 0x0
	s_delay_alu instid0(VALU_DEP_4) | instskip(SKIP_2) | instid1(VALU_DEP_3)
	v_and_or_b32 v2, 0x1ff, v1, v0
	v_lshrrev_b32_e32 v3, 8, v1
	v_bfe_u32 v6, v1, 20, 11
	v_cmp_ne_u32_e32 vcc_lo, 0, v2
	s_delay_alu instid0(VALU_DEP_2) | instskip(SKIP_1) | instid1(VALU_DEP_1)
	v_sub_nc_u32_e32 v7, 0x3f1, v6
	v_cndmask_b32_e64 v2, 0, 1, vcc_lo
	v_and_or_b32 v2, 0xffe, v3, v2
	s_delay_alu instid0(VALU_DEP_3) | instskip(NEXT) | instid1(VALU_DEP_2)
	v_med3_i32 v3, v7, 0, 13
	v_or_b32_e32 v7, 0x1000, v2
	s_delay_alu instid0(VALU_DEP_1) | instskip(NEXT) | instid1(VALU_DEP_1)
	v_lshrrev_b32_e32 v8, v3, v7
	v_lshlrev_b32_e32 v3, v3, v8
	s_delay_alu instid0(VALU_DEP_1) | instskip(SKIP_1) | instid1(VALU_DEP_1)
	v_cmp_ne_u32_e32 vcc_lo, v3, v7
	v_cndmask_b32_e64 v3, 0, 1, vcc_lo
	v_or_b32_e32 v3, v8, v3
	v_add_nc_u32_e32 v6, 0xfffffc10, v6
	s_delay_alu instid0(VALU_DEP_1) | instskip(SKIP_1) | instid1(VALU_DEP_2)
	v_lshl_or_b32 v7, v6, 12, v2
	v_cmp_gt_i32_e32 vcc_lo, 1, v6
	v_cndmask_b32_e32 v3, v7, v3, vcc_lo
	s_delay_alu instid0(VALU_DEP_1) | instskip(NEXT) | instid1(VALU_DEP_1)
	v_dual_lshrrev_b32 v3, 2, v3 :: v_dual_bitop2_b32 v7, 7, v3 bitop3:0x40
	v_cmp_lt_i32_e32 vcc_lo, 5, v7
	v_cndmask_b32_e64 v8, 0, 1, vcc_lo
	v_cmp_eq_u32_e32 vcc_lo, 3, v7
	v_cndmask_b32_e64 v7, 0, 1, vcc_lo
	v_cmp_ne_u32_e32 vcc_lo, 0, v2
	s_delay_alu instid0(VALU_DEP_2) | instskip(NEXT) | instid1(VALU_DEP_1)
	v_or_b32_e32 v7, v7, v8
	v_dual_mov_b32 v8, 0x7e00 :: v_dual_add_nc_u32 v3, v3, v7
	s_delay_alu instid0(VALU_DEP_1) | instskip(SKIP_1) | instid1(VALU_DEP_3)
	v_cndmask_b32_e32 v2, 0x7c00, v8, vcc_lo
	v_cmp_gt_i32_e32 vcc_lo, 31, v6
	v_cndmask_b32_e32 v3, 0x7c00, v3, vcc_lo
	v_cmp_eq_u32_e32 vcc_lo, 0x40f, v6
	s_delay_alu instid0(VALU_DEP_2) | instskip(NEXT) | instid1(VALU_DEP_1)
	v_dual_cndmask_b32 v2, v3, v2 :: v_dual_lshrrev_b32 v3, 16, v1
	v_and_or_b32 v2, 0x8000, v3, v2
	global_store_b16 v[4:5], v2, off
.LBB8_134:
	s_mov_b32 s16, 0
.LBB8_135:
	s_delay_alu instid0(SALU_CYCLE_1)
	s_and_not1_b32 vcc_lo, exec_lo, s16
	s_cbranch_vccnz .LBB8_151
; %bb.136:
	s_cmp_lt_i32 s11, 2
	s_mov_b32 s16, -1
	s_cbranch_scc1 .LBB8_146
; %bb.137:
	s_cmp_lt_i32 s11, 3
	s_cbranch_scc1 .LBB8_143
; %bb.138:
	s_cmp_gt_i32 s11, 3
	s_cbranch_scc0 .LBB8_140
; %bb.139:
	s_wait_xcnt 0x0
	s_delay_alu instid0(VALU_DEP_4) | instskip(SKIP_1) | instid1(VALU_DEP_1)
	v_trunc_f64_e32 v[2:3], v[0:1]
	s_mov_b32 s16, 0
	v_ldexp_f64 v[6:7], v[2:3], 0xffffffe0
	s_delay_alu instid0(VALU_DEP_1) | instskip(NEXT) | instid1(VALU_DEP_1)
	v_floor_f64_e32 v[6:7], v[6:7]
	v_fmamk_f64 v[2:3], v[6:7], 0xc1f00000, v[2:3]
	v_cvt_i32_f64_e32 v7, v[6:7]
	s_delay_alu instid0(VALU_DEP_2)
	v_cvt_u32_f64_e32 v6, v[2:3]
	global_store_b64 v[4:5], v[6:7], off
.LBB8_140:
	s_and_not1_b32 vcc_lo, exec_lo, s16
	s_cbranch_vccnz .LBB8_142
; %bb.141:
	s_wait_xcnt 0x0
	s_delay_alu instid0(VALU_DEP_4)
	v_cvt_i32_f64_e32 v2, v[0:1]
	global_store_b32 v[4:5], v2, off
.LBB8_142:
	s_mov_b32 s16, 0
.LBB8_143:
	s_delay_alu instid0(SALU_CYCLE_1)
	s_and_not1_b32 vcc_lo, exec_lo, s16
	s_cbranch_vccnz .LBB8_145
; %bb.144:
	s_wait_xcnt 0x0
	s_delay_alu instid0(VALU_DEP_4)
	v_cvt_i32_f64_e32 v2, v[0:1]
	global_store_b16 v[4:5], v2, off
.LBB8_145:
	s_mov_b32 s16, 0
.LBB8_146:
	s_delay_alu instid0(SALU_CYCLE_1)
	s_and_not1_b32 vcc_lo, exec_lo, s16
	s_cbranch_vccnz .LBB8_151
; %bb.147:
	s_cmp_gt_i32 s11, 0
	s_mov_b32 s11, -1
	s_cbranch_scc0 .LBB8_149
; %bb.148:
	s_wait_xcnt 0x0
	s_delay_alu instid0(VALU_DEP_4)
	v_cvt_i32_f64_e32 v2, v[0:1]
	s_mov_b32 s11, 0
	global_store_b8 v[4:5], v2, off
.LBB8_149:
	s_and_not1_b32 vcc_lo, exec_lo, s11
	s_cbranch_vccnz .LBB8_151
; %bb.150:
	s_wait_xcnt 0x0
	s_delay_alu instid0(VALU_DEP_4) | instskip(NEXT) | instid1(VALU_DEP_1)
	v_trunc_f64_e32 v[0:1], v[0:1]
	v_ldexp_f64 v[2:3], v[0:1], 0xffffffe0
	s_delay_alu instid0(VALU_DEP_1) | instskip(NEXT) | instid1(VALU_DEP_1)
	v_floor_f64_e32 v[2:3], v[2:3]
	v_fmamk_f64 v[0:1], v[2:3], 0xc1f00000, v[0:1]
	s_delay_alu instid0(VALU_DEP_1)
	v_cvt_u32_f64_e32 v0, v[0:1]
	global_store_b8 v[4:5], v0, off
.LBB8_151:
.LBB8_152:
	v_add_nc_u32_e32 v14, 0x80, v14
	s_mov_b32 s16, -1
	s_branch .LBB8_263
.LBB8_153:
	s_mov_b32 s13, -1
                                        ; implicit-def: $vgpr2_vgpr3
.LBB8_154:
	s_mov_b32 s16, 0
.LBB8_155:
	s_delay_alu instid0(SALU_CYCLE_1)
	s_and_b32 vcc_lo, exec_lo, s16
	s_cbranch_vccz .LBB8_159
; %bb.156:
	s_cmp_eq_u32 s0, 29
	s_cbranch_scc0 .LBB8_158
; %bb.157:
	global_load_b64 v[2:3], v[0:1], off
	s_mov_b32 s11, -1
	s_mov_b32 s13, 0
	s_mov_b32 s16, 0
	s_wait_loadcnt 0x0
	v_cvt_f64_u32_e32 v[4:5], v3
	v_cvt_f64_u32_e32 v[2:3], v2
	s_delay_alu instid0(VALU_DEP_2) | instskip(NEXT) | instid1(VALU_DEP_1)
	v_ldexp_f64 v[4:5], v[4:5], 32
	v_add_f64_e32 v[2:3], v[4:5], v[2:3]
	s_branch .LBB8_160
.LBB8_158:
	s_mov_b32 s13, -1
                                        ; implicit-def: $vgpr2_vgpr3
.LBB8_159:
	s_mov_b32 s16, 0
.LBB8_160:
	s_delay_alu instid0(SALU_CYCLE_1)
	s_and_b32 vcc_lo, exec_lo, s16
	s_cbranch_vccz .LBB8_178
; %bb.161:
	s_cmp_lt_i32 s0, 27
	s_cbranch_scc1 .LBB8_164
; %bb.162:
	s_cmp_gt_i32 s0, 27
	s_cbranch_scc0 .LBB8_165
; %bb.163:
	global_load_b32 v2, v[0:1], off
	s_mov_b32 s11, 0
	s_wait_loadcnt 0x0
	v_cvt_f64_u32_e32 v[2:3], v2
	s_branch .LBB8_166
.LBB8_164:
	s_mov_b32 s11, -1
                                        ; implicit-def: $vgpr2_vgpr3
	s_branch .LBB8_169
.LBB8_165:
	s_mov_b32 s11, -1
                                        ; implicit-def: $vgpr2_vgpr3
.LBB8_166:
	s_delay_alu instid0(SALU_CYCLE_1)
	s_and_not1_b32 vcc_lo, exec_lo, s11
	s_cbranch_vccnz .LBB8_168
; %bb.167:
	global_load_u16 v2, v[0:1], off
	s_wait_loadcnt 0x0
	v_cvt_f64_u32_e32 v[2:3], v2
.LBB8_168:
	s_mov_b32 s11, 0
.LBB8_169:
	s_delay_alu instid0(SALU_CYCLE_1)
	s_and_not1_b32 vcc_lo, exec_lo, s11
	s_cbranch_vccnz .LBB8_177
; %bb.170:
	global_load_u8 v4, v[0:1], off
	s_mov_b32 s11, 0
	s_mov_b32 s16, exec_lo
	s_wait_loadcnt 0x0
	v_cmpx_lt_i16_e32 0x7f, v4
	s_xor_b32 s16, exec_lo, s16
	s_cbranch_execz .LBB8_190
; %bb.171:
	s_mov_b32 s11, -1
	s_mov_b32 s17, exec_lo
	v_cmpx_eq_u16_e32 0x80, v4
; %bb.172:
	s_xor_b32 s11, exec_lo, -1
; %bb.173:
	s_or_b32 exec_lo, exec_lo, s17
	s_delay_alu instid0(SALU_CYCLE_1)
	s_and_b32 s11, s11, exec_lo
	s_or_saveexec_b32 s16, s16
	v_mov_b64_e32 v[2:3], 0x7ff8000020000000
	s_xor_b32 exec_lo, exec_lo, s16
	s_cbranch_execnz .LBB8_191
.LBB8_174:
	s_or_b32 exec_lo, exec_lo, s16
	s_and_saveexec_b32 s16, s11
	s_cbranch_execz .LBB8_176
.LBB8_175:
	v_and_b32_e32 v2, 0xffff, v4
	s_delay_alu instid0(VALU_DEP_1) | instskip(SKIP_1) | instid1(VALU_DEP_2)
	v_and_b32_e32 v3, 7, v2
	v_bfe_u32 v7, v2, 3, 4
	v_clz_i32_u32_e32 v5, v3
	s_delay_alu instid0(VALU_DEP_2) | instskip(NEXT) | instid1(VALU_DEP_2)
	v_cmp_eq_u32_e32 vcc_lo, 0, v7
	v_min_u32_e32 v5, 32, v5
	s_delay_alu instid0(VALU_DEP_1) | instskip(NEXT) | instid1(VALU_DEP_1)
	v_subrev_nc_u32_e32 v6, 28, v5
	v_dual_lshlrev_b32 v2, v6, v2 :: v_dual_sub_nc_u32 v5, 29, v5
	s_delay_alu instid0(VALU_DEP_1) | instskip(NEXT) | instid1(VALU_DEP_2)
	v_dual_lshlrev_b32 v4, 24, v4 :: v_dual_bitop2_b32 v2, 7, v2 bitop3:0x40
	v_cndmask_b32_e32 v5, v7, v5, vcc_lo
	s_delay_alu instid0(VALU_DEP_2) | instskip(NEXT) | instid1(VALU_DEP_3)
	v_cndmask_b32_e32 v2, v3, v2, vcc_lo
	v_and_b32_e32 v3, 0x80000000, v4
	s_delay_alu instid0(VALU_DEP_3) | instskip(NEXT) | instid1(VALU_DEP_3)
	v_lshl_add_u32 v4, v5, 23, 0x3b800000
	v_lshlrev_b32_e32 v2, 20, v2
	s_delay_alu instid0(VALU_DEP_1) | instskip(NEXT) | instid1(VALU_DEP_1)
	v_or3_b32 v2, v3, v4, v2
	v_cvt_f64_f32_e32 v[2:3], v2
.LBB8_176:
	s_or_b32 exec_lo, exec_lo, s16
.LBB8_177:
	s_mov_b32 s11, -1
.LBB8_178:
	s_branch .LBB8_213
.LBB8_179:
	s_cmp_gt_i32 s0, 22
	s_cbranch_scc0 .LBB8_189
; %bb.180:
	s_cmp_lt_i32 s0, 24
	s_cbranch_scc1 .LBB8_192
; %bb.181:
	s_cmp_gt_i32 s0, 24
	s_cbranch_scc0 .LBB8_193
; %bb.182:
	global_load_u8 v4, v[0:1], off
	s_mov_b32 s11, 0
	s_mov_b32 s16, exec_lo
	s_wait_loadcnt 0x0
	v_cmpx_lt_i16_e32 0x7f, v4
	s_xor_b32 s16, exec_lo, s16
	s_cbranch_execz .LBB8_205
; %bb.183:
	s_mov_b32 s11, -1
	s_mov_b32 s17, exec_lo
	v_cmpx_eq_u16_e32 0x80, v4
; %bb.184:
	s_xor_b32 s11, exec_lo, -1
; %bb.185:
	s_or_b32 exec_lo, exec_lo, s17
	s_delay_alu instid0(SALU_CYCLE_1)
	s_and_b32 s11, s11, exec_lo
	s_or_saveexec_b32 s16, s16
	v_mov_b64_e32 v[2:3], 0x7ff8000020000000
	s_xor_b32 exec_lo, exec_lo, s16
	s_cbranch_execnz .LBB8_206
.LBB8_186:
	s_or_b32 exec_lo, exec_lo, s16
	s_and_saveexec_b32 s16, s11
	s_cbranch_execz .LBB8_188
.LBB8_187:
	v_and_b32_e32 v2, 0xffff, v4
	s_delay_alu instid0(VALU_DEP_1) | instskip(SKIP_1) | instid1(VALU_DEP_2)
	v_and_b32_e32 v3, 3, v2
	v_bfe_u32 v7, v2, 2, 5
	v_clz_i32_u32_e32 v5, v3
	s_delay_alu instid0(VALU_DEP_2) | instskip(NEXT) | instid1(VALU_DEP_2)
	v_cmp_eq_u32_e32 vcc_lo, 0, v7
	v_min_u32_e32 v5, 32, v5
	s_delay_alu instid0(VALU_DEP_1) | instskip(NEXT) | instid1(VALU_DEP_1)
	v_subrev_nc_u32_e32 v6, 29, v5
	v_dual_lshlrev_b32 v2, v6, v2 :: v_dual_sub_nc_u32 v5, 30, v5
	s_delay_alu instid0(VALU_DEP_1) | instskip(NEXT) | instid1(VALU_DEP_2)
	v_dual_lshlrev_b32 v4, 24, v4 :: v_dual_bitop2_b32 v2, 3, v2 bitop3:0x40
	v_cndmask_b32_e32 v5, v7, v5, vcc_lo
	s_delay_alu instid0(VALU_DEP_2) | instskip(NEXT) | instid1(VALU_DEP_3)
	v_cndmask_b32_e32 v2, v3, v2, vcc_lo
	v_and_b32_e32 v3, 0x80000000, v4
	s_delay_alu instid0(VALU_DEP_3) | instskip(NEXT) | instid1(VALU_DEP_3)
	v_lshl_add_u32 v4, v5, 23, 0x37800000
	v_lshlrev_b32_e32 v2, 21, v2
	s_delay_alu instid0(VALU_DEP_1) | instskip(NEXT) | instid1(VALU_DEP_1)
	v_or3_b32 v2, v3, v4, v2
	v_cvt_f64_f32_e32 v[2:3], v2
.LBB8_188:
	s_or_b32 exec_lo, exec_lo, s16
	s_mov_b32 s11, 0
	s_branch .LBB8_194
.LBB8_189:
	s_mov_b32 s16, -1
                                        ; implicit-def: $vgpr2_vgpr3
	s_branch .LBB8_200
.LBB8_190:
	s_or_saveexec_b32 s16, s16
	v_mov_b64_e32 v[2:3], 0x7ff8000020000000
	s_xor_b32 exec_lo, exec_lo, s16
	s_cbranch_execz .LBB8_174
.LBB8_191:
	v_cmp_ne_u16_e32 vcc_lo, 0, v4
	v_mov_b64_e32 v[2:3], 0
	s_and_not1_b32 s11, s11, exec_lo
	s_and_b32 s17, vcc_lo, exec_lo
	s_delay_alu instid0(SALU_CYCLE_1)
	s_or_b32 s11, s11, s17
	s_or_b32 exec_lo, exec_lo, s16
	s_and_saveexec_b32 s16, s11
	s_cbranch_execnz .LBB8_175
	s_branch .LBB8_176
.LBB8_192:
	s_mov_b32 s11, -1
                                        ; implicit-def: $vgpr2_vgpr3
	s_branch .LBB8_197
.LBB8_193:
	s_mov_b32 s11, -1
                                        ; implicit-def: $vgpr2_vgpr3
.LBB8_194:
	s_delay_alu instid0(SALU_CYCLE_1)
	s_and_b32 vcc_lo, exec_lo, s11
	s_cbranch_vccz .LBB8_196
; %bb.195:
	global_load_u8 v2, v[0:1], off
	s_wait_loadcnt 0x0
	v_lshlrev_b32_e32 v2, 24, v2
	s_delay_alu instid0(VALU_DEP_1) | instskip(NEXT) | instid1(VALU_DEP_1)
	v_and_b32_e32 v3, 0x7f000000, v2
	v_clz_i32_u32_e32 v4, v3
	v_cmp_ne_u32_e32 vcc_lo, 0, v3
	v_add_nc_u32_e32 v6, 0x1000000, v3
	s_delay_alu instid0(VALU_DEP_3) | instskip(NEXT) | instid1(VALU_DEP_1)
	v_min_u32_e32 v4, 32, v4
	v_sub_nc_u32_e64 v4, v4, 4 clamp
	s_delay_alu instid0(VALU_DEP_1) | instskip(NEXT) | instid1(VALU_DEP_1)
	v_dual_lshlrev_b32 v5, v4, v3 :: v_dual_lshlrev_b32 v4, 23, v4
	v_lshrrev_b32_e32 v5, 4, v5
	s_delay_alu instid0(VALU_DEP_1) | instskip(NEXT) | instid1(VALU_DEP_1)
	v_dual_sub_nc_u32 v4, v5, v4 :: v_dual_ashrrev_i32 v5, 8, v6
	v_add_nc_u32_e32 v4, 0x3c000000, v4
	s_delay_alu instid0(VALU_DEP_1) | instskip(NEXT) | instid1(VALU_DEP_1)
	v_and_or_b32 v4, 0x7f800000, v5, v4
	v_cndmask_b32_e32 v3, 0, v4, vcc_lo
	s_delay_alu instid0(VALU_DEP_1) | instskip(NEXT) | instid1(VALU_DEP_1)
	v_and_or_b32 v2, 0x80000000, v2, v3
	v_cvt_f64_f32_e32 v[2:3], v2
.LBB8_196:
	s_mov_b32 s11, 0
.LBB8_197:
	s_delay_alu instid0(SALU_CYCLE_1)
	s_and_not1_b32 vcc_lo, exec_lo, s11
	s_cbranch_vccnz .LBB8_199
; %bb.198:
	global_load_u8 v2, v[0:1], off
	s_wait_loadcnt 0x0
	v_lshlrev_b32_e32 v3, 25, v2
	v_lshlrev_b16 v2, 8, v2
	s_delay_alu instid0(VALU_DEP_1) | instskip(SKIP_1) | instid1(VALU_DEP_2)
	v_and_or_b32 v5, 0x7f00, v2, 0.5
	v_bfe_i32 v2, v2, 0, 16
	v_dual_add_f32 v5, -0.5, v5 :: v_dual_lshrrev_b32 v4, 4, v3
	v_cmp_gt_u32_e32 vcc_lo, 0x8000000, v3
	s_delay_alu instid0(VALU_DEP_2) | instskip(NEXT) | instid1(VALU_DEP_1)
	v_or_b32_e32 v4, 0x70000000, v4
	v_mul_f32_e32 v4, 0x7800000, v4
	s_delay_alu instid0(VALU_DEP_1) | instskip(NEXT) | instid1(VALU_DEP_1)
	v_cndmask_b32_e32 v3, v4, v5, vcc_lo
	v_and_or_b32 v2, 0x80000000, v2, v3
	s_delay_alu instid0(VALU_DEP_1)
	v_cvt_f64_f32_e32 v[2:3], v2
.LBB8_199:
	s_mov_b32 s16, 0
	s_mov_b32 s11, -1
.LBB8_200:
	s_and_not1_b32 vcc_lo, exec_lo, s16
	s_cbranch_vccnz .LBB8_213
; %bb.201:
	s_cmp_gt_i32 s0, 14
	s_cbranch_scc0 .LBB8_204
; %bb.202:
	s_cmp_eq_u32 s0, 15
	s_cbranch_scc0 .LBB8_207
; %bb.203:
	global_load_u16 v2, v[0:1], off
	s_mov_b32 s11, -1
	s_mov_b32 s13, 0
	s_wait_loadcnt 0x0
	v_lshlrev_b32_e32 v2, 16, v2
	s_delay_alu instid0(VALU_DEP_1)
	v_cvt_f64_f32_e32 v[2:3], v2
	s_branch .LBB8_208
.LBB8_204:
	s_mov_b32 s16, -1
                                        ; implicit-def: $vgpr2_vgpr3
	s_branch .LBB8_209
.LBB8_205:
	s_or_saveexec_b32 s16, s16
	v_mov_b64_e32 v[2:3], 0x7ff8000020000000
	s_xor_b32 exec_lo, exec_lo, s16
	s_cbranch_execz .LBB8_186
.LBB8_206:
	v_cmp_ne_u16_e32 vcc_lo, 0, v4
	v_mov_b64_e32 v[2:3], 0
	s_and_not1_b32 s11, s11, exec_lo
	s_and_b32 s17, vcc_lo, exec_lo
	s_delay_alu instid0(SALU_CYCLE_1)
	s_or_b32 s11, s11, s17
	s_or_b32 exec_lo, exec_lo, s16
	s_and_saveexec_b32 s16, s11
	s_cbranch_execnz .LBB8_187
	s_branch .LBB8_188
.LBB8_207:
	s_mov_b32 s13, -1
                                        ; implicit-def: $vgpr2_vgpr3
.LBB8_208:
	s_mov_b32 s16, 0
.LBB8_209:
	s_delay_alu instid0(SALU_CYCLE_1)
	s_and_b32 vcc_lo, exec_lo, s16
	s_cbranch_vccz .LBB8_213
; %bb.210:
	s_cmp_eq_u32 s0, 11
	s_cbranch_scc0 .LBB8_212
; %bb.211:
	global_load_u8 v2, v[0:1], off
	s_mov_b32 s13, 0
	s_mov_b32 s11, -1
	s_wait_loadcnt 0x0
	v_cmp_ne_u16_e32 vcc_lo, 0, v2
	v_mov_b32_e32 v2, 0
	v_cndmask_b32_e64 v3, 0, 0x3ff00000, vcc_lo
	s_branch .LBB8_213
.LBB8_212:
	s_mov_b32 s13, -1
                                        ; implicit-def: $vgpr2_vgpr3
.LBB8_213:
	s_branch .LBB8_10
.LBB8_214:
	s_cmp_lt_i32 s0, 5
	s_cbranch_scc1 .LBB8_219
; %bb.215:
	s_cmp_lt_i32 s0, 8
	s_cbranch_scc1 .LBB8_220
; %bb.216:
	;; [unrolled: 3-line block ×3, first 2 shown]
	s_cmp_gt_i32 s0, 9
	s_cbranch_scc0 .LBB8_222
; %bb.218:
	global_load_b64 v[2:3], v[0:1], off
	s_mov_b32 s11, 0
	s_branch .LBB8_223
.LBB8_219:
                                        ; implicit-def: $vgpr2_vgpr3
	s_branch .LBB8_241
.LBB8_220:
	s_mov_b32 s11, -1
                                        ; implicit-def: $vgpr2_vgpr3
	s_branch .LBB8_229
.LBB8_221:
	s_mov_b32 s11, -1
                                        ; implicit-def: $vgpr2_vgpr3
	s_branch .LBB8_226
.LBB8_222:
	s_mov_b32 s11, -1
                                        ; implicit-def: $vgpr2_vgpr3
.LBB8_223:
	s_delay_alu instid0(SALU_CYCLE_1)
	s_and_not1_b32 vcc_lo, exec_lo, s11
	s_cbranch_vccnz .LBB8_225
; %bb.224:
	s_wait_loadcnt 0x0
	global_load_b32 v2, v[0:1], off
	s_wait_loadcnt 0x0
	v_cvt_f64_f32_e32 v[2:3], v2
.LBB8_225:
	s_mov_b32 s11, 0
.LBB8_226:
	s_delay_alu instid0(SALU_CYCLE_1)
	s_and_not1_b32 vcc_lo, exec_lo, s11
	s_cbranch_vccnz .LBB8_228
; %bb.227:
	s_wait_loadcnt 0x0
	global_load_b32 v2, v[0:1], off
	s_wait_loadcnt 0x0
	v_cvt_f32_f16_e32 v2, v2
	s_delay_alu instid0(VALU_DEP_1)
	v_cvt_f64_f32_e32 v[2:3], v2
.LBB8_228:
	s_mov_b32 s11, 0
.LBB8_229:
	s_delay_alu instid0(SALU_CYCLE_1)
	s_and_not1_b32 vcc_lo, exec_lo, s11
	s_cbranch_vccnz .LBB8_240
; %bb.230:
	s_cmp_lt_i32 s0, 6
	s_cbranch_scc1 .LBB8_233
; %bb.231:
	s_cmp_gt_i32 s0, 6
	s_cbranch_scc0 .LBB8_234
; %bb.232:
	s_wait_loadcnt 0x0
	global_load_b64 v[2:3], v[0:1], off
	s_mov_b32 s11, 0
	s_branch .LBB8_235
.LBB8_233:
	s_mov_b32 s11, -1
                                        ; implicit-def: $vgpr2_vgpr3
	s_branch .LBB8_238
.LBB8_234:
	s_mov_b32 s11, -1
                                        ; implicit-def: $vgpr2_vgpr3
.LBB8_235:
	s_delay_alu instid0(SALU_CYCLE_1)
	s_and_not1_b32 vcc_lo, exec_lo, s11
	s_cbranch_vccnz .LBB8_237
; %bb.236:
	s_wait_loadcnt 0x0
	global_load_b32 v2, v[0:1], off
	s_wait_loadcnt 0x0
	v_cvt_f64_f32_e32 v[2:3], v2
.LBB8_237:
	s_mov_b32 s11, 0
.LBB8_238:
	s_delay_alu instid0(SALU_CYCLE_1)
	s_and_not1_b32 vcc_lo, exec_lo, s11
	s_cbranch_vccnz .LBB8_240
; %bb.239:
	s_wait_loadcnt 0x0
	global_load_u16 v2, v[0:1], off
	s_wait_loadcnt 0x0
	v_cvt_f32_f16_e32 v2, v2
	s_delay_alu instid0(VALU_DEP_1)
	v_cvt_f64_f32_e32 v[2:3], v2
.LBB8_240:
	s_cbranch_execnz .LBB8_260
.LBB8_241:
	s_cmp_lt_i32 s0, 2
	s_cbranch_scc1 .LBB8_245
; %bb.242:
	s_cmp_lt_i32 s0, 3
	s_cbranch_scc1 .LBB8_246
; %bb.243:
	s_cmp_gt_i32 s0, 3
	s_cbranch_scc0 .LBB8_247
; %bb.244:
	s_wait_loadcnt 0x0
	global_load_b64 v[2:3], v[0:1], off
	s_mov_b32 s11, 0
	s_wait_loadcnt 0x0
	v_cvt_f64_i32_e32 v[4:5], v3
	v_cvt_f64_u32_e32 v[2:3], v2
	s_delay_alu instid0(VALU_DEP_2) | instskip(NEXT) | instid1(VALU_DEP_1)
	v_ldexp_f64 v[4:5], v[4:5], 32
	v_add_f64_e32 v[2:3], v[4:5], v[2:3]
	s_branch .LBB8_248
.LBB8_245:
	s_mov_b32 s11, -1
                                        ; implicit-def: $vgpr2_vgpr3
	s_branch .LBB8_254
.LBB8_246:
	s_mov_b32 s11, -1
                                        ; implicit-def: $vgpr2_vgpr3
	s_branch .LBB8_251
.LBB8_247:
	s_mov_b32 s11, -1
                                        ; implicit-def: $vgpr2_vgpr3
.LBB8_248:
	s_delay_alu instid0(SALU_CYCLE_1)
	s_and_not1_b32 vcc_lo, exec_lo, s11
	s_cbranch_vccnz .LBB8_250
; %bb.249:
	s_wait_loadcnt 0x0
	global_load_b32 v2, v[0:1], off
	s_wait_loadcnt 0x0
	v_cvt_f64_i32_e32 v[2:3], v2
.LBB8_250:
	s_mov_b32 s11, 0
.LBB8_251:
	s_delay_alu instid0(SALU_CYCLE_1)
	s_and_not1_b32 vcc_lo, exec_lo, s11
	s_cbranch_vccnz .LBB8_253
; %bb.252:
	s_wait_loadcnt 0x0
	global_load_i16 v2, v[0:1], off
	s_wait_loadcnt 0x0
	v_cvt_f64_i32_e32 v[2:3], v2
.LBB8_253:
	s_mov_b32 s11, 0
.LBB8_254:
	s_delay_alu instid0(SALU_CYCLE_1)
	s_and_not1_b32 vcc_lo, exec_lo, s11
	s_cbranch_vccnz .LBB8_260
; %bb.255:
	s_cmp_gt_i32 s0, 0
	s_mov_b32 s0, 0
	s_cbranch_scc0 .LBB8_257
; %bb.256:
	s_wait_loadcnt 0x0
	global_load_i8 v2, v[0:1], off
	s_wait_loadcnt 0x0
	v_cvt_f64_i32_e32 v[2:3], v2
	s_branch .LBB8_258
.LBB8_257:
	s_mov_b32 s0, -1
                                        ; implicit-def: $vgpr2_vgpr3
.LBB8_258:
	s_delay_alu instid0(SALU_CYCLE_1)
	s_and_not1_b32 vcc_lo, exec_lo, s0
	s_cbranch_vccnz .LBB8_260
; %bb.259:
	global_load_u8 v0, v[0:1], off
	s_wait_loadcnt 0x0
	v_cvt_f64_u32_e32 v[2:3], v0
.LBB8_260:
	s_branch .LBB8_11
.LBB8_261:
	s_mov_b32 s0, 0
.LBB8_262:
	s_mov_b32 s16, 0
                                        ; implicit-def: $vgpr14
.LBB8_263:
	s_and_b32 s11, s0, exec_lo
	s_and_b32 s13, s13, exec_lo
	s_or_not1_b32 s17, s16, exec_lo
.LBB8_264:
	s_wait_xcnt 0x0
	s_or_b32 exec_lo, exec_lo, s14
	s_mov_b32 s16, 0
	s_mov_b32 s0, 0
                                        ; implicit-def: $vgpr0_vgpr1
                                        ; implicit-def: $vgpr2_vgpr3
	s_and_saveexec_b32 s14, s17
	s_cbranch_execz .LBB8_273
; %bb.265:
	s_mov_b32 s0, -1
	s_mov_b32 s15, s13
	s_mov_b32 s16, s11
	s_mov_b32 s17, exec_lo
	v_cmpx_gt_i32_e64 s12, v14
	s_cbranch_execz .LBB8_539
; %bb.266:
	v_mul_lo_u32 v0, v14, s3
	s_and_b32 s0, 0xffff, s9
	s_delay_alu instid0(SALU_CYCLE_1) | instskip(NEXT) | instid1(VALU_DEP_1)
	s_cmp_lt_i32 s0, 11
	v_ashrrev_i32_e32 v1, 31, v0
	s_delay_alu instid0(VALU_DEP_1)
	v_add_nc_u64_e32 v[0:1], s[6:7], v[0:1]
	s_cbranch_scc1 .LBB8_276
; %bb.267:
	s_cmp_gt_i32 s0, 25
	s_cbranch_scc0 .LBB8_297
; %bb.268:
	s_cmp_gt_i32 s0, 28
	s_cbranch_scc0 .LBB8_299
	;; [unrolled: 3-line block ×4, first 2 shown]
; %bb.271:
	s_cmp_eq_u32 s0, 46
	s_mov_b32 s18, 0
	s_cbranch_scc0 .LBB8_309
; %bb.272:
	s_wait_loadcnt 0x0
	global_load_b32 v2, v[0:1], off
	s_mov_b32 s16, -1
	s_mov_b32 s15, 0
	s_wait_loadcnt 0x0
	v_lshlrev_b32_e32 v2, 16, v2
	s_delay_alu instid0(VALU_DEP_1)
	v_cvt_f64_f32_e32 v[2:3], v2
	s_branch .LBB8_311
.LBB8_273:
	s_or_b32 exec_lo, exec_lo, s14
	s_mov_b32 s12, 0
	s_and_saveexec_b32 s14, s13
	s_cbranch_execnz .LBB8_899
.LBB8_274:
	s_or_b32 exec_lo, exec_lo, s14
	s_and_saveexec_b32 s13, s15
	s_delay_alu instid0(SALU_CYCLE_1)
	s_xor_b32 s13, exec_lo, s13
	s_cbranch_execz .LBB8_900
.LBB8_275:
	s_wait_loadcnt 0x0
	global_load_u8 v2, v[0:1], off
	s_or_b32 s0, s0, exec_lo
	s_wait_loadcnt 0x0
	v_cmp_ne_u16_e32 vcc_lo, 0, v2
	v_mov_b32_e32 v2, 0
	v_cndmask_b32_e64 v3, 0, 0x3ff00000, vcc_lo
	s_wait_xcnt 0x0
	s_or_b32 exec_lo, exec_lo, s13
	s_and_saveexec_b32 s13, s16
	s_cbranch_execz .LBB8_946
	s_branch .LBB8_901
.LBB8_276:
	s_mov_b32 s16, 0
	s_mov_b32 s15, s13
                                        ; implicit-def: $vgpr2_vgpr3
	s_cbranch_execnz .LBB8_488
.LBB8_277:
	s_and_not1_b32 vcc_lo, exec_lo, s16
	s_cbranch_vccnz .LBB8_536
.LBB8_278:
	s_wait_loadcnt 0x0
	s_delay_alu instid0(VALU_DEP_1) | instskip(SKIP_2) | instid1(SALU_CYCLE_1)
	v_cmp_ge_f64_e64 s0, 0x40200000, |v[2:3]|
                                        ; implicit-def: $vgpr0_vgpr1
	s_wait_xcnt 0x0
	s_and_saveexec_b32 s16, s0
	s_xor_b32 s0, exec_lo, s16
	s_cbranch_execz .LBB8_284
; %bb.279:
	v_fma_f64 v[0:1], |v[2:3]|, 0.5, -2.0
	s_mov_b64 s[18:19], 0x3c499f2a0c3c4014
	s_mov_b32 s16, exec_lo
	s_delay_alu instid0(VALU_DEP_1) | instskip(SKIP_1) | instid1(SALU_CYCLE_1)
	v_fmaak_f64 v[4:5], s[18:19], v[0:1], 0xbc7857d0c38a0576
	s_mov_b64 s[18:19], 0x3ff71547652b82fe
	v_mul_f64_e64 v[8:9], |v[2:3]|, s[18:19]
	s_mov_b64 s[18:19], 0xbfe62e42fefa39ef
	s_delay_alu instid0(VALU_DEP_2) | instskip(NEXT) | instid1(VALU_DEP_1)
	v_fmaak_f64 v[6:7], v[0:1], v[4:5], 0xbc499f2a0c3c4014
	v_add_f64_e32 v[6:7], 0x3ca663e3e593bfac, v[6:7]
	s_delay_alu instid0(VALU_DEP_3) | instskip(NEXT) | instid1(VALU_DEP_2)
	v_rndne_f64_e32 v[8:9], v[8:9]
	v_fma_f64 v[4:5], v[0:1], v[6:7], -v[4:5]
	s_delay_alu instid0(VALU_DEP_2) | instskip(SKIP_1) | instid1(VALU_DEP_2)
	v_fma_f64 v[10:11], v[8:9], s[18:19], |v[2:3]|
	s_mov_b64 s[18:19], 0x3e5ade156a5dcb37
	v_add_f64_e32 v[4:5], 0xbcd3eaaa7e0d1573, v[4:5]
	s_delay_alu instid0(VALU_DEP_1) | instskip(NEXT) | instid1(VALU_DEP_1)
	v_fma_f64 v[6:7], v[0:1], v[4:5], -v[6:7]
	v_add_f64_e32 v[6:7], 0x3d011d7f0615290c, v[6:7]
	s_delay_alu instid0(VALU_DEP_1) | instskip(NEXT) | instid1(VALU_DEP_1)
	v_fma_f64 v[4:5], v[0:1], v[6:7], -v[4:5]
	;; [unrolled: 3-line block ×24, first 2 shown]
	v_add_f64_e32 v[4:5], 0xbfc694d10469192e, v[4:5]
	s_delay_alu instid0(VALU_DEP_1) | instskip(SKIP_2) | instid1(VALU_DEP_2)
	v_fma_f64 v[0:1], v[0:1], v[4:5], -v[6:7]
	v_fmamk_f64 v[4:5], v[8:9], 0xbc7abc9e3b39803f, v[10:11]
	v_cvt_i32_f64_e32 v8, v[8:9]
	v_fmaak_f64 v[10:11], s[18:19], v[4:5], 0x3e928af3fca7ab0c
	s_delay_alu instid0(VALU_DEP_1) | instskip(NEXT) | instid1(VALU_DEP_1)
	v_fmaak_f64 v[10:11], v[4:5], v[10:11], 0x3ec71dee623fde64
	v_fmaak_f64 v[10:11], v[4:5], v[10:11], 0x3efa01997c89e6b0
	s_delay_alu instid0(VALU_DEP_1) | instskip(SKIP_1) | instid1(VALU_DEP_2)
	v_fmaak_f64 v[10:11], v[4:5], v[10:11], 0x3f2a01a014761f6e
	v_add_f64_e32 v[0:1], 0x3fd02a63724a7ffa, v[0:1]
	v_fmaak_f64 v[10:11], v[4:5], v[10:11], 0x3f56c16c1852b7b0
	s_delay_alu instid0(VALU_DEP_2) | instskip(NEXT) | instid1(VALU_DEP_2)
	v_add_f64_e64 v[0:1], v[0:1], -v[6:7]
	v_fmaak_f64 v[6:7], v[4:5], v[10:11], 0x3f81111111122322
	s_delay_alu instid0(VALU_DEP_1) | instskip(NEXT) | instid1(VALU_DEP_1)
	v_fmaak_f64 v[6:7], v[4:5], v[6:7], 0x3fa55555555502a1
	v_fmaak_f64 v[6:7], v[4:5], v[6:7], 0x3fc5555555555511
	s_delay_alu instid0(VALU_DEP_1) | instskip(NEXT) | instid1(VALU_DEP_1)
	v_fmaak_f64 v[6:7], v[4:5], v[6:7], 0x3fe000000000000b
	v_fma_f64 v[6:7], v[4:5], v[6:7], 1.0
	v_mul_f64_e32 v[0:1], 0.5, v[0:1]
	s_delay_alu instid0(VALU_DEP_2) | instskip(NEXT) | instid1(VALU_DEP_2)
	v_fma_f64 v[6:7], v[4:5], v[6:7], 1.0
	v_mul_f64_e64 v[4:5], |v[2:3]|, v[0:1]
                                        ; implicit-def: $vgpr0_vgpr1
	v_cmpx_ngt_f64_e32 0, v[2:3]
	s_xor_b32 s16, exec_lo, s16
	s_cbranch_execz .LBB8_281
; %bb.280:
	s_delay_alu instid0(VALU_DEP_3) | instskip(SKIP_1) | instid1(VALU_DEP_2)
	v_ldexp_f64 v[0:1], v[6:7], v8
	v_cmp_nlt_f64_e64 vcc_lo, 0x40900000, |v[2:3]|
                                        ; implicit-def: $vgpr6_vgpr7
                                        ; implicit-def: $vgpr8
                                        ; implicit-def: $vgpr2_vgpr3
	v_cndmask_b32_e32 v1, 0x7ff00000, v1, vcc_lo
	s_delay_alu instid0(VALU_DEP_3) | instskip(NEXT) | instid1(VALU_DEP_1)
	v_cndmask_b32_e32 v0, 0, v0, vcc_lo
	v_mul_f64_e32 v[0:1], v[0:1], v[4:5]
                                        ; implicit-def: $vgpr4_vgpr5
.LBB8_281:
	s_and_not1_saveexec_b32 s16, s16
	s_cbranch_execz .LBB8_283
; %bb.282:
	s_delay_alu instid0(VALU_DEP_3) | instskip(SKIP_1) | instid1(VALU_DEP_2)
	v_ldexp_f64 v[0:1], -v[6:7], v8
	v_cmp_nlt_f64_e64 vcc_lo, 0x40900000, |v[2:3]|
	v_cndmask_b32_e32 v1, 0xfff00000, v1, vcc_lo
	s_delay_alu instid0(VALU_DEP_3) | instskip(NEXT) | instid1(VALU_DEP_1)
	v_cndmask_b32_e32 v0, 0, v0, vcc_lo
	v_mul_f64_e32 v[0:1], v[0:1], v[4:5]
.LBB8_283:
	s_or_b32 exec_lo, exec_lo, s16
                                        ; implicit-def: $vgpr2_vgpr3
.LBB8_284:
	s_and_not1_saveexec_b32 s16, s0
	s_cbranch_execz .LBB8_290
; %bb.285:
	v_and_b32_e32 v1, 0x7fffffff, v3
	v_mov_b32_e32 v0, v2
	s_mov_b64 s[18:19], 0x3c61556db352e8e6
	v_cmp_ngt_f64_e64 s0, 0, v[2:3]
	s_delay_alu instid0(VALU_DEP_2) | instskip(SKIP_1) | instid1(VALU_DEP_2)
	v_div_scale_f64 v[4:5], null, v[0:1], v[0:1], 0x40400000
	v_div_scale_f64 v[0:1], vcc_lo, 0x40400000, v[0:1], 0x40400000
	v_rcp_f64_e32 v[6:7], v[4:5]
	v_nop
	s_delay_alu instid0(TRANS32_DEP_1) | instskip(NEXT) | instid1(VALU_DEP_1)
	v_fma_f64 v[8:9], -v[4:5], v[6:7], 1.0
	v_fmac_f64_e32 v[6:7], v[6:7], v[8:9]
	s_delay_alu instid0(VALU_DEP_1) | instskip(NEXT) | instid1(VALU_DEP_1)
	v_fma_f64 v[8:9], -v[4:5], v[6:7], 1.0
	v_fmac_f64_e32 v[6:7], v[6:7], v[8:9]
	s_delay_alu instid0(VALU_DEP_1) | instskip(NEXT) | instid1(VALU_DEP_1)
	v_mul_f64_e32 v[8:9], v[0:1], v[6:7]
	v_fma_f64 v[0:1], -v[4:5], v[8:9], v[0:1]
	s_delay_alu instid0(VALU_DEP_1) | instskip(SKIP_1) | instid1(VALU_DEP_2)
	v_div_fmas_f64 v[0:1], v[0:1], v[6:7], v[8:9]
	v_cmp_nlt_f64_e64 vcc_lo, 0x40900000, |v[2:3]|
	v_div_fixup_f64 v[0:1], v[0:1], |v[2:3]|, 0x40400000
	s_delay_alu instid0(VALU_DEP_1) | instskip(NEXT) | instid1(VALU_DEP_1)
	v_add_f64_e32 v[0:1], -2.0, v[0:1]
	v_fmaak_f64 v[4:5], s[18:19], v[0:1], 0x3c545b8aea87b950
	s_mov_b64 s[18:19], 0x3ff71547652b82fe
	s_delay_alu instid0(SALU_CYCLE_1) | instskip(SKIP_1) | instid1(VALU_DEP_2)
	v_mul_f64_e64 v[8:9], |v[2:3]|, s[18:19]
	s_mov_b64 s[18:19], 0xbfe62e42fefa39ef
	v_fmaak_f64 v[6:7], v[0:1], v[4:5], 0xbc61556db352e8e6
	s_delay_alu instid0(VALU_DEP_1) | instskip(NEXT) | instid1(VALU_DEP_3)
	v_add_f64_e32 v[6:7], 0xbc8acea3b2532277, v[6:7]
	v_rndne_f64_e32 v[8:9], v[8:9]
	s_delay_alu instid0(VALU_DEP_2) | instskip(NEXT) | instid1(VALU_DEP_2)
	v_fma_f64 v[4:5], v[0:1], v[6:7], -v[4:5]
	v_fma_f64 v[10:11], v[8:9], s[18:19], |v[2:3]|
	s_mov_b64 s[18:19], 0x3e5ade156a5dcb37
	s_delay_alu instid0(VALU_DEP_2) | instskip(NEXT) | instid1(VALU_DEP_2)
	v_add_f64_e32 v[4:5], 0xbc82806c9c773320, v[4:5]
	v_fmamk_f64 v[10:11], v[8:9], 0xbc7abc9e3b39803f, v[10:11]
	v_cvt_i32_f64_e32 v8, v[8:9]
	s_delay_alu instid0(VALU_DEP_2) | instskip(NEXT) | instid1(VALU_DEP_4)
	v_fmaak_f64 v[12:13], s[18:19], v[10:11], 0x3e928af3fca7ab0c
	v_fma_f64 v[6:7], v[0:1], v[4:5], -v[6:7]
	s_delay_alu instid0(VALU_DEP_2) | instskip(NEXT) | instid1(VALU_DEP_1)
	v_fmaak_f64 v[12:13], v[10:11], v[12:13], 0x3ec71dee623fde64
	v_fmaak_f64 v[12:13], v[10:11], v[12:13], 0x3efa01997c89e6b0
	s_delay_alu instid0(VALU_DEP_1) | instskip(NEXT) | instid1(VALU_DEP_1)
	v_fmaak_f64 v[12:13], v[10:11], v[12:13], 0x3f2a01a014761f6e
	v_fmaak_f64 v[12:13], v[10:11], v[12:13], 0x3f56c16c1852b7b0
	s_delay_alu instid0(VALU_DEP_1) | instskip(SKIP_1) | instid1(VALU_DEP_2)
	v_fmaak_f64 v[12:13], v[10:11], v[12:13], 0x3f81111111122322
	v_add_f64_e32 v[6:7], 0x3cb55915fceb588a, v[6:7]
	v_fmaak_f64 v[12:13], v[10:11], v[12:13], 0x3fa55555555502a1
	s_delay_alu instid0(VALU_DEP_1) | instskip(NEXT) | instid1(VALU_DEP_1)
	v_fmaak_f64 v[12:13], v[10:11], v[12:13], 0x3fc5555555555511
	v_fmaak_f64 v[12:13], v[10:11], v[12:13], 0x3fe000000000000b
	s_delay_alu instid0(VALU_DEP_1) | instskip(SKIP_1) | instid1(VALU_DEP_1)
	v_fma_f64 v[12:13], v[10:11], v[12:13], 1.0
	v_fma_f64 v[4:5], v[0:1], v[6:7], -v[4:5]
	v_add_f64_e32 v[4:5], 0x3cb7d68e5f04a2d1, v[4:5]
	s_delay_alu instid0(VALU_DEP_1) | instskip(NEXT) | instid1(VALU_DEP_1)
	v_fma_f64 v[6:7], v[0:1], v[4:5], -v[6:7]
	v_add_f64_e32 v[6:7], 0xbce0efcd8bc4d22a, v[6:7]
	s_delay_alu instid0(VALU_DEP_1) | instskip(NEXT) | instid1(VALU_DEP_1)
	;; [unrolled: 3-line block ×18, first 2 shown]
	v_fma_f64 v[4:5], v[0:1], v[6:7], -v[4:5]
	v_add_f64_e32 v[4:5], 0xbf83fda053fcdb4c, v[4:5]
	s_delay_alu instid0(VALU_DEP_1) | instskip(SKIP_1) | instid1(VALU_DEP_2)
	v_fma_f64 v[0:1], v[0:1], v[4:5], -v[6:7]
	v_fma_f64 v[4:5], v[10:11], v[12:13], 1.0
	v_add_f64_e32 v[0:1], 0x3fe8ea18b55b1514, v[0:1]
	s_delay_alu instid0(VALU_DEP_2) | instskip(NEXT) | instid1(VALU_DEP_2)
	v_ldexp_f64 v[4:5], v[4:5], v8
	v_add_f64_e64 v[6:7], v[0:1], -v[6:7]
	s_delay_alu instid0(VALU_DEP_2) | instskip(NEXT) | instid1(VALU_DEP_3)
	v_cndmask_b32_e32 v5, 0x7ff00000, v5, vcc_lo
	v_cndmask_b32_e32 v4, 0, v4, vcc_lo
                                        ; implicit-def: $vgpr0_vgpr1
	s_and_saveexec_b32 s18, s0
	s_delay_alu instid0(SALU_CYCLE_1)
	s_xor_b32 s0, exec_lo, s18
	s_cbranch_execz .LBB8_287
; %bb.286:
	v_cmp_gt_f64_e64 s18, 0x10000000, |v[2:3]|
	s_delay_alu instid0(VALU_DEP_1) | instskip(NEXT) | instid1(VALU_DEP_1)
	v_cndmask_b32_e64 v0, 0, 0x100, s18
	v_ldexp_f64 v[0:1], |v[2:3]|, v0
	s_delay_alu instid0(VALU_DEP_1) | instskip(SKIP_1) | instid1(TRANS32_DEP_1)
	v_rsq_f64_e32 v[2:3], v[0:1]
	v_cmp_class_f64_e64 vcc_lo, v[0:1], 0x260
	v_mul_f64_e32 v[8:9], v[0:1], v[2:3]
	v_mul_f64_e32 v[2:3], 0.5, v[2:3]
	s_delay_alu instid0(VALU_DEP_1) | instskip(NEXT) | instid1(VALU_DEP_1)
	v_fma_f64 v[10:11], -v[2:3], v[8:9], 0.5
	v_fmac_f64_e32 v[8:9], v[8:9], v[10:11]
	v_fmac_f64_e32 v[2:3], v[2:3], v[10:11]
	s_delay_alu instid0(VALU_DEP_2) | instskip(NEXT) | instid1(VALU_DEP_1)
	v_fma_f64 v[10:11], -v[8:9], v[8:9], v[0:1]
	v_fmac_f64_e32 v[8:9], v[10:11], v[2:3]
	s_delay_alu instid0(VALU_DEP_1) | instskip(NEXT) | instid1(VALU_DEP_1)
	v_fma_f64 v[10:11], -v[8:9], v[8:9], v[0:1]
	v_fmac_f64_e32 v[8:9], v[10:11], v[2:3]
	v_mul_f64_e32 v[2:3], 0.5, v[6:7]
	v_cndmask_b32_e64 v6, 0, 0xffffff80, s18
	s_delay_alu instid0(VALU_DEP_1) | instskip(NEXT) | instid1(VALU_DEP_1)
	v_ldexp_f64 v[6:7], v[8:9], v6
	v_dual_mul_f64 v[2:3], v[4:5], v[2:3] :: v_dual_cndmask_b32 v1, v7, v1, vcc_lo
	s_delay_alu instid0(VALU_DEP_2) | instskip(NEXT) | instid1(VALU_DEP_1)
	v_cndmask_b32_e32 v0, v6, v0, vcc_lo
	v_div_scale_f64 v[4:5], null, v[0:1], v[0:1], v[2:3]
	s_delay_alu instid0(VALU_DEP_1) | instskip(SKIP_1) | instid1(TRANS32_DEP_1)
	v_rcp_f64_e32 v[6:7], v[4:5]
	v_nop
	v_fma_f64 v[8:9], -v[4:5], v[6:7], 1.0
	s_delay_alu instid0(VALU_DEP_1) | instskip(NEXT) | instid1(VALU_DEP_1)
	v_fmac_f64_e32 v[6:7], v[6:7], v[8:9]
	v_fma_f64 v[8:9], -v[4:5], v[6:7], 1.0
	s_delay_alu instid0(VALU_DEP_1) | instskip(SKIP_1) | instid1(VALU_DEP_1)
	v_fmac_f64_e32 v[6:7], v[6:7], v[8:9]
	v_div_scale_f64 v[8:9], vcc_lo, v[2:3], v[0:1], v[2:3]
	v_mul_f64_e32 v[10:11], v[8:9], v[6:7]
	s_delay_alu instid0(VALU_DEP_1) | instskip(NEXT) | instid1(VALU_DEP_1)
	v_fma_f64 v[4:5], -v[4:5], v[10:11], v[8:9]
	v_div_fmas_f64 v[4:5], v[4:5], v[6:7], v[10:11]
                                        ; implicit-def: $vgpr6_vgpr7
	s_delay_alu instid0(VALU_DEP_1)
	v_div_fixup_f64 v[0:1], v[4:5], v[0:1], v[2:3]
                                        ; implicit-def: $vgpr2_vgpr3
                                        ; implicit-def: $vgpr4_vgpr5
.LBB8_287:
	s_and_not1_saveexec_b32 s0, s0
	s_cbranch_execz .LBB8_289
; %bb.288:
	v_cmp_gt_f64_e64 s18, 0x10000000, |v[2:3]|
	s_delay_alu instid0(VALU_DEP_1) | instskip(NEXT) | instid1(VALU_DEP_1)
	v_cndmask_b32_e64 v0, 0, 0x100, s18
	v_ldexp_f64 v[0:1], |v[2:3]|, v0
	s_delay_alu instid0(VALU_DEP_1) | instskip(SKIP_1) | instid1(TRANS32_DEP_1)
	v_rsq_f64_e32 v[2:3], v[0:1]
	v_cmp_class_f64_e64 vcc_lo, v[0:1], 0x260
	v_mul_f64_e32 v[8:9], v[0:1], v[2:3]
	v_mul_f64_e32 v[2:3], 0.5, v[2:3]
	s_delay_alu instid0(VALU_DEP_1) | instskip(NEXT) | instid1(VALU_DEP_1)
	v_fma_f64 v[10:11], -v[2:3], v[8:9], 0.5
	v_fmac_f64_e32 v[8:9], v[8:9], v[10:11]
	v_fmac_f64_e32 v[2:3], v[2:3], v[10:11]
	s_delay_alu instid0(VALU_DEP_2) | instskip(NEXT) | instid1(VALU_DEP_1)
	v_fma_f64 v[10:11], -v[8:9], v[8:9], v[0:1]
	v_fmac_f64_e32 v[8:9], v[10:11], v[2:3]
	s_delay_alu instid0(VALU_DEP_1) | instskip(NEXT) | instid1(VALU_DEP_1)
	v_fma_f64 v[10:11], -v[8:9], v[8:9], v[0:1]
	v_fmac_f64_e32 v[8:9], v[10:11], v[2:3]
	v_mul_f64_e32 v[2:3], -0.5, v[6:7]
	v_cndmask_b32_e64 v6, 0, 0xffffff80, s18
	s_delay_alu instid0(VALU_DEP_1) | instskip(NEXT) | instid1(VALU_DEP_1)
	v_ldexp_f64 v[6:7], v[8:9], v6
	v_dual_mul_f64 v[2:3], v[4:5], v[2:3] :: v_dual_cndmask_b32 v1, v7, v1, vcc_lo
	s_delay_alu instid0(VALU_DEP_2) | instskip(NEXT) | instid1(VALU_DEP_1)
	v_cndmask_b32_e32 v0, v6, v0, vcc_lo
	v_div_scale_f64 v[4:5], null, v[0:1], v[0:1], v[2:3]
	s_delay_alu instid0(VALU_DEP_1) | instskip(SKIP_1) | instid1(TRANS32_DEP_1)
	v_rcp_f64_e32 v[6:7], v[4:5]
	v_nop
	v_fma_f64 v[8:9], -v[4:5], v[6:7], 1.0
	s_delay_alu instid0(VALU_DEP_1) | instskip(NEXT) | instid1(VALU_DEP_1)
	v_fmac_f64_e32 v[6:7], v[6:7], v[8:9]
	v_fma_f64 v[8:9], -v[4:5], v[6:7], 1.0
	s_delay_alu instid0(VALU_DEP_1) | instskip(SKIP_1) | instid1(VALU_DEP_1)
	v_fmac_f64_e32 v[6:7], v[6:7], v[8:9]
	v_div_scale_f64 v[8:9], vcc_lo, v[2:3], v[0:1], v[2:3]
	v_mul_f64_e32 v[10:11], v[8:9], v[6:7]
	s_delay_alu instid0(VALU_DEP_1) | instskip(NEXT) | instid1(VALU_DEP_1)
	v_fma_f64 v[4:5], -v[4:5], v[10:11], v[8:9]
	v_div_fmas_f64 v[4:5], v[4:5], v[6:7], v[10:11]
	s_delay_alu instid0(VALU_DEP_1)
	v_div_fixup_f64 v[0:1], v[4:5], v[0:1], v[2:3]
.LBB8_289:
	s_or_b32 exec_lo, exec_lo, s0
.LBB8_290:
	s_delay_alu instid0(SALU_CYCLE_1) | instskip(SKIP_2) | instid1(SALU_CYCLE_1)
	s_or_b32 exec_lo, exec_lo, s16
	v_mul_lo_u32 v2, v14, s2
	s_and_b32 s16, s8, 0xff
	s_cmp_lt_i32 s16, 11
	s_delay_alu instid0(VALU_DEP_1) | instskip(NEXT) | instid1(VALU_DEP_1)
	v_ashrrev_i32_e32 v3, 31, v2
	v_add_nc_u64_e32 v[4:5], s[4:5], v[2:3]
	s_cbranch_scc1 .LBB8_298
; %bb.291:
	s_and_b32 s18, 0xffff, s16
	s_delay_alu instid0(SALU_CYCLE_1)
	s_cmp_gt_i32 s18, 25
	s_cbranch_scc0 .LBB8_300
; %bb.292:
	s_cmp_gt_i32 s18, 28
	s_cbranch_scc0 .LBB8_302
; %bb.293:
	;; [unrolled: 3-line block ×4, first 2 shown]
	s_mov_b32 s20, 0
	s_mov_b32 s0, -1
	s_cmp_eq_u32 s18, 46
	s_mov_b32 s19, 0
	s_cbranch_scc0 .LBB8_315
; %bb.296:
	s_delay_alu instid0(VALU_DEP_4) | instskip(SKIP_2) | instid1(VALU_DEP_1)
	v_cvt_f32_f64_e32 v2, v[0:1]
	s_mov_b32 s19, -1
	s_mov_b32 s0, 0
	v_bfe_u32 v3, v2, 16, 1
	v_cmp_o_f32_e32 vcc_lo, v2, v2
	s_delay_alu instid0(VALU_DEP_2) | instskip(NEXT) | instid1(VALU_DEP_1)
	v_add3_u32 v3, v2, v3, 0x7fff
	v_lshrrev_b32_e32 v3, 16, v3
	s_delay_alu instid0(VALU_DEP_1)
	v_cndmask_b32_e32 v2, 0x7fc0, v3, vcc_lo
	global_store_b32 v[4:5], v2, off
	s_branch .LBB8_315
.LBB8_297:
	s_mov_b32 s18, -1
	s_mov_b32 s16, 0
	s_mov_b32 s15, s13
                                        ; implicit-def: $vgpr2_vgpr3
	s_branch .LBB8_452
.LBB8_298:
	s_mov_b32 s18, -1
	s_mov_b32 s19, 0
	s_mov_b32 s0, s11
	s_branch .LBB8_384
.LBB8_299:
	s_mov_b32 s18, -1
	s_mov_b32 s16, 0
	s_mov_b32 s15, s13
                                        ; implicit-def: $vgpr2_vgpr3
	s_branch .LBB8_433
.LBB8_300:
	s_mov_b32 s20, -1
	s_mov_b32 s19, 0
	s_mov_b32 s0, s11
	s_branch .LBB8_342
.LBB8_301:
	s_mov_b32 s18, -1
	s_mov_b32 s16, 0
	s_mov_b32 s15, s13
                                        ; implicit-def: $vgpr2_vgpr3
	s_branch .LBB8_428
.LBB8_302:
	s_mov_b32 s20, -1
	s_mov_b32 s19, 0
	s_mov_b32 s0, s11
	s_branch .LBB8_325
.LBB8_303:
	s_and_not1_saveexec_b32 s19, s19
	s_cbranch_execz .LBB8_66
.LBB8_304:
	v_add_f32_e64 v3, 0x46000000, |v2|
	s_and_not1_b32 s18, s18, exec_lo
	s_delay_alu instid0(VALU_DEP_1) | instskip(NEXT) | instid1(VALU_DEP_1)
	v_and_b32_e32 v3, 0xff, v3
	v_cmp_ne_u32_e32 vcc_lo, 0, v3
	s_and_b32 s20, vcc_lo, exec_lo
	s_delay_alu instid0(SALU_CYCLE_1)
	s_or_b32 s18, s18, s20
	s_or_b32 exec_lo, exec_lo, s19
	v_mov_b32_e32 v6, 0
	s_and_saveexec_b32 s19, s18
	s_cbranch_execnz .LBB8_67
	s_branch .LBB8_68
.LBB8_305:
	s_mov_b32 s18, -1
	s_mov_b32 s16, 0
	s_mov_b32 s15, s13
	s_branch .LBB8_310
.LBB8_306:
	s_mov_b32 s20, -1
	s_mov_b32 s19, 0
	s_mov_b32 s0, s11
	s_branch .LBB8_321
.LBB8_307:
	s_and_not1_saveexec_b32 s19, s19
	s_cbranch_execz .LBB8_79
.LBB8_308:
	v_add_f32_e64 v3, 0x42800000, |v2|
	s_and_not1_b32 s18, s18, exec_lo
	s_delay_alu instid0(VALU_DEP_1) | instskip(NEXT) | instid1(VALU_DEP_1)
	v_and_b32_e32 v3, 0xff, v3
	v_cmp_ne_u32_e32 vcc_lo, 0, v3
	s_and_b32 s20, vcc_lo, exec_lo
	s_delay_alu instid0(SALU_CYCLE_1)
	s_or_b32 s18, s18, s20
	s_or_b32 exec_lo, exec_lo, s19
	v_mov_b32_e32 v6, 0
	s_and_saveexec_b32 s19, s18
	s_cbranch_execnz .LBB8_80
	s_branch .LBB8_81
.LBB8_309:
	s_mov_b32 s15, -1
	s_mov_b32 s16, 0
.LBB8_310:
                                        ; implicit-def: $vgpr2_vgpr3
.LBB8_311:
	s_and_b32 vcc_lo, exec_lo, s18
	s_cbranch_vccz .LBB8_427
; %bb.312:
	s_cmp_eq_u32 s0, 44
	s_cbranch_scc0 .LBB8_426
; %bb.313:
	global_load_u8 v4, v[0:1], off
	s_mov_b32 s15, 0
	s_mov_b32 s16, -1
	s_wait_loadcnt 0x0
	v_cmp_ne_u32_e32 vcc_lo, 0xff, v4
	v_lshlrev_b32_e32 v2, 23, v4
	s_delay_alu instid0(VALU_DEP_1) | instskip(NEXT) | instid1(VALU_DEP_1)
	v_cvt_f64_f32_e32 v[2:3], v2
	v_cndmask_b32_e32 v2, 0x20000000, v2, vcc_lo
	s_delay_alu instid0(VALU_DEP_2) | instskip(SKIP_1) | instid1(VALU_DEP_2)
	v_cndmask_b32_e32 v3, 0x7ff80000, v3, vcc_lo
	v_cmp_ne_u32_e32 vcc_lo, 0, v4
	v_cndmask_b32_e32 v3, 0x38000000, v3, vcc_lo
	s_delay_alu instid0(VALU_DEP_4)
	v_cndmask_b32_e32 v2, 0, v2, vcc_lo
	s_branch .LBB8_427
.LBB8_314:
	s_mov_b32 s20, -1
	s_mov_b32 s19, 0
	s_mov_b32 s0, s11
.LBB8_315:
	s_and_b32 vcc_lo, exec_lo, s20
	s_cbranch_vccz .LBB8_320
; %bb.316:
	s_cmp_eq_u32 s18, 44
	s_mov_b32 s0, -1
	s_cbranch_scc0 .LBB8_320
; %bb.317:
	s_wait_xcnt 0x0
	s_delay_alu instid0(VALU_DEP_4) | instskip(SKIP_2) | instid1(VALU_DEP_2)
	v_cvt_f32_f64_e32 v2, v[0:1]
	v_mov_b32_e32 v3, 0xff
	s_mov_b32 s19, exec_lo
	v_bfe_u32 v6, v2, 23, 8
	s_delay_alu instid0(VALU_DEP_1)
	v_cmpx_ne_u32_e32 0xff, v6
	s_cbranch_execz .LBB8_319
; %bb.318:
	v_and_b32_e32 v3, 0x400000, v2
	v_and_or_b32 v6, 0x3fffff, v2, v6
	v_lshrrev_b32_e32 v2, 23, v2
	s_delay_alu instid0(VALU_DEP_3) | instskip(NEXT) | instid1(VALU_DEP_3)
	v_cmp_ne_u32_e32 vcc_lo, 0, v3
	v_cmp_ne_u32_e64 s0, 0, v6
	s_and_b32 s0, vcc_lo, s0
	s_delay_alu instid0(SALU_CYCLE_1) | instskip(NEXT) | instid1(VALU_DEP_1)
	v_cndmask_b32_e64 v3, 0, 1, s0
	v_add_nc_u32_e32 v3, v2, v3
.LBB8_319:
	s_or_b32 exec_lo, exec_lo, s19
	s_mov_b32 s19, -1
	s_mov_b32 s0, 0
	global_store_b8 v[4:5], v3, off
.LBB8_320:
	s_mov_b32 s20, 0
.LBB8_321:
	s_delay_alu instid0(SALU_CYCLE_1)
	s_and_b32 vcc_lo, exec_lo, s20
	s_cbranch_vccz .LBB8_324
; %bb.322:
	s_cmp_eq_u32 s18, 29
	s_mov_b32 s0, -1
	s_cbranch_scc0 .LBB8_324
; %bb.323:
	s_wait_xcnt 0x0
	s_delay_alu instid0(VALU_DEP_4) | instskip(SKIP_3) | instid1(VALU_DEP_1)
	v_trunc_f64_e32 v[2:3], v[0:1]
	s_mov_b32 s19, -1
	s_mov_b32 s0, 0
	s_mov_b32 s20, 0
	v_ldexp_f64 v[6:7], v[2:3], 0xffffffe0
	s_delay_alu instid0(VALU_DEP_1) | instskip(NEXT) | instid1(VALU_DEP_1)
	v_floor_f64_e32 v[6:7], v[6:7]
	v_fmamk_f64 v[2:3], v[6:7], 0xc1f00000, v[2:3]
	v_cvt_u32_f64_e32 v7, v[6:7]
	s_delay_alu instid0(VALU_DEP_2)
	v_cvt_u32_f64_e32 v6, v[2:3]
	global_store_b64 v[4:5], v[6:7], off
	s_branch .LBB8_325
.LBB8_324:
	s_mov_b32 s20, 0
.LBB8_325:
	s_delay_alu instid0(SALU_CYCLE_1)
	s_and_b32 vcc_lo, exec_lo, s20
	s_cbranch_vccz .LBB8_341
; %bb.326:
	s_cmp_lt_i32 s18, 27
	s_mov_b32 s19, -1
	s_cbranch_scc1 .LBB8_332
; %bb.327:
	s_wait_xcnt 0x0
	s_delay_alu instid0(VALU_DEP_4)
	v_cvt_u32_f64_e32 v2, v[0:1]
	s_cmp_gt_i32 s18, 27
	s_cbranch_scc0 .LBB8_329
; %bb.328:
	s_mov_b32 s19, 0
	global_store_b32 v[4:5], v2, off
.LBB8_329:
	s_and_not1_b32 vcc_lo, exec_lo, s19
	s_cbranch_vccnz .LBB8_331
; %bb.330:
	global_store_b16 v[4:5], v2, off
.LBB8_331:
	s_mov_b32 s19, 0
.LBB8_332:
	s_delay_alu instid0(SALU_CYCLE_1)
	s_and_not1_b32 vcc_lo, exec_lo, s19
	s_cbranch_vccnz .LBB8_340
; %bb.333:
	s_wait_xcnt 0x0
	s_delay_alu instid0(VALU_DEP_4) | instskip(SKIP_2) | instid1(VALU_DEP_2)
	v_cvt_f32_f64_e32 v2, v[0:1]
	v_mov_b32_e32 v6, 0x80
	s_mov_b32 s19, exec_lo
	v_and_b32_e32 v3, 0x7fffffff, v2
	s_delay_alu instid0(VALU_DEP_1)
	v_cmpx_gt_u32_e32 0x43800000, v3
	s_cbranch_execz .LBB8_339
; %bb.334:
	v_cmp_lt_u32_e32 vcc_lo, 0x3bffffff, v3
	s_mov_b32 s20, 0
                                        ; implicit-def: $vgpr3
	s_and_saveexec_b32 s21, vcc_lo
	s_delay_alu instid0(SALU_CYCLE_1)
	s_xor_b32 s21, exec_lo, s21
	s_cbranch_execz .LBB8_552
; %bb.335:
	v_bfe_u32 v3, v2, 20, 1
	s_mov_b32 s20, exec_lo
	s_delay_alu instid0(VALU_DEP_1) | instskip(NEXT) | instid1(VALU_DEP_1)
	v_add3_u32 v3, v2, v3, 0x487ffff
	v_lshrrev_b32_e32 v3, 20, v3
	s_and_not1_saveexec_b32 s21, s21
	s_cbranch_execnz .LBB8_553
.LBB8_336:
	s_or_b32 exec_lo, exec_lo, s21
	v_mov_b32_e32 v6, 0
	s_and_saveexec_b32 s21, s20
.LBB8_337:
	v_lshrrev_b32_e32 v2, 24, v2
	s_delay_alu instid0(VALU_DEP_1)
	v_and_or_b32 v6, 0x80, v2, v3
.LBB8_338:
	s_or_b32 exec_lo, exec_lo, s21
.LBB8_339:
	s_delay_alu instid0(SALU_CYCLE_1)
	s_or_b32 exec_lo, exec_lo, s19
	global_store_b8 v[4:5], v6, off
.LBB8_340:
	s_mov_b32 s19, -1
.LBB8_341:
	s_mov_b32 s20, 0
.LBB8_342:
	s_delay_alu instid0(SALU_CYCLE_1)
	s_and_b32 vcc_lo, exec_lo, s20
	s_cbranch_vccz .LBB8_383
; %bb.343:
	s_cmp_gt_i32 s18, 22
	s_mov_b32 s20, -1
	s_cbranch_scc0 .LBB8_375
; %bb.344:
	s_cmp_lt_i32 s18, 24
	s_mov_b32 s19, -1
	s_cbranch_scc1 .LBB8_364
; %bb.345:
	s_cmp_gt_i32 s18, 24
	s_cbranch_scc0 .LBB8_353
; %bb.346:
	s_wait_xcnt 0x0
	s_delay_alu instid0(VALU_DEP_4) | instskip(SKIP_2) | instid1(VALU_DEP_2)
	v_cvt_f32_f64_e32 v2, v[0:1]
	v_mov_b32_e32 v6, 0x80
	s_mov_b32 s19, exec_lo
	v_and_b32_e32 v3, 0x7fffffff, v2
	s_delay_alu instid0(VALU_DEP_1)
	v_cmpx_gt_u32_e32 0x47800000, v3
	s_cbranch_execz .LBB8_352
; %bb.347:
	v_cmp_lt_u32_e32 vcc_lo, 0x37ffffff, v3
	s_mov_b32 s20, 0
                                        ; implicit-def: $vgpr3
	s_and_saveexec_b32 s21, vcc_lo
	s_delay_alu instid0(SALU_CYCLE_1)
	s_xor_b32 s21, exec_lo, s21
	s_cbranch_execz .LBB8_555
; %bb.348:
	v_bfe_u32 v3, v2, 21, 1
	s_mov_b32 s20, exec_lo
	s_delay_alu instid0(VALU_DEP_1) | instskip(NEXT) | instid1(VALU_DEP_1)
	v_add3_u32 v3, v2, v3, 0x88fffff
	v_lshrrev_b32_e32 v3, 21, v3
	s_and_not1_saveexec_b32 s21, s21
	s_cbranch_execnz .LBB8_556
.LBB8_349:
	s_or_b32 exec_lo, exec_lo, s21
	v_mov_b32_e32 v6, 0
	s_and_saveexec_b32 s21, s20
.LBB8_350:
	v_lshrrev_b32_e32 v2, 24, v2
	s_delay_alu instid0(VALU_DEP_1)
	v_and_or_b32 v6, 0x80, v2, v3
.LBB8_351:
	s_or_b32 exec_lo, exec_lo, s21
.LBB8_352:
	s_delay_alu instid0(SALU_CYCLE_1)
	s_or_b32 exec_lo, exec_lo, s19
	s_mov_b32 s19, 0
	global_store_b8 v[4:5], v6, off
.LBB8_353:
	s_and_b32 vcc_lo, exec_lo, s19
	s_cbranch_vccz .LBB8_363
; %bb.354:
	s_wait_xcnt 0x0
	s_delay_alu instid0(VALU_DEP_4) | instskip(SKIP_1) | instid1(VALU_DEP_1)
	v_cvt_f32_f64_e32 v2, v[0:1]
	s_mov_b32 s19, exec_lo
                                        ; implicit-def: $vgpr3
	v_and_b32_e32 v6, 0x7fffffff, v2
	s_delay_alu instid0(VALU_DEP_1)
	v_cmpx_gt_u32_e32 0x43f00000, v6
	s_xor_b32 s19, exec_lo, s19
	s_cbranch_execz .LBB8_360
; %bb.355:
	s_mov_b32 s20, exec_lo
                                        ; implicit-def: $vgpr3
	v_cmpx_lt_u32_e32 0x3c7fffff, v6
	s_xor_b32 s20, exec_lo, s20
; %bb.356:
	v_bfe_u32 v3, v2, 20, 1
	s_delay_alu instid0(VALU_DEP_1) | instskip(NEXT) | instid1(VALU_DEP_1)
	v_add3_u32 v3, v2, v3, 0x407ffff
	v_and_b32_e32 v6, 0xff00000, v3
	v_lshrrev_b32_e32 v3, 20, v3
	s_delay_alu instid0(VALU_DEP_2) | instskip(NEXT) | instid1(VALU_DEP_2)
	v_cmp_ne_u32_e32 vcc_lo, 0x7f00000, v6
	v_cndmask_b32_e32 v3, 0x7e, v3, vcc_lo
; %bb.357:
	s_and_not1_saveexec_b32 s20, s20
; %bb.358:
	v_add_f32_e64 v3, 0x46800000, |v2|
; %bb.359:
	s_or_b32 exec_lo, exec_lo, s20
                                        ; implicit-def: $vgpr6
.LBB8_360:
	s_and_not1_saveexec_b32 s19, s19
; %bb.361:
	v_mov_b32_e32 v3, 0x7f
	v_cmp_lt_u32_e32 vcc_lo, 0x7f800000, v6
	s_delay_alu instid0(VALU_DEP_2)
	v_cndmask_b32_e32 v3, 0x7e, v3, vcc_lo
; %bb.362:
	s_or_b32 exec_lo, exec_lo, s19
	v_lshrrev_b32_e32 v2, 24, v2
	s_delay_alu instid0(VALU_DEP_1)
	v_and_or_b32 v2, 0x80, v2, v3
	global_store_b8 v[4:5], v2, off
.LBB8_363:
	s_mov_b32 s19, 0
.LBB8_364:
	s_delay_alu instid0(SALU_CYCLE_1)
	s_and_not1_b32 vcc_lo, exec_lo, s19
	s_cbranch_vccnz .LBB8_374
; %bb.365:
	s_wait_xcnt 0x0
	s_delay_alu instid0(VALU_DEP_4) | instskip(SKIP_1) | instid1(VALU_DEP_1)
	v_cvt_f32_f64_e32 v2, v[0:1]
	s_mov_b32 s19, exec_lo
                                        ; implicit-def: $vgpr3
	v_and_b32_e32 v6, 0x7fffffff, v2
	s_delay_alu instid0(VALU_DEP_1)
	v_cmpx_gt_u32_e32 0x47800000, v6
	s_xor_b32 s19, exec_lo, s19
	s_cbranch_execz .LBB8_371
; %bb.366:
	s_mov_b32 s20, exec_lo
                                        ; implicit-def: $vgpr3
	v_cmpx_lt_u32_e32 0x387fffff, v6
	s_xor_b32 s20, exec_lo, s20
; %bb.367:
	v_bfe_u32 v3, v2, 21, 1
	s_delay_alu instid0(VALU_DEP_1) | instskip(NEXT) | instid1(VALU_DEP_1)
	v_add3_u32 v3, v2, v3, 0x80fffff
	v_lshrrev_b32_e32 v3, 21, v3
; %bb.368:
	s_and_not1_saveexec_b32 s20, s20
; %bb.369:
	v_add_f32_e64 v3, 0x43000000, |v2|
; %bb.370:
	s_or_b32 exec_lo, exec_lo, s20
                                        ; implicit-def: $vgpr6
.LBB8_371:
	s_and_not1_saveexec_b32 s19, s19
; %bb.372:
	v_mov_b32_e32 v3, 0x7f
	v_cmp_lt_u32_e32 vcc_lo, 0x7f800000, v6
	s_delay_alu instid0(VALU_DEP_2)
	v_cndmask_b32_e32 v3, 0x7c, v3, vcc_lo
; %bb.373:
	s_or_b32 exec_lo, exec_lo, s19
	v_lshrrev_b32_e32 v2, 24, v2
	s_delay_alu instid0(VALU_DEP_1)
	v_and_or_b32 v2, 0x80, v2, v3
	global_store_b8 v[4:5], v2, off
.LBB8_374:
	s_mov_b32 s20, 0
	s_mov_b32 s19, -1
.LBB8_375:
	s_and_not1_b32 vcc_lo, exec_lo, s20
	s_cbranch_vccnz .LBB8_383
; %bb.376:
	s_cmp_gt_i32 s18, 14
	s_mov_b32 s20, -1
	s_cbranch_scc0 .LBB8_380
; %bb.377:
	s_cmp_eq_u32 s18, 15
	s_mov_b32 s0, -1
	s_cbranch_scc0 .LBB8_379
; %bb.378:
	s_wait_xcnt 0x0
	s_delay_alu instid0(VALU_DEP_4) | instskip(SKIP_2) | instid1(VALU_DEP_1)
	v_cvt_f32_f64_e32 v2, v[0:1]
	s_mov_b32 s19, -1
	s_mov_b32 s0, 0
	v_bfe_u32 v3, v2, 16, 1
	v_cmp_o_f32_e32 vcc_lo, v2, v2
	s_delay_alu instid0(VALU_DEP_2) | instskip(NEXT) | instid1(VALU_DEP_1)
	v_add3_u32 v3, v2, v3, 0x7fff
	v_lshrrev_b32_e32 v3, 16, v3
	s_delay_alu instid0(VALU_DEP_1)
	v_cndmask_b32_e32 v2, 0x7fc0, v3, vcc_lo
	global_store_b16 v[4:5], v2, off
.LBB8_379:
	s_mov_b32 s20, 0
.LBB8_380:
	s_delay_alu instid0(SALU_CYCLE_1)
	s_and_b32 vcc_lo, exec_lo, s20
	s_cbranch_vccz .LBB8_383
; %bb.381:
	s_cmp_eq_u32 s18, 11
	s_mov_b32 s0, -1
	s_cbranch_scc0 .LBB8_383
; %bb.382:
	s_delay_alu instid0(VALU_DEP_4)
	v_cmp_neq_f64_e32 vcc_lo, 0, v[0:1]
	s_mov_b32 s19, -1
	s_mov_b32 s0, 0
	s_wait_xcnt 0x0
	v_cndmask_b32_e64 v2, 0, 1, vcc_lo
	global_store_b8 v[4:5], v2, off
.LBB8_383:
	s_mov_b32 s18, 0
.LBB8_384:
	s_delay_alu instid0(SALU_CYCLE_1)
	s_and_b32 vcc_lo, exec_lo, s18
	s_cbranch_vccz .LBB8_423
; %bb.385:
	s_and_b32 s16, 0xffff, s16
	s_mov_b32 s18, -1
	s_cmp_lt_i32 s16, 5
	s_cbranch_scc1 .LBB8_406
; %bb.386:
	s_cmp_lt_i32 s16, 8
	s_cbranch_scc1 .LBB8_396
; %bb.387:
	;; [unrolled: 3-line block ×3, first 2 shown]
	s_cmp_gt_i32 s16, 9
	s_cbranch_scc0 .LBB8_390
; %bb.389:
	s_wait_xcnt 0x0
	v_mov_b32_e32 v2, 0
	s_mov_b32 s18, 0
	s_delay_alu instid0(VALU_DEP_1)
	v_mov_b32_e32 v3, v2
	global_store_b128 v[4:5], v[0:3], off
.LBB8_390:
	s_and_not1_b32 vcc_lo, exec_lo, s18
	s_cbranch_vccnz .LBB8_392
; %bb.391:
	s_wait_xcnt 0x0
	s_delay_alu instid0(VALU_DEP_4)
	v_cvt_f32_f64_e32 v2, v[0:1]
	v_mov_b32_e32 v3, 0
	global_store_b64 v[4:5], v[2:3], off
.LBB8_392:
	s_mov_b32 s18, 0
.LBB8_393:
	s_delay_alu instid0(SALU_CYCLE_1)
	s_and_not1_b32 vcc_lo, exec_lo, s18
	s_cbranch_vccnz .LBB8_395
; %bb.394:
	s_wait_xcnt 0x0
	s_delay_alu instid0(VALU_DEP_4) | instskip(SKIP_2) | instid1(VALU_DEP_3)
	v_and_or_b32 v2, 0x1ff, v1, v0
	v_lshrrev_b32_e32 v3, 8, v1
	v_bfe_u32 v6, v1, 20, 11
	v_cmp_ne_u32_e32 vcc_lo, 0, v2
	s_delay_alu instid0(VALU_DEP_2) | instskip(SKIP_1) | instid1(VALU_DEP_1)
	v_sub_nc_u32_e32 v7, 0x3f1, v6
	v_cndmask_b32_e64 v2, 0, 1, vcc_lo
	v_and_or_b32 v2, 0xffe, v3, v2
	s_delay_alu instid0(VALU_DEP_3) | instskip(NEXT) | instid1(VALU_DEP_2)
	v_med3_i32 v3, v7, 0, 13
	v_or_b32_e32 v7, 0x1000, v2
	s_delay_alu instid0(VALU_DEP_1) | instskip(NEXT) | instid1(VALU_DEP_1)
	v_lshrrev_b32_e32 v8, v3, v7
	v_lshlrev_b32_e32 v3, v3, v8
	s_delay_alu instid0(VALU_DEP_1) | instskip(SKIP_1) | instid1(VALU_DEP_1)
	v_cmp_ne_u32_e32 vcc_lo, v3, v7
	v_cndmask_b32_e64 v3, 0, 1, vcc_lo
	v_or_b32_e32 v3, v8, v3
	v_add_nc_u32_e32 v6, 0xfffffc10, v6
	s_delay_alu instid0(VALU_DEP_1) | instskip(SKIP_1) | instid1(VALU_DEP_2)
	v_lshl_or_b32 v7, v6, 12, v2
	v_cmp_gt_i32_e32 vcc_lo, 1, v6
	v_cndmask_b32_e32 v3, v7, v3, vcc_lo
	s_delay_alu instid0(VALU_DEP_1) | instskip(NEXT) | instid1(VALU_DEP_1)
	v_dual_lshrrev_b32 v3, 2, v3 :: v_dual_bitop2_b32 v7, 7, v3 bitop3:0x40
	v_cmp_lt_i32_e32 vcc_lo, 5, v7
	v_cndmask_b32_e64 v8, 0, 1, vcc_lo
	v_cmp_eq_u32_e32 vcc_lo, 3, v7
	v_cndmask_b32_e64 v7, 0, 1, vcc_lo
	v_cmp_ne_u32_e32 vcc_lo, 0, v2
	s_delay_alu instid0(VALU_DEP_2) | instskip(NEXT) | instid1(VALU_DEP_1)
	v_or_b32_e32 v7, v7, v8
	v_dual_mov_b32 v8, 0x7e00 :: v_dual_add_nc_u32 v3, v3, v7
	s_delay_alu instid0(VALU_DEP_1) | instskip(SKIP_2) | instid1(VALU_DEP_4)
	v_cndmask_b32_e32 v2, 0x7c00, v8, vcc_lo
	v_cmp_gt_i32_e32 vcc_lo, 31, v6
	v_lshrrev_b32_e32 v7, 16, v1
	v_cndmask_b32_e32 v3, 0x7c00, v3, vcc_lo
	v_cmp_eq_u32_e32 vcc_lo, 0x40f, v6
	s_delay_alu instid0(VALU_DEP_2) | instskip(NEXT) | instid1(VALU_DEP_4)
	v_cndmask_b32_e32 v2, v3, v2, vcc_lo
	v_and_b32_e32 v3, 0x8000, v7
	s_delay_alu instid0(VALU_DEP_1)
	v_bitop3_b32 v2, v3, 0xffff, v2 bitop3:0xc8
	global_store_b32 v[4:5], v2, off
.LBB8_395:
	s_mov_b32 s18, 0
.LBB8_396:
	s_delay_alu instid0(SALU_CYCLE_1)
	s_and_not1_b32 vcc_lo, exec_lo, s18
	s_cbranch_vccnz .LBB8_405
; %bb.397:
	s_cmp_lt_i32 s16, 6
	s_mov_b32 s18, -1
	s_cbranch_scc1 .LBB8_403
; %bb.398:
	s_cmp_gt_i32 s16, 6
	s_cbranch_scc0 .LBB8_400
; %bb.399:
	s_mov_b32 s18, 0
	global_store_b64 v[4:5], v[0:1], off
.LBB8_400:
	s_and_not1_b32 vcc_lo, exec_lo, s18
	s_cbranch_vccnz .LBB8_402
; %bb.401:
	s_wait_xcnt 0x0
	s_delay_alu instid0(VALU_DEP_4)
	v_cvt_f32_f64_e32 v2, v[0:1]
	global_store_b32 v[4:5], v2, off
.LBB8_402:
	s_mov_b32 s18, 0
.LBB8_403:
	s_delay_alu instid0(SALU_CYCLE_1)
	s_and_not1_b32 vcc_lo, exec_lo, s18
	s_cbranch_vccnz .LBB8_405
; %bb.404:
	s_wait_xcnt 0x0
	s_delay_alu instid0(VALU_DEP_4) | instskip(SKIP_2) | instid1(VALU_DEP_3)
	v_and_or_b32 v2, 0x1ff, v1, v0
	v_lshrrev_b32_e32 v3, 8, v1
	v_bfe_u32 v6, v1, 20, 11
	v_cmp_ne_u32_e32 vcc_lo, 0, v2
	s_delay_alu instid0(VALU_DEP_2) | instskip(SKIP_1) | instid1(VALU_DEP_1)
	v_sub_nc_u32_e32 v7, 0x3f1, v6
	v_cndmask_b32_e64 v2, 0, 1, vcc_lo
	v_and_or_b32 v2, 0xffe, v3, v2
	s_delay_alu instid0(VALU_DEP_3) | instskip(NEXT) | instid1(VALU_DEP_2)
	v_med3_i32 v3, v7, 0, 13
	v_or_b32_e32 v7, 0x1000, v2
	s_delay_alu instid0(VALU_DEP_1) | instskip(NEXT) | instid1(VALU_DEP_1)
	v_lshrrev_b32_e32 v8, v3, v7
	v_lshlrev_b32_e32 v3, v3, v8
	s_delay_alu instid0(VALU_DEP_1) | instskip(SKIP_1) | instid1(VALU_DEP_1)
	v_cmp_ne_u32_e32 vcc_lo, v3, v7
	v_cndmask_b32_e64 v3, 0, 1, vcc_lo
	v_or_b32_e32 v3, v8, v3
	v_add_nc_u32_e32 v6, 0xfffffc10, v6
	s_delay_alu instid0(VALU_DEP_1) | instskip(SKIP_1) | instid1(VALU_DEP_2)
	v_lshl_or_b32 v7, v6, 12, v2
	v_cmp_gt_i32_e32 vcc_lo, 1, v6
	v_cndmask_b32_e32 v3, v7, v3, vcc_lo
	s_delay_alu instid0(VALU_DEP_1) | instskip(NEXT) | instid1(VALU_DEP_1)
	v_dual_lshrrev_b32 v3, 2, v3 :: v_dual_bitop2_b32 v7, 7, v3 bitop3:0x40
	v_cmp_lt_i32_e32 vcc_lo, 5, v7
	v_cndmask_b32_e64 v8, 0, 1, vcc_lo
	v_cmp_eq_u32_e32 vcc_lo, 3, v7
	v_cndmask_b32_e64 v7, 0, 1, vcc_lo
	v_cmp_ne_u32_e32 vcc_lo, 0, v2
	s_delay_alu instid0(VALU_DEP_2) | instskip(NEXT) | instid1(VALU_DEP_1)
	v_or_b32_e32 v7, v7, v8
	v_dual_mov_b32 v8, 0x7e00 :: v_dual_add_nc_u32 v3, v3, v7
	s_delay_alu instid0(VALU_DEP_1) | instskip(SKIP_1) | instid1(VALU_DEP_3)
	v_cndmask_b32_e32 v2, 0x7c00, v8, vcc_lo
	v_cmp_gt_i32_e32 vcc_lo, 31, v6
	v_cndmask_b32_e32 v3, 0x7c00, v3, vcc_lo
	v_cmp_eq_u32_e32 vcc_lo, 0x40f, v6
	s_delay_alu instid0(VALU_DEP_2) | instskip(NEXT) | instid1(VALU_DEP_1)
	v_dual_cndmask_b32 v2, v3, v2 :: v_dual_lshrrev_b32 v3, 16, v1
	v_and_or_b32 v2, 0x8000, v3, v2
	global_store_b16 v[4:5], v2, off
.LBB8_405:
	s_mov_b32 s18, 0
.LBB8_406:
	s_delay_alu instid0(SALU_CYCLE_1)
	s_and_not1_b32 vcc_lo, exec_lo, s18
	s_cbranch_vccnz .LBB8_422
; %bb.407:
	s_cmp_lt_i32 s16, 2
	s_mov_b32 s18, -1
	s_cbranch_scc1 .LBB8_417
; %bb.408:
	s_cmp_lt_i32 s16, 3
	s_cbranch_scc1 .LBB8_414
; %bb.409:
	s_cmp_gt_i32 s16, 3
	s_cbranch_scc0 .LBB8_411
; %bb.410:
	s_wait_xcnt 0x0
	s_delay_alu instid0(VALU_DEP_4) | instskip(SKIP_1) | instid1(VALU_DEP_1)
	v_trunc_f64_e32 v[2:3], v[0:1]
	s_mov_b32 s18, 0
	v_ldexp_f64 v[6:7], v[2:3], 0xffffffe0
	s_delay_alu instid0(VALU_DEP_1) | instskip(NEXT) | instid1(VALU_DEP_1)
	v_floor_f64_e32 v[6:7], v[6:7]
	v_fmamk_f64 v[2:3], v[6:7], 0xc1f00000, v[2:3]
	v_cvt_i32_f64_e32 v7, v[6:7]
	s_delay_alu instid0(VALU_DEP_2)
	v_cvt_u32_f64_e32 v6, v[2:3]
	global_store_b64 v[4:5], v[6:7], off
.LBB8_411:
	s_and_not1_b32 vcc_lo, exec_lo, s18
	s_cbranch_vccnz .LBB8_413
; %bb.412:
	s_wait_xcnt 0x0
	s_delay_alu instid0(VALU_DEP_4)
	v_cvt_i32_f64_e32 v2, v[0:1]
	global_store_b32 v[4:5], v2, off
.LBB8_413:
	s_mov_b32 s18, 0
.LBB8_414:
	s_delay_alu instid0(SALU_CYCLE_1)
	s_and_not1_b32 vcc_lo, exec_lo, s18
	s_cbranch_vccnz .LBB8_416
; %bb.415:
	s_wait_xcnt 0x0
	s_delay_alu instid0(VALU_DEP_4)
	v_cvt_i32_f64_e32 v2, v[0:1]
	global_store_b16 v[4:5], v2, off
.LBB8_416:
	s_mov_b32 s18, 0
.LBB8_417:
	s_delay_alu instid0(SALU_CYCLE_1)
	s_and_not1_b32 vcc_lo, exec_lo, s18
	s_cbranch_vccnz .LBB8_422
; %bb.418:
	s_cmp_gt_i32 s16, 0
	s_mov_b32 s16, -1
	s_cbranch_scc0 .LBB8_420
; %bb.419:
	s_wait_xcnt 0x0
	s_delay_alu instid0(VALU_DEP_4)
	v_cvt_i32_f64_e32 v2, v[0:1]
	s_mov_b32 s16, 0
	global_store_b8 v[4:5], v2, off
.LBB8_420:
	s_and_not1_b32 vcc_lo, exec_lo, s16
	s_cbranch_vccnz .LBB8_422
; %bb.421:
	s_wait_xcnt 0x0
	v_trunc_f64_e32 v[0:1], v[0:1]
	s_delay_alu instid0(VALU_DEP_1) | instskip(NEXT) | instid1(VALU_DEP_1)
	v_ldexp_f64 v[2:3], v[0:1], 0xffffffe0
	v_floor_f64_e32 v[2:3], v[2:3]
	s_delay_alu instid0(VALU_DEP_1) | instskip(NEXT) | instid1(VALU_DEP_1)
	v_fmamk_f64 v[0:1], v[2:3], 0xc1f00000, v[0:1]
	v_cvt_u32_f64_e32 v0, v[0:1]
	global_store_b8 v[4:5], v0, off
.LBB8_422:
	s_mov_b32 s19, -1
.LBB8_423:
	s_delay_alu instid0(SALU_CYCLE_1)
	s_and_not1_b32 vcc_lo, exec_lo, s19
	s_cbranch_vccnz .LBB8_425
; %bb.424:
	v_add_nc_u32_e32 v14, 0x80, v14
	s_mov_b32 s18, -1
	s_branch .LBB8_538
.LBB8_425:
	s_mov_b32 s18, 0
	s_branch .LBB8_537
.LBB8_426:
	s_mov_b32 s15, -1
                                        ; implicit-def: $vgpr2_vgpr3
.LBB8_427:
	s_mov_b32 s18, 0
.LBB8_428:
	s_delay_alu instid0(SALU_CYCLE_1)
	s_and_b32 vcc_lo, exec_lo, s18
	s_cbranch_vccz .LBB8_432
; %bb.429:
	s_cmp_eq_u32 s0, 29
	s_cbranch_scc0 .LBB8_431
; %bb.430:
	s_wait_loadcnt 0x0
	global_load_b64 v[2:3], v[0:1], off
	s_mov_b32 s16, -1
	s_mov_b32 s15, 0
	s_mov_b32 s18, 0
	s_wait_loadcnt 0x0
	v_cvt_f64_u32_e32 v[4:5], v3
	v_cvt_f64_u32_e32 v[2:3], v2
	s_delay_alu instid0(VALU_DEP_2) | instskip(NEXT) | instid1(VALU_DEP_1)
	v_ldexp_f64 v[4:5], v[4:5], 32
	v_add_f64_e32 v[2:3], v[4:5], v[2:3]
	s_branch .LBB8_433
.LBB8_431:
	s_mov_b32 s15, -1
                                        ; implicit-def: $vgpr2_vgpr3
.LBB8_432:
	s_mov_b32 s18, 0
.LBB8_433:
	s_delay_alu instid0(SALU_CYCLE_1)
	s_and_b32 vcc_lo, exec_lo, s18
	s_cbranch_vccz .LBB8_451
; %bb.434:
	s_cmp_lt_i32 s0, 27
	s_cbranch_scc1 .LBB8_437
; %bb.435:
	s_cmp_gt_i32 s0, 27
	s_cbranch_scc0 .LBB8_438
; %bb.436:
	s_wait_loadcnt 0x0
	global_load_b32 v2, v[0:1], off
	s_mov_b32 s16, 0
	s_wait_loadcnt 0x0
	v_cvt_f64_u32_e32 v[2:3], v2
	s_branch .LBB8_439
.LBB8_437:
	s_mov_b32 s16, -1
                                        ; implicit-def: $vgpr2_vgpr3
	s_branch .LBB8_442
.LBB8_438:
	s_mov_b32 s16, -1
                                        ; implicit-def: $vgpr2_vgpr3
.LBB8_439:
	s_delay_alu instid0(SALU_CYCLE_1)
	s_and_not1_b32 vcc_lo, exec_lo, s16
	s_cbranch_vccnz .LBB8_441
; %bb.440:
	s_wait_loadcnt 0x0
	global_load_u16 v2, v[0:1], off
	s_wait_loadcnt 0x0
	v_cvt_f64_u32_e32 v[2:3], v2
.LBB8_441:
	s_mov_b32 s16, 0
.LBB8_442:
	s_delay_alu instid0(SALU_CYCLE_1)
	s_and_not1_b32 vcc_lo, exec_lo, s16
	s_cbranch_vccnz .LBB8_450
; %bb.443:
	global_load_u8 v4, v[0:1], off
	s_mov_b32 s16, 0
	s_mov_b32 s18, exec_lo
	s_wait_loadcnt 0x0
	v_cmpx_lt_i16_e32 0x7f, v4
	s_xor_b32 s18, exec_lo, s18
	s_cbranch_execz .LBB8_464
; %bb.444:
	s_mov_b32 s16, -1
	s_mov_b32 s19, exec_lo
	v_cmpx_eq_u16_e32 0x80, v4
; %bb.445:
	s_xor_b32 s16, exec_lo, -1
; %bb.446:
	s_or_b32 exec_lo, exec_lo, s19
	s_delay_alu instid0(SALU_CYCLE_1)
	s_and_b32 s16, s16, exec_lo
	s_or_saveexec_b32 s18, s18
	v_mov_b64_e32 v[2:3], 0x7ff8000020000000
	s_xor_b32 exec_lo, exec_lo, s18
	s_cbranch_execnz .LBB8_465
.LBB8_447:
	s_or_b32 exec_lo, exec_lo, s18
	s_and_saveexec_b32 s18, s16
	s_cbranch_execz .LBB8_449
.LBB8_448:
	v_and_b32_e32 v2, 0xffff, v4
	s_delay_alu instid0(VALU_DEP_1) | instskip(SKIP_1) | instid1(VALU_DEP_2)
	v_and_b32_e32 v3, 7, v2
	v_bfe_u32 v7, v2, 3, 4
	v_clz_i32_u32_e32 v5, v3
	s_delay_alu instid0(VALU_DEP_2) | instskip(NEXT) | instid1(VALU_DEP_2)
	v_cmp_eq_u32_e32 vcc_lo, 0, v7
	v_min_u32_e32 v5, 32, v5
	s_delay_alu instid0(VALU_DEP_1) | instskip(NEXT) | instid1(VALU_DEP_1)
	v_subrev_nc_u32_e32 v6, 28, v5
	v_dual_lshlrev_b32 v2, v6, v2 :: v_dual_sub_nc_u32 v5, 29, v5
	s_delay_alu instid0(VALU_DEP_1) | instskip(NEXT) | instid1(VALU_DEP_2)
	v_dual_lshlrev_b32 v4, 24, v4 :: v_dual_bitop2_b32 v2, 7, v2 bitop3:0x40
	v_cndmask_b32_e32 v5, v7, v5, vcc_lo
	s_delay_alu instid0(VALU_DEP_2) | instskip(NEXT) | instid1(VALU_DEP_3)
	v_cndmask_b32_e32 v2, v3, v2, vcc_lo
	v_and_b32_e32 v3, 0x80000000, v4
	s_delay_alu instid0(VALU_DEP_3) | instskip(NEXT) | instid1(VALU_DEP_3)
	v_lshl_add_u32 v4, v5, 23, 0x3b800000
	v_lshlrev_b32_e32 v2, 20, v2
	s_delay_alu instid0(VALU_DEP_1) | instskip(NEXT) | instid1(VALU_DEP_1)
	v_or3_b32 v2, v3, v4, v2
	v_cvt_f64_f32_e32 v[2:3], v2
.LBB8_449:
	s_or_b32 exec_lo, exec_lo, s18
.LBB8_450:
	s_mov_b32 s16, -1
.LBB8_451:
	s_mov_b32 s18, 0
.LBB8_452:
	s_delay_alu instid0(SALU_CYCLE_1)
	s_and_b32 vcc_lo, exec_lo, s18
	s_cbranch_vccz .LBB8_487
; %bb.453:
	s_cmp_gt_i32 s0, 22
	s_cbranch_scc0 .LBB8_463
; %bb.454:
	s_cmp_lt_i32 s0, 24
	s_cbranch_scc1 .LBB8_466
; %bb.455:
	s_cmp_gt_i32 s0, 24
	s_cbranch_scc0 .LBB8_467
; %bb.456:
	global_load_u8 v4, v[0:1], off
	s_mov_b32 s16, 0
	s_mov_b32 s18, exec_lo
	s_wait_loadcnt 0x0
	v_cmpx_lt_i16_e32 0x7f, v4
	s_xor_b32 s18, exec_lo, s18
	s_cbranch_execz .LBB8_479
; %bb.457:
	s_mov_b32 s16, -1
	s_mov_b32 s19, exec_lo
	v_cmpx_eq_u16_e32 0x80, v4
; %bb.458:
	s_xor_b32 s16, exec_lo, -1
; %bb.459:
	s_or_b32 exec_lo, exec_lo, s19
	s_delay_alu instid0(SALU_CYCLE_1)
	s_and_b32 s16, s16, exec_lo
	s_or_saveexec_b32 s18, s18
	v_mov_b64_e32 v[2:3], 0x7ff8000020000000
	s_xor_b32 exec_lo, exec_lo, s18
	s_cbranch_execnz .LBB8_480
.LBB8_460:
	s_or_b32 exec_lo, exec_lo, s18
	s_and_saveexec_b32 s18, s16
	s_cbranch_execz .LBB8_462
.LBB8_461:
	v_and_b32_e32 v2, 0xffff, v4
	s_delay_alu instid0(VALU_DEP_1) | instskip(SKIP_1) | instid1(VALU_DEP_2)
	v_and_b32_e32 v3, 3, v2
	v_bfe_u32 v7, v2, 2, 5
	v_clz_i32_u32_e32 v5, v3
	s_delay_alu instid0(VALU_DEP_2) | instskip(NEXT) | instid1(VALU_DEP_2)
	v_cmp_eq_u32_e32 vcc_lo, 0, v7
	v_min_u32_e32 v5, 32, v5
	s_delay_alu instid0(VALU_DEP_1) | instskip(NEXT) | instid1(VALU_DEP_1)
	v_subrev_nc_u32_e32 v6, 29, v5
	v_dual_lshlrev_b32 v2, v6, v2 :: v_dual_sub_nc_u32 v5, 30, v5
	s_delay_alu instid0(VALU_DEP_1) | instskip(NEXT) | instid1(VALU_DEP_2)
	v_dual_lshlrev_b32 v4, 24, v4 :: v_dual_bitop2_b32 v2, 3, v2 bitop3:0x40
	v_cndmask_b32_e32 v5, v7, v5, vcc_lo
	s_delay_alu instid0(VALU_DEP_2) | instskip(NEXT) | instid1(VALU_DEP_3)
	v_cndmask_b32_e32 v2, v3, v2, vcc_lo
	v_and_b32_e32 v3, 0x80000000, v4
	s_delay_alu instid0(VALU_DEP_3) | instskip(NEXT) | instid1(VALU_DEP_3)
	v_lshl_add_u32 v4, v5, 23, 0x37800000
	v_lshlrev_b32_e32 v2, 21, v2
	s_delay_alu instid0(VALU_DEP_1) | instskip(NEXT) | instid1(VALU_DEP_1)
	v_or3_b32 v2, v3, v4, v2
	v_cvt_f64_f32_e32 v[2:3], v2
.LBB8_462:
	s_or_b32 exec_lo, exec_lo, s18
	s_mov_b32 s16, 0
	s_branch .LBB8_468
.LBB8_463:
	s_mov_b32 s18, -1
                                        ; implicit-def: $vgpr2_vgpr3
	s_branch .LBB8_474
.LBB8_464:
	s_or_saveexec_b32 s18, s18
	v_mov_b64_e32 v[2:3], 0x7ff8000020000000
	s_xor_b32 exec_lo, exec_lo, s18
	s_cbranch_execz .LBB8_447
.LBB8_465:
	v_cmp_ne_u16_e32 vcc_lo, 0, v4
	v_mov_b64_e32 v[2:3], 0
	s_and_not1_b32 s16, s16, exec_lo
	s_and_b32 s19, vcc_lo, exec_lo
	s_delay_alu instid0(SALU_CYCLE_1)
	s_or_b32 s16, s16, s19
	s_or_b32 exec_lo, exec_lo, s18
	s_and_saveexec_b32 s18, s16
	s_cbranch_execnz .LBB8_448
	s_branch .LBB8_449
.LBB8_466:
	s_mov_b32 s16, -1
                                        ; implicit-def: $vgpr2_vgpr3
	s_branch .LBB8_471
.LBB8_467:
	s_mov_b32 s16, -1
                                        ; implicit-def: $vgpr2_vgpr3
.LBB8_468:
	s_delay_alu instid0(SALU_CYCLE_1)
	s_and_b32 vcc_lo, exec_lo, s16
	s_cbranch_vccz .LBB8_470
; %bb.469:
	s_wait_loadcnt 0x0
	global_load_u8 v2, v[0:1], off
	s_wait_loadcnt 0x0
	v_lshlrev_b32_e32 v2, 24, v2
	s_delay_alu instid0(VALU_DEP_1) | instskip(NEXT) | instid1(VALU_DEP_1)
	v_and_b32_e32 v3, 0x7f000000, v2
	v_clz_i32_u32_e32 v4, v3
	v_cmp_ne_u32_e32 vcc_lo, 0, v3
	v_add_nc_u32_e32 v6, 0x1000000, v3
	s_delay_alu instid0(VALU_DEP_3) | instskip(NEXT) | instid1(VALU_DEP_1)
	v_min_u32_e32 v4, 32, v4
	v_sub_nc_u32_e64 v4, v4, 4 clamp
	s_delay_alu instid0(VALU_DEP_1) | instskip(NEXT) | instid1(VALU_DEP_1)
	v_dual_lshlrev_b32 v5, v4, v3 :: v_dual_lshlrev_b32 v4, 23, v4
	v_lshrrev_b32_e32 v5, 4, v5
	s_delay_alu instid0(VALU_DEP_1) | instskip(NEXT) | instid1(VALU_DEP_1)
	v_dual_sub_nc_u32 v4, v5, v4 :: v_dual_ashrrev_i32 v5, 8, v6
	v_add_nc_u32_e32 v4, 0x3c000000, v4
	s_delay_alu instid0(VALU_DEP_1) | instskip(NEXT) | instid1(VALU_DEP_1)
	v_and_or_b32 v4, 0x7f800000, v5, v4
	v_cndmask_b32_e32 v3, 0, v4, vcc_lo
	s_delay_alu instid0(VALU_DEP_1) | instskip(NEXT) | instid1(VALU_DEP_1)
	v_and_or_b32 v2, 0x80000000, v2, v3
	v_cvt_f64_f32_e32 v[2:3], v2
.LBB8_470:
	s_mov_b32 s16, 0
.LBB8_471:
	s_delay_alu instid0(SALU_CYCLE_1)
	s_and_not1_b32 vcc_lo, exec_lo, s16
	s_cbranch_vccnz .LBB8_473
; %bb.472:
	s_wait_loadcnt 0x0
	global_load_u8 v2, v[0:1], off
	s_wait_loadcnt 0x0
	v_lshlrev_b32_e32 v3, 25, v2
	v_lshlrev_b16 v2, 8, v2
	s_delay_alu instid0(VALU_DEP_1) | instskip(SKIP_1) | instid1(VALU_DEP_2)
	v_and_or_b32 v5, 0x7f00, v2, 0.5
	v_bfe_i32 v2, v2, 0, 16
	v_dual_add_f32 v5, -0.5, v5 :: v_dual_lshrrev_b32 v4, 4, v3
	v_cmp_gt_u32_e32 vcc_lo, 0x8000000, v3
	s_delay_alu instid0(VALU_DEP_2) | instskip(NEXT) | instid1(VALU_DEP_1)
	v_or_b32_e32 v4, 0x70000000, v4
	v_mul_f32_e32 v4, 0x7800000, v4
	s_delay_alu instid0(VALU_DEP_1) | instskip(NEXT) | instid1(VALU_DEP_1)
	v_cndmask_b32_e32 v3, v4, v5, vcc_lo
	v_and_or_b32 v2, 0x80000000, v2, v3
	s_delay_alu instid0(VALU_DEP_1)
	v_cvt_f64_f32_e32 v[2:3], v2
.LBB8_473:
	s_mov_b32 s18, 0
	s_mov_b32 s16, -1
.LBB8_474:
	s_and_not1_b32 vcc_lo, exec_lo, s18
	s_cbranch_vccnz .LBB8_487
; %bb.475:
	s_cmp_gt_i32 s0, 14
	s_cbranch_scc0 .LBB8_478
; %bb.476:
	s_cmp_eq_u32 s0, 15
	s_cbranch_scc0 .LBB8_481
; %bb.477:
	s_wait_loadcnt 0x0
	global_load_u16 v2, v[0:1], off
	s_mov_b32 s16, -1
	s_mov_b32 s15, 0
	s_wait_loadcnt 0x0
	v_lshlrev_b32_e32 v2, 16, v2
	s_delay_alu instid0(VALU_DEP_1)
	v_cvt_f64_f32_e32 v[2:3], v2
	s_branch .LBB8_482
.LBB8_478:
	s_mov_b32 s18, -1
                                        ; implicit-def: $vgpr2_vgpr3
	s_branch .LBB8_483
.LBB8_479:
	s_or_saveexec_b32 s18, s18
	v_mov_b64_e32 v[2:3], 0x7ff8000020000000
	s_xor_b32 exec_lo, exec_lo, s18
	s_cbranch_execz .LBB8_460
.LBB8_480:
	v_cmp_ne_u16_e32 vcc_lo, 0, v4
	v_mov_b64_e32 v[2:3], 0
	s_and_not1_b32 s16, s16, exec_lo
	s_and_b32 s19, vcc_lo, exec_lo
	s_delay_alu instid0(SALU_CYCLE_1)
	s_or_b32 s16, s16, s19
	s_or_b32 exec_lo, exec_lo, s18
	s_and_saveexec_b32 s18, s16
	s_cbranch_execnz .LBB8_461
	s_branch .LBB8_462
.LBB8_481:
	s_mov_b32 s15, -1
                                        ; implicit-def: $vgpr2_vgpr3
.LBB8_482:
	s_mov_b32 s18, 0
.LBB8_483:
	s_delay_alu instid0(SALU_CYCLE_1)
	s_and_b32 vcc_lo, exec_lo, s18
	s_cbranch_vccz .LBB8_487
; %bb.484:
	s_cmp_eq_u32 s0, 11
	s_cbranch_scc0 .LBB8_486
; %bb.485:
	s_wait_loadcnt 0x0
	global_load_u8 v2, v[0:1], off
	s_mov_b32 s15, 0
	s_mov_b32 s16, -1
	s_wait_loadcnt 0x0
	v_cmp_ne_u16_e32 vcc_lo, 0, v2
	v_mov_b32_e32 v2, 0
	v_cndmask_b32_e64 v3, 0, 0x3ff00000, vcc_lo
	s_branch .LBB8_487
.LBB8_486:
	s_mov_b32 s15, -1
                                        ; implicit-def: $vgpr2_vgpr3
.LBB8_487:
	s_branch .LBB8_277
.LBB8_488:
	s_cmp_lt_i32 s0, 5
	s_cbranch_scc1 .LBB8_493
; %bb.489:
	s_cmp_lt_i32 s0, 8
	s_cbranch_scc1 .LBB8_494
; %bb.490:
	;; [unrolled: 3-line block ×3, first 2 shown]
	s_cmp_gt_i32 s0, 9
	s_cbranch_scc0 .LBB8_496
; %bb.492:
	s_wait_loadcnt 0x0
	global_load_b64 v[2:3], v[0:1], off
	s_mov_b32 s16, 0
	s_branch .LBB8_497
.LBB8_493:
	s_mov_b32 s16, -1
                                        ; implicit-def: $vgpr2_vgpr3
	s_branch .LBB8_515
.LBB8_494:
	s_mov_b32 s16, -1
                                        ; implicit-def: $vgpr2_vgpr3
	s_branch .LBB8_503
.LBB8_495:
	s_mov_b32 s16, -1
                                        ; implicit-def: $vgpr2_vgpr3
	s_branch .LBB8_500
.LBB8_496:
	s_mov_b32 s16, -1
                                        ; implicit-def: $vgpr2_vgpr3
.LBB8_497:
	s_delay_alu instid0(SALU_CYCLE_1)
	s_and_not1_b32 vcc_lo, exec_lo, s16
	s_cbranch_vccnz .LBB8_499
; %bb.498:
	s_wait_loadcnt 0x0
	global_load_b32 v2, v[0:1], off
	s_wait_loadcnt 0x0
	v_cvt_f64_f32_e32 v[2:3], v2
.LBB8_499:
	s_mov_b32 s16, 0
.LBB8_500:
	s_delay_alu instid0(SALU_CYCLE_1)
	s_and_not1_b32 vcc_lo, exec_lo, s16
	s_cbranch_vccnz .LBB8_502
; %bb.501:
	s_wait_loadcnt 0x0
	global_load_b32 v2, v[0:1], off
	s_wait_loadcnt 0x0
	v_cvt_f32_f16_e32 v2, v2
	s_delay_alu instid0(VALU_DEP_1)
	v_cvt_f64_f32_e32 v[2:3], v2
.LBB8_502:
	s_mov_b32 s16, 0
.LBB8_503:
	s_delay_alu instid0(SALU_CYCLE_1)
	s_and_not1_b32 vcc_lo, exec_lo, s16
	s_cbranch_vccnz .LBB8_514
; %bb.504:
	s_cmp_lt_i32 s0, 6
	s_cbranch_scc1 .LBB8_507
; %bb.505:
	s_cmp_gt_i32 s0, 6
	s_cbranch_scc0 .LBB8_508
; %bb.506:
	s_wait_loadcnt 0x0
	global_load_b64 v[2:3], v[0:1], off
	s_mov_b32 s16, 0
	s_branch .LBB8_509
.LBB8_507:
	s_mov_b32 s16, -1
                                        ; implicit-def: $vgpr2_vgpr3
	s_branch .LBB8_512
.LBB8_508:
	s_mov_b32 s16, -1
                                        ; implicit-def: $vgpr2_vgpr3
.LBB8_509:
	s_delay_alu instid0(SALU_CYCLE_1)
	s_and_not1_b32 vcc_lo, exec_lo, s16
	s_cbranch_vccnz .LBB8_511
; %bb.510:
	s_wait_loadcnt 0x0
	global_load_b32 v2, v[0:1], off
	s_wait_loadcnt 0x0
	v_cvt_f64_f32_e32 v[2:3], v2
.LBB8_511:
	s_mov_b32 s16, 0
.LBB8_512:
	s_delay_alu instid0(SALU_CYCLE_1)
	s_and_not1_b32 vcc_lo, exec_lo, s16
	s_cbranch_vccnz .LBB8_514
; %bb.513:
	s_wait_loadcnt 0x0
	global_load_u16 v2, v[0:1], off
	s_wait_loadcnt 0x0
	v_cvt_f32_f16_e32 v2, v2
	s_delay_alu instid0(VALU_DEP_1)
	v_cvt_f64_f32_e32 v[2:3], v2
.LBB8_514:
	s_mov_b32 s16, 0
.LBB8_515:
	s_delay_alu instid0(SALU_CYCLE_1)
	s_and_not1_b32 vcc_lo, exec_lo, s16
	s_cbranch_vccnz .LBB8_535
; %bb.516:
	s_cmp_lt_i32 s0, 2
	s_cbranch_scc1 .LBB8_520
; %bb.517:
	s_cmp_lt_i32 s0, 3
	s_cbranch_scc1 .LBB8_521
; %bb.518:
	s_cmp_gt_i32 s0, 3
	s_cbranch_scc0 .LBB8_522
; %bb.519:
	s_wait_loadcnt 0x0
	global_load_b64 v[2:3], v[0:1], off
	s_mov_b32 s16, 0
	s_wait_loadcnt 0x0
	v_cvt_f64_i32_e32 v[4:5], v3
	v_cvt_f64_u32_e32 v[2:3], v2
	s_delay_alu instid0(VALU_DEP_2) | instskip(NEXT) | instid1(VALU_DEP_1)
	v_ldexp_f64 v[4:5], v[4:5], 32
	v_add_f64_e32 v[2:3], v[4:5], v[2:3]
	s_branch .LBB8_523
.LBB8_520:
	s_mov_b32 s16, -1
                                        ; implicit-def: $vgpr2_vgpr3
	s_branch .LBB8_529
.LBB8_521:
	s_mov_b32 s16, -1
                                        ; implicit-def: $vgpr2_vgpr3
	s_branch .LBB8_526
.LBB8_522:
	s_mov_b32 s16, -1
                                        ; implicit-def: $vgpr2_vgpr3
.LBB8_523:
	s_delay_alu instid0(SALU_CYCLE_1)
	s_and_not1_b32 vcc_lo, exec_lo, s16
	s_cbranch_vccnz .LBB8_525
; %bb.524:
	s_wait_loadcnt 0x0
	global_load_b32 v2, v[0:1], off
	s_wait_loadcnt 0x0
	v_cvt_f64_i32_e32 v[2:3], v2
.LBB8_525:
	s_mov_b32 s16, 0
.LBB8_526:
	s_delay_alu instid0(SALU_CYCLE_1)
	s_and_not1_b32 vcc_lo, exec_lo, s16
	s_cbranch_vccnz .LBB8_528
; %bb.527:
	s_wait_loadcnt 0x0
	global_load_i16 v2, v[0:1], off
	s_wait_loadcnt 0x0
	v_cvt_f64_i32_e32 v[2:3], v2
.LBB8_528:
	s_mov_b32 s16, 0
.LBB8_529:
	s_delay_alu instid0(SALU_CYCLE_1)
	s_and_not1_b32 vcc_lo, exec_lo, s16
	s_cbranch_vccnz .LBB8_535
; %bb.530:
	s_cmp_gt_i32 s0, 0
	s_mov_b32 s0, 0
	s_cbranch_scc0 .LBB8_532
; %bb.531:
	s_wait_loadcnt 0x0
	global_load_i8 v2, v[0:1], off
	s_wait_loadcnt 0x0
	v_cvt_f64_i32_e32 v[2:3], v2
	s_branch .LBB8_533
.LBB8_532:
	s_mov_b32 s0, -1
                                        ; implicit-def: $vgpr2_vgpr3
.LBB8_533:
	s_delay_alu instid0(SALU_CYCLE_1)
	s_and_not1_b32 vcc_lo, exec_lo, s0
	s_cbranch_vccnz .LBB8_535
; %bb.534:
	global_load_u8 v0, v[0:1], off
	s_wait_loadcnt 0x0
	v_cvt_f64_u32_e32 v[2:3], v0
.LBB8_535:
	s_branch .LBB8_278
.LBB8_536:
	s_mov_b32 s18, 0
	s_mov_b32 s0, s11
.LBB8_537:
                                        ; implicit-def: $vgpr14
.LBB8_538:
	s_and_not1_b32 s16, s11, exec_lo
	s_and_b32 s0, s0, exec_lo
	s_and_not1_b32 s19, s13, exec_lo
	s_and_b32 s15, s15, exec_lo
	s_or_b32 s16, s16, s0
	s_or_b32 s15, s19, s15
	s_or_not1_b32 s0, s18, exec_lo
.LBB8_539:
	s_wait_xcnt 0x0
	s_or_b32 exec_lo, exec_lo, s17
	s_mov_b32 s18, 0
	s_mov_b32 s19, 0
	;; [unrolled: 1-line block ×3, first 2 shown]
                                        ; implicit-def: $vgpr0_vgpr1
                                        ; implicit-def: $vgpr2_vgpr3
	s_and_saveexec_b32 s17, s0
	s_cbranch_execz .LBB8_898
; %bb.540:
	s_mov_b32 s20, -1
	s_mov_b32 s0, s15
	s_mov_b32 s19, s16
	s_mov_b32 s18, exec_lo
	v_cmpx_gt_i32_e64 s12, v14
	s_cbranch_execz .LBB8_812
; %bb.541:
	v_mul_lo_u32 v0, v14, s3
	s_and_b32 s0, 0xffff, s9
	s_delay_alu instid0(SALU_CYCLE_1) | instskip(NEXT) | instid1(VALU_DEP_1)
	s_cmp_lt_i32 s0, 11
	v_ashrrev_i32_e32 v1, 31, v0
	s_delay_alu instid0(VALU_DEP_1)
	v_add_nc_u64_e32 v[0:1], s[6:7], v[0:1]
	s_cbranch_scc1 .LBB8_548
; %bb.542:
	s_cmp_gt_i32 s0, 25
	s_cbranch_scc0 .LBB8_549
; %bb.543:
	s_cmp_gt_i32 s0, 28
	s_cbranch_scc0 .LBB8_550
	;; [unrolled: 3-line block ×4, first 2 shown]
; %bb.546:
	s_cmp_eq_u32 s0, 46
	s_mov_b32 s21, 0
	s_cbranch_scc0 .LBB8_557
; %bb.547:
	s_wait_loadcnt 0x0
	global_load_b32 v2, v[0:1], off
	s_mov_b32 s19, 0
	s_wait_loadcnt 0x0
	v_lshlrev_b32_e32 v2, 16, v2
	s_delay_alu instid0(VALU_DEP_1)
	v_cvt_f64_f32_e32 v[2:3], v2
	s_branch .LBB8_559
.LBB8_548:
	s_mov_b32 s21, -1
	s_mov_b32 s20, 0
	s_mov_b32 s19, s15
                                        ; implicit-def: $vgpr2_vgpr3
	s_branch .LBB8_624
.LBB8_549:
	s_mov_b32 s21, -1
	s_mov_b32 s20, 0
	s_mov_b32 s19, s15
                                        ; implicit-def: $vgpr2_vgpr3
	s_branch .LBB8_588
.LBB8_550:
	s_mov_b32 s21, -1
	s_mov_b32 s20, 0
	s_mov_b32 s19, s15
                                        ; implicit-def: $vgpr2_vgpr3
	s_branch .LBB8_569
.LBB8_551:
	s_mov_b32 s21, -1
	s_mov_b32 s20, 0
	s_mov_b32 s19, s15
                                        ; implicit-def: $vgpr2_vgpr3
	s_branch .LBB8_564
.LBB8_552:
	s_and_not1_saveexec_b32 s21, s21
	s_cbranch_execz .LBB8_336
.LBB8_553:
	v_add_f32_e64 v3, 0x46000000, |v2|
	s_and_not1_b32 s20, s20, exec_lo
	s_delay_alu instid0(VALU_DEP_1) | instskip(NEXT) | instid1(VALU_DEP_1)
	v_and_b32_e32 v3, 0xff, v3
	v_cmp_ne_u32_e32 vcc_lo, 0, v3
	s_and_b32 s22, vcc_lo, exec_lo
	s_delay_alu instid0(SALU_CYCLE_1)
	s_or_b32 s20, s20, s22
	s_or_b32 exec_lo, exec_lo, s21
	v_mov_b32_e32 v6, 0
	s_and_saveexec_b32 s21, s20
	s_cbranch_execnz .LBB8_337
	s_branch .LBB8_338
.LBB8_554:
	s_mov_b32 s21, -1
	s_mov_b32 s20, 0
	s_mov_b32 s19, s15
	s_branch .LBB8_558
.LBB8_555:
	s_and_not1_saveexec_b32 s21, s21
	s_cbranch_execz .LBB8_349
.LBB8_556:
	v_add_f32_e64 v3, 0x42800000, |v2|
	s_and_not1_b32 s20, s20, exec_lo
	s_delay_alu instid0(VALU_DEP_1) | instskip(NEXT) | instid1(VALU_DEP_1)
	v_and_b32_e32 v3, 0xff, v3
	v_cmp_ne_u32_e32 vcc_lo, 0, v3
	s_and_b32 s22, vcc_lo, exec_lo
	s_delay_alu instid0(SALU_CYCLE_1)
	s_or_b32 s20, s20, s22
	s_or_b32 exec_lo, exec_lo, s21
	v_mov_b32_e32 v6, 0
	s_and_saveexec_b32 s21, s20
	s_cbranch_execnz .LBB8_350
	s_branch .LBB8_351
.LBB8_557:
	s_mov_b32 s19, -1
	s_mov_b32 s20, 0
.LBB8_558:
                                        ; implicit-def: $vgpr2_vgpr3
.LBB8_559:
	s_and_b32 vcc_lo, exec_lo, s21
	s_cbranch_vccz .LBB8_563
; %bb.560:
	s_cmp_eq_u32 s0, 44
	s_cbranch_scc0 .LBB8_562
; %bb.561:
	global_load_u8 v4, v[0:1], off
	s_mov_b32 s19, 0
	s_mov_b32 s20, -1
	s_wait_loadcnt 0x0
	v_cmp_ne_u32_e32 vcc_lo, 0xff, v4
	v_lshlrev_b32_e32 v2, 23, v4
	s_delay_alu instid0(VALU_DEP_1) | instskip(NEXT) | instid1(VALU_DEP_1)
	v_cvt_f64_f32_e32 v[2:3], v2
	v_cndmask_b32_e32 v2, 0x20000000, v2, vcc_lo
	s_delay_alu instid0(VALU_DEP_2) | instskip(SKIP_1) | instid1(VALU_DEP_2)
	v_cndmask_b32_e32 v3, 0x7ff80000, v3, vcc_lo
	v_cmp_ne_u32_e32 vcc_lo, 0, v4
	v_cndmask_b32_e32 v3, 0x38000000, v3, vcc_lo
	s_delay_alu instid0(VALU_DEP_4)
	v_cndmask_b32_e32 v2, 0, v2, vcc_lo
	s_branch .LBB8_563
.LBB8_562:
	s_mov_b32 s19, -1
                                        ; implicit-def: $vgpr2_vgpr3
.LBB8_563:
	s_mov_b32 s21, 0
.LBB8_564:
	s_delay_alu instid0(SALU_CYCLE_1)
	s_and_b32 vcc_lo, exec_lo, s21
	s_cbranch_vccz .LBB8_568
; %bb.565:
	s_cmp_eq_u32 s0, 29
	s_cbranch_scc0 .LBB8_567
; %bb.566:
	s_wait_loadcnt 0x0
	global_load_b64 v[2:3], v[0:1], off
	s_mov_b32 s20, -1
	s_mov_b32 s19, 0
	s_mov_b32 s21, 0
	s_wait_loadcnt 0x0
	v_cvt_f64_u32_e32 v[4:5], v3
	v_cvt_f64_u32_e32 v[2:3], v2
	s_delay_alu instid0(VALU_DEP_2) | instskip(NEXT) | instid1(VALU_DEP_1)
	v_ldexp_f64 v[4:5], v[4:5], 32
	v_add_f64_e32 v[2:3], v[4:5], v[2:3]
	s_branch .LBB8_569
.LBB8_567:
	s_mov_b32 s19, -1
                                        ; implicit-def: $vgpr2_vgpr3
.LBB8_568:
	s_mov_b32 s21, 0
.LBB8_569:
	s_delay_alu instid0(SALU_CYCLE_1)
	s_and_b32 vcc_lo, exec_lo, s21
	s_cbranch_vccz .LBB8_587
; %bb.570:
	s_cmp_lt_i32 s0, 27
	s_cbranch_scc1 .LBB8_573
; %bb.571:
	s_cmp_gt_i32 s0, 27
	s_cbranch_scc0 .LBB8_574
; %bb.572:
	s_wait_loadcnt 0x0
	global_load_b32 v2, v[0:1], off
	s_mov_b32 s20, 0
	s_wait_loadcnt 0x0
	v_cvt_f64_u32_e32 v[2:3], v2
	s_branch .LBB8_575
.LBB8_573:
	s_mov_b32 s20, -1
                                        ; implicit-def: $vgpr2_vgpr3
	s_branch .LBB8_578
.LBB8_574:
	s_mov_b32 s20, -1
                                        ; implicit-def: $vgpr2_vgpr3
.LBB8_575:
	s_delay_alu instid0(SALU_CYCLE_1)
	s_and_not1_b32 vcc_lo, exec_lo, s20
	s_cbranch_vccnz .LBB8_577
; %bb.576:
	s_wait_loadcnt 0x0
	global_load_u16 v2, v[0:1], off
	s_wait_loadcnt 0x0
	v_cvt_f64_u32_e32 v[2:3], v2
.LBB8_577:
	s_mov_b32 s20, 0
.LBB8_578:
	s_delay_alu instid0(SALU_CYCLE_1)
	s_and_not1_b32 vcc_lo, exec_lo, s20
	s_cbranch_vccnz .LBB8_586
; %bb.579:
	global_load_u8 v4, v[0:1], off
	s_mov_b32 s20, 0
	s_mov_b32 s21, exec_lo
	s_wait_loadcnt 0x0
	v_cmpx_lt_i16_e32 0x7f, v4
	s_xor_b32 s21, exec_lo, s21
	s_cbranch_execz .LBB8_600
; %bb.580:
	s_mov_b32 s20, -1
	s_mov_b32 s22, exec_lo
	v_cmpx_eq_u16_e32 0x80, v4
; %bb.581:
	s_xor_b32 s20, exec_lo, -1
; %bb.582:
	s_or_b32 exec_lo, exec_lo, s22
	s_delay_alu instid0(SALU_CYCLE_1)
	s_and_b32 s20, s20, exec_lo
	s_or_saveexec_b32 s21, s21
	v_mov_b64_e32 v[2:3], 0x7ff8000020000000
	s_xor_b32 exec_lo, exec_lo, s21
	s_cbranch_execnz .LBB8_601
.LBB8_583:
	s_or_b32 exec_lo, exec_lo, s21
	s_and_saveexec_b32 s21, s20
	s_cbranch_execz .LBB8_585
.LBB8_584:
	v_and_b32_e32 v2, 0xffff, v4
	s_delay_alu instid0(VALU_DEP_1) | instskip(SKIP_1) | instid1(VALU_DEP_2)
	v_and_b32_e32 v3, 7, v2
	v_bfe_u32 v7, v2, 3, 4
	v_clz_i32_u32_e32 v5, v3
	s_delay_alu instid0(VALU_DEP_2) | instskip(NEXT) | instid1(VALU_DEP_2)
	v_cmp_eq_u32_e32 vcc_lo, 0, v7
	v_min_u32_e32 v5, 32, v5
	s_delay_alu instid0(VALU_DEP_1) | instskip(NEXT) | instid1(VALU_DEP_1)
	v_subrev_nc_u32_e32 v6, 28, v5
	v_dual_lshlrev_b32 v2, v6, v2 :: v_dual_sub_nc_u32 v5, 29, v5
	s_delay_alu instid0(VALU_DEP_1) | instskip(NEXT) | instid1(VALU_DEP_2)
	v_dual_lshlrev_b32 v4, 24, v4 :: v_dual_bitop2_b32 v2, 7, v2 bitop3:0x40
	v_cndmask_b32_e32 v5, v7, v5, vcc_lo
	s_delay_alu instid0(VALU_DEP_2) | instskip(NEXT) | instid1(VALU_DEP_3)
	v_cndmask_b32_e32 v2, v3, v2, vcc_lo
	v_and_b32_e32 v3, 0x80000000, v4
	s_delay_alu instid0(VALU_DEP_3) | instskip(NEXT) | instid1(VALU_DEP_3)
	v_lshl_add_u32 v4, v5, 23, 0x3b800000
	v_lshlrev_b32_e32 v2, 20, v2
	s_delay_alu instid0(VALU_DEP_1) | instskip(NEXT) | instid1(VALU_DEP_1)
	v_or3_b32 v2, v3, v4, v2
	v_cvt_f64_f32_e32 v[2:3], v2
.LBB8_585:
	s_or_b32 exec_lo, exec_lo, s21
.LBB8_586:
	s_mov_b32 s20, -1
.LBB8_587:
	s_mov_b32 s21, 0
.LBB8_588:
	s_delay_alu instid0(SALU_CYCLE_1)
	s_and_b32 vcc_lo, exec_lo, s21
	s_cbranch_vccz .LBB8_623
; %bb.589:
	s_cmp_gt_i32 s0, 22
	s_cbranch_scc0 .LBB8_599
; %bb.590:
	s_cmp_lt_i32 s0, 24
	s_cbranch_scc1 .LBB8_602
; %bb.591:
	s_cmp_gt_i32 s0, 24
	s_cbranch_scc0 .LBB8_603
; %bb.592:
	global_load_u8 v4, v[0:1], off
	s_mov_b32 s20, 0
	s_mov_b32 s21, exec_lo
	s_wait_loadcnt 0x0
	v_cmpx_lt_i16_e32 0x7f, v4
	s_xor_b32 s21, exec_lo, s21
	s_cbranch_execz .LBB8_615
; %bb.593:
	s_mov_b32 s20, -1
	s_mov_b32 s22, exec_lo
	v_cmpx_eq_u16_e32 0x80, v4
; %bb.594:
	s_xor_b32 s20, exec_lo, -1
; %bb.595:
	s_or_b32 exec_lo, exec_lo, s22
	s_delay_alu instid0(SALU_CYCLE_1)
	s_and_b32 s20, s20, exec_lo
	s_or_saveexec_b32 s21, s21
	v_mov_b64_e32 v[2:3], 0x7ff8000020000000
	s_xor_b32 exec_lo, exec_lo, s21
	s_cbranch_execnz .LBB8_616
.LBB8_596:
	s_or_b32 exec_lo, exec_lo, s21
	s_and_saveexec_b32 s21, s20
	s_cbranch_execz .LBB8_598
.LBB8_597:
	v_and_b32_e32 v2, 0xffff, v4
	s_delay_alu instid0(VALU_DEP_1) | instskip(SKIP_1) | instid1(VALU_DEP_2)
	v_and_b32_e32 v3, 3, v2
	v_bfe_u32 v7, v2, 2, 5
	v_clz_i32_u32_e32 v5, v3
	s_delay_alu instid0(VALU_DEP_2) | instskip(NEXT) | instid1(VALU_DEP_2)
	v_cmp_eq_u32_e32 vcc_lo, 0, v7
	v_min_u32_e32 v5, 32, v5
	s_delay_alu instid0(VALU_DEP_1) | instskip(NEXT) | instid1(VALU_DEP_1)
	v_subrev_nc_u32_e32 v6, 29, v5
	v_dual_lshlrev_b32 v2, v6, v2 :: v_dual_sub_nc_u32 v5, 30, v5
	s_delay_alu instid0(VALU_DEP_1) | instskip(NEXT) | instid1(VALU_DEP_2)
	v_dual_lshlrev_b32 v4, 24, v4 :: v_dual_bitop2_b32 v2, 3, v2 bitop3:0x40
	v_cndmask_b32_e32 v5, v7, v5, vcc_lo
	s_delay_alu instid0(VALU_DEP_2) | instskip(NEXT) | instid1(VALU_DEP_3)
	v_cndmask_b32_e32 v2, v3, v2, vcc_lo
	v_and_b32_e32 v3, 0x80000000, v4
	s_delay_alu instid0(VALU_DEP_3) | instskip(NEXT) | instid1(VALU_DEP_3)
	v_lshl_add_u32 v4, v5, 23, 0x37800000
	v_lshlrev_b32_e32 v2, 21, v2
	s_delay_alu instid0(VALU_DEP_1) | instskip(NEXT) | instid1(VALU_DEP_1)
	v_or3_b32 v2, v3, v4, v2
	v_cvt_f64_f32_e32 v[2:3], v2
.LBB8_598:
	s_or_b32 exec_lo, exec_lo, s21
	s_mov_b32 s20, 0
	s_branch .LBB8_604
.LBB8_599:
	s_mov_b32 s21, -1
                                        ; implicit-def: $vgpr2_vgpr3
	s_branch .LBB8_610
.LBB8_600:
	s_or_saveexec_b32 s21, s21
	v_mov_b64_e32 v[2:3], 0x7ff8000020000000
	s_xor_b32 exec_lo, exec_lo, s21
	s_cbranch_execz .LBB8_583
.LBB8_601:
	v_cmp_ne_u16_e32 vcc_lo, 0, v4
	v_mov_b64_e32 v[2:3], 0
	s_and_not1_b32 s20, s20, exec_lo
	s_and_b32 s22, vcc_lo, exec_lo
	s_delay_alu instid0(SALU_CYCLE_1)
	s_or_b32 s20, s20, s22
	s_or_b32 exec_lo, exec_lo, s21
	s_and_saveexec_b32 s21, s20
	s_cbranch_execnz .LBB8_584
	s_branch .LBB8_585
.LBB8_602:
	s_mov_b32 s20, -1
                                        ; implicit-def: $vgpr2_vgpr3
	s_branch .LBB8_607
.LBB8_603:
	s_mov_b32 s20, -1
                                        ; implicit-def: $vgpr2_vgpr3
.LBB8_604:
	s_delay_alu instid0(SALU_CYCLE_1)
	s_and_b32 vcc_lo, exec_lo, s20
	s_cbranch_vccz .LBB8_606
; %bb.605:
	s_wait_loadcnt 0x0
	global_load_u8 v2, v[0:1], off
	s_wait_loadcnt 0x0
	v_lshlrev_b32_e32 v2, 24, v2
	s_delay_alu instid0(VALU_DEP_1) | instskip(NEXT) | instid1(VALU_DEP_1)
	v_and_b32_e32 v3, 0x7f000000, v2
	v_clz_i32_u32_e32 v4, v3
	v_cmp_ne_u32_e32 vcc_lo, 0, v3
	v_add_nc_u32_e32 v6, 0x1000000, v3
	s_delay_alu instid0(VALU_DEP_3) | instskip(NEXT) | instid1(VALU_DEP_1)
	v_min_u32_e32 v4, 32, v4
	v_sub_nc_u32_e64 v4, v4, 4 clamp
	s_delay_alu instid0(VALU_DEP_1) | instskip(NEXT) | instid1(VALU_DEP_1)
	v_dual_lshlrev_b32 v5, v4, v3 :: v_dual_lshlrev_b32 v4, 23, v4
	v_lshrrev_b32_e32 v5, 4, v5
	s_delay_alu instid0(VALU_DEP_1) | instskip(NEXT) | instid1(VALU_DEP_1)
	v_dual_sub_nc_u32 v4, v5, v4 :: v_dual_ashrrev_i32 v5, 8, v6
	v_add_nc_u32_e32 v4, 0x3c000000, v4
	s_delay_alu instid0(VALU_DEP_1) | instskip(NEXT) | instid1(VALU_DEP_1)
	v_and_or_b32 v4, 0x7f800000, v5, v4
	v_cndmask_b32_e32 v3, 0, v4, vcc_lo
	s_delay_alu instid0(VALU_DEP_1) | instskip(NEXT) | instid1(VALU_DEP_1)
	v_and_or_b32 v2, 0x80000000, v2, v3
	v_cvt_f64_f32_e32 v[2:3], v2
.LBB8_606:
	s_mov_b32 s20, 0
.LBB8_607:
	s_delay_alu instid0(SALU_CYCLE_1)
	s_and_not1_b32 vcc_lo, exec_lo, s20
	s_cbranch_vccnz .LBB8_609
; %bb.608:
	s_wait_loadcnt 0x0
	global_load_u8 v2, v[0:1], off
	s_wait_loadcnt 0x0
	v_lshlrev_b32_e32 v3, 25, v2
	v_lshlrev_b16 v2, 8, v2
	s_delay_alu instid0(VALU_DEP_1) | instskip(SKIP_1) | instid1(VALU_DEP_2)
	v_and_or_b32 v5, 0x7f00, v2, 0.5
	v_bfe_i32 v2, v2, 0, 16
	v_dual_add_f32 v5, -0.5, v5 :: v_dual_lshrrev_b32 v4, 4, v3
	v_cmp_gt_u32_e32 vcc_lo, 0x8000000, v3
	s_delay_alu instid0(VALU_DEP_2) | instskip(NEXT) | instid1(VALU_DEP_1)
	v_or_b32_e32 v4, 0x70000000, v4
	v_mul_f32_e32 v4, 0x7800000, v4
	s_delay_alu instid0(VALU_DEP_1) | instskip(NEXT) | instid1(VALU_DEP_1)
	v_cndmask_b32_e32 v3, v4, v5, vcc_lo
	v_and_or_b32 v2, 0x80000000, v2, v3
	s_delay_alu instid0(VALU_DEP_1)
	v_cvt_f64_f32_e32 v[2:3], v2
.LBB8_609:
	s_mov_b32 s21, 0
	s_mov_b32 s20, -1
.LBB8_610:
	s_and_not1_b32 vcc_lo, exec_lo, s21
	s_cbranch_vccnz .LBB8_623
; %bb.611:
	s_cmp_gt_i32 s0, 14
	s_cbranch_scc0 .LBB8_614
; %bb.612:
	s_cmp_eq_u32 s0, 15
	s_cbranch_scc0 .LBB8_617
; %bb.613:
	s_wait_loadcnt 0x0
	global_load_u16 v2, v[0:1], off
	s_mov_b32 s20, -1
	s_mov_b32 s19, 0
	s_wait_loadcnt 0x0
	v_lshlrev_b32_e32 v2, 16, v2
	s_delay_alu instid0(VALU_DEP_1)
	v_cvt_f64_f32_e32 v[2:3], v2
	s_branch .LBB8_618
.LBB8_614:
	s_mov_b32 s21, -1
                                        ; implicit-def: $vgpr2_vgpr3
	s_branch .LBB8_619
.LBB8_615:
	s_or_saveexec_b32 s21, s21
	v_mov_b64_e32 v[2:3], 0x7ff8000020000000
	s_xor_b32 exec_lo, exec_lo, s21
	s_cbranch_execz .LBB8_596
.LBB8_616:
	v_cmp_ne_u16_e32 vcc_lo, 0, v4
	v_mov_b64_e32 v[2:3], 0
	s_and_not1_b32 s20, s20, exec_lo
	s_and_b32 s22, vcc_lo, exec_lo
	s_delay_alu instid0(SALU_CYCLE_1)
	s_or_b32 s20, s20, s22
	s_or_b32 exec_lo, exec_lo, s21
	s_and_saveexec_b32 s21, s20
	s_cbranch_execnz .LBB8_597
	s_branch .LBB8_598
.LBB8_617:
	s_mov_b32 s19, -1
                                        ; implicit-def: $vgpr2_vgpr3
.LBB8_618:
	s_mov_b32 s21, 0
.LBB8_619:
	s_delay_alu instid0(SALU_CYCLE_1)
	s_and_b32 vcc_lo, exec_lo, s21
	s_cbranch_vccz .LBB8_623
; %bb.620:
	s_cmp_eq_u32 s0, 11
	s_cbranch_scc0 .LBB8_622
; %bb.621:
	s_wait_loadcnt 0x0
	global_load_u8 v2, v[0:1], off
	s_mov_b32 s19, 0
	s_mov_b32 s20, -1
	s_wait_loadcnt 0x0
	v_cmp_ne_u16_e32 vcc_lo, 0, v2
	v_mov_b32_e32 v2, 0
	v_cndmask_b32_e64 v3, 0, 0x3ff00000, vcc_lo
	s_branch .LBB8_623
.LBB8_622:
	s_mov_b32 s19, -1
                                        ; implicit-def: $vgpr2_vgpr3
.LBB8_623:
	s_mov_b32 s21, 0
.LBB8_624:
	s_delay_alu instid0(SALU_CYCLE_1)
	s_and_b32 vcc_lo, exec_lo, s21
	s_cbranch_vccz .LBB8_673
; %bb.625:
	s_cmp_lt_i32 s0, 5
	s_cbranch_scc1 .LBB8_630
; %bb.626:
	s_cmp_lt_i32 s0, 8
	s_cbranch_scc1 .LBB8_631
	;; [unrolled: 3-line block ×3, first 2 shown]
; %bb.628:
	s_cmp_gt_i32 s0, 9
	s_cbranch_scc0 .LBB8_633
; %bb.629:
	s_wait_loadcnt 0x0
	global_load_b64 v[2:3], v[0:1], off
	s_mov_b32 s20, 0
	s_branch .LBB8_634
.LBB8_630:
	s_mov_b32 s20, -1
                                        ; implicit-def: $vgpr2_vgpr3
	s_branch .LBB8_652
.LBB8_631:
	s_mov_b32 s20, -1
                                        ; implicit-def: $vgpr2_vgpr3
	s_branch .LBB8_640
.LBB8_632:
	s_mov_b32 s20, -1
                                        ; implicit-def: $vgpr2_vgpr3
	s_branch .LBB8_637
.LBB8_633:
	s_mov_b32 s20, -1
                                        ; implicit-def: $vgpr2_vgpr3
.LBB8_634:
	s_delay_alu instid0(SALU_CYCLE_1)
	s_and_not1_b32 vcc_lo, exec_lo, s20
	s_cbranch_vccnz .LBB8_636
; %bb.635:
	s_wait_loadcnt 0x0
	global_load_b32 v2, v[0:1], off
	s_wait_loadcnt 0x0
	v_cvt_f64_f32_e32 v[2:3], v2
.LBB8_636:
	s_mov_b32 s20, 0
.LBB8_637:
	s_delay_alu instid0(SALU_CYCLE_1)
	s_and_not1_b32 vcc_lo, exec_lo, s20
	s_cbranch_vccnz .LBB8_639
; %bb.638:
	s_wait_loadcnt 0x0
	global_load_b32 v2, v[0:1], off
	s_wait_loadcnt 0x0
	v_cvt_f32_f16_e32 v2, v2
	s_delay_alu instid0(VALU_DEP_1)
	v_cvt_f64_f32_e32 v[2:3], v2
.LBB8_639:
	s_mov_b32 s20, 0
.LBB8_640:
	s_delay_alu instid0(SALU_CYCLE_1)
	s_and_not1_b32 vcc_lo, exec_lo, s20
	s_cbranch_vccnz .LBB8_651
; %bb.641:
	s_cmp_lt_i32 s0, 6
	s_cbranch_scc1 .LBB8_644
; %bb.642:
	s_cmp_gt_i32 s0, 6
	s_cbranch_scc0 .LBB8_645
; %bb.643:
	s_wait_loadcnt 0x0
	global_load_b64 v[2:3], v[0:1], off
	s_mov_b32 s20, 0
	s_branch .LBB8_646
.LBB8_644:
	s_mov_b32 s20, -1
                                        ; implicit-def: $vgpr2_vgpr3
	s_branch .LBB8_649
.LBB8_645:
	s_mov_b32 s20, -1
                                        ; implicit-def: $vgpr2_vgpr3
.LBB8_646:
	s_delay_alu instid0(SALU_CYCLE_1)
	s_and_not1_b32 vcc_lo, exec_lo, s20
	s_cbranch_vccnz .LBB8_648
; %bb.647:
	s_wait_loadcnt 0x0
	global_load_b32 v2, v[0:1], off
	s_wait_loadcnt 0x0
	v_cvt_f64_f32_e32 v[2:3], v2
.LBB8_648:
	s_mov_b32 s20, 0
.LBB8_649:
	s_delay_alu instid0(SALU_CYCLE_1)
	s_and_not1_b32 vcc_lo, exec_lo, s20
	s_cbranch_vccnz .LBB8_651
; %bb.650:
	s_wait_loadcnt 0x0
	global_load_u16 v2, v[0:1], off
	s_wait_loadcnt 0x0
	v_cvt_f32_f16_e32 v2, v2
	s_delay_alu instid0(VALU_DEP_1)
	v_cvt_f64_f32_e32 v[2:3], v2
.LBB8_651:
	s_mov_b32 s20, 0
.LBB8_652:
	s_delay_alu instid0(SALU_CYCLE_1)
	s_and_not1_b32 vcc_lo, exec_lo, s20
	s_cbranch_vccnz .LBB8_672
; %bb.653:
	s_cmp_lt_i32 s0, 2
	s_cbranch_scc1 .LBB8_657
; %bb.654:
	s_cmp_lt_i32 s0, 3
	s_cbranch_scc1 .LBB8_658
; %bb.655:
	s_cmp_gt_i32 s0, 3
	s_cbranch_scc0 .LBB8_659
; %bb.656:
	s_wait_loadcnt 0x0
	global_load_b64 v[2:3], v[0:1], off
	s_mov_b32 s20, 0
	s_wait_loadcnt 0x0
	v_cvt_f64_i32_e32 v[4:5], v3
	v_cvt_f64_u32_e32 v[2:3], v2
	s_delay_alu instid0(VALU_DEP_2) | instskip(NEXT) | instid1(VALU_DEP_1)
	v_ldexp_f64 v[4:5], v[4:5], 32
	v_add_f64_e32 v[2:3], v[4:5], v[2:3]
	s_branch .LBB8_660
.LBB8_657:
	s_mov_b32 s20, -1
                                        ; implicit-def: $vgpr2_vgpr3
	s_branch .LBB8_666
.LBB8_658:
	s_mov_b32 s20, -1
                                        ; implicit-def: $vgpr2_vgpr3
	s_branch .LBB8_663
.LBB8_659:
	s_mov_b32 s20, -1
                                        ; implicit-def: $vgpr2_vgpr3
.LBB8_660:
	s_delay_alu instid0(SALU_CYCLE_1)
	s_and_not1_b32 vcc_lo, exec_lo, s20
	s_cbranch_vccnz .LBB8_662
; %bb.661:
	s_wait_loadcnt 0x0
	global_load_b32 v2, v[0:1], off
	s_wait_loadcnt 0x0
	v_cvt_f64_i32_e32 v[2:3], v2
.LBB8_662:
	s_mov_b32 s20, 0
.LBB8_663:
	s_delay_alu instid0(SALU_CYCLE_1)
	s_and_not1_b32 vcc_lo, exec_lo, s20
	s_cbranch_vccnz .LBB8_665
; %bb.664:
	s_wait_loadcnt 0x0
	global_load_i16 v2, v[0:1], off
	s_wait_loadcnt 0x0
	v_cvt_f64_i32_e32 v[2:3], v2
.LBB8_665:
	s_mov_b32 s20, 0
.LBB8_666:
	s_delay_alu instid0(SALU_CYCLE_1)
	s_and_not1_b32 vcc_lo, exec_lo, s20
	s_cbranch_vccnz .LBB8_672
; %bb.667:
	s_cmp_gt_i32 s0, 0
	s_mov_b32 s0, 0
	s_cbranch_scc0 .LBB8_669
; %bb.668:
	s_wait_loadcnt 0x0
	global_load_i8 v2, v[0:1], off
	s_wait_loadcnt 0x0
	v_cvt_f64_i32_e32 v[2:3], v2
	s_branch .LBB8_670
.LBB8_669:
	s_mov_b32 s0, -1
                                        ; implicit-def: $vgpr2_vgpr3
.LBB8_670:
	s_delay_alu instid0(SALU_CYCLE_1)
	s_and_not1_b32 vcc_lo, exec_lo, s0
	s_cbranch_vccnz .LBB8_672
; %bb.671:
	global_load_u8 v0, v[0:1], off
	s_wait_loadcnt 0x0
	v_cvt_f64_u32_e32 v[2:3], v0
.LBB8_672:
	s_mov_b32 s20, -1
.LBB8_673:
	s_delay_alu instid0(SALU_CYCLE_1)
	s_and_not1_b32 vcc_lo, exec_lo, s20
	s_cbranch_vccnz .LBB8_693
; %bb.674:
	s_wait_loadcnt 0x0
	s_delay_alu instid0(VALU_DEP_1) | instskip(SKIP_2) | instid1(SALU_CYCLE_1)
	v_cmp_ge_f64_e64 s0, 0x40200000, |v[2:3]|
                                        ; implicit-def: $vgpr0_vgpr1
	s_wait_xcnt 0x0
	s_and_saveexec_b32 s20, s0
	s_xor_b32 s0, exec_lo, s20
	s_cbranch_execz .LBB8_680
; %bb.675:
	v_fma_f64 v[0:1], |v[2:3]|, 0.5, -2.0
	s_mov_b64 s[20:21], 0x3c499f2a0c3c4014
	s_delay_alu instid0(VALU_DEP_1) | instid1(SALU_CYCLE_1)
	v_fmaak_f64 v[4:5], s[20:21], v[0:1], 0xbc7857d0c38a0576
	s_mov_b64 s[20:21], 0x3ff71547652b82fe
	s_delay_alu instid0(SALU_CYCLE_1) | instskip(SKIP_1) | instid1(VALU_DEP_2)
	v_mul_f64_e64 v[8:9], |v[2:3]|, s[20:21]
	s_mov_b64 s[20:21], 0xbfe62e42fefa39ef
	v_fmaak_f64 v[6:7], v[0:1], v[4:5], 0xbc499f2a0c3c4014
	s_delay_alu instid0(VALU_DEP_1) | instskip(NEXT) | instid1(VALU_DEP_3)
	v_add_f64_e32 v[6:7], 0x3ca663e3e593bfac, v[6:7]
	v_rndne_f64_e32 v[8:9], v[8:9]
	s_delay_alu instid0(VALU_DEP_2) | instskip(NEXT) | instid1(VALU_DEP_2)
	v_fma_f64 v[4:5], v[0:1], v[6:7], -v[4:5]
	v_fma_f64 v[10:11], v[8:9], s[20:21], |v[2:3]|
	s_mov_b64 s[20:21], 0x3e5ade156a5dcb37
	s_delay_alu instid0(VALU_DEP_2) | instskip(NEXT) | instid1(VALU_DEP_1)
	v_add_f64_e32 v[4:5], 0xbcd3eaaa7e0d1573, v[4:5]
	v_fma_f64 v[6:7], v[0:1], v[4:5], -v[6:7]
	s_delay_alu instid0(VALU_DEP_1) | instskip(NEXT) | instid1(VALU_DEP_1)
	v_add_f64_e32 v[6:7], 0x3d011d7f0615290c, v[6:7]
	v_fma_f64 v[4:5], v[0:1], v[6:7], -v[4:5]
	s_delay_alu instid0(VALU_DEP_1) | instskip(NEXT) | instid1(VALU_DEP_1)
	;; [unrolled: 3-line block ×24, first 2 shown]
	v_add_f64_e32 v[4:5], 0xbfc694d10469192e, v[4:5]
	v_fma_f64 v[0:1], v[0:1], v[4:5], -v[6:7]
	v_fmamk_f64 v[4:5], v[8:9], 0xbc7abc9e3b39803f, v[10:11]
	v_cvt_i32_f64_e32 v8, v[8:9]
	s_delay_alu instid0(VALU_DEP_2) | instskip(SKIP_1) | instid1(VALU_DEP_1)
	v_fmaak_f64 v[10:11], s[20:21], v[4:5], 0x3e928af3fca7ab0c
	s_mov_b32 s20, exec_lo
	v_fmaak_f64 v[10:11], v[4:5], v[10:11], 0x3ec71dee623fde64
	s_delay_alu instid0(VALU_DEP_1) | instskip(NEXT) | instid1(VALU_DEP_1)
	v_fmaak_f64 v[10:11], v[4:5], v[10:11], 0x3efa01997c89e6b0
	v_fmaak_f64 v[10:11], v[4:5], v[10:11], 0x3f2a01a014761f6e
	v_add_f64_e32 v[0:1], 0x3fd02a63724a7ffa, v[0:1]
	s_delay_alu instid0(VALU_DEP_2) | instskip(NEXT) | instid1(VALU_DEP_2)
	v_fmaak_f64 v[10:11], v[4:5], v[10:11], 0x3f56c16c1852b7b0
	v_add_f64_e64 v[0:1], v[0:1], -v[6:7]
	s_delay_alu instid0(VALU_DEP_2) | instskip(NEXT) | instid1(VALU_DEP_1)
	v_fmaak_f64 v[6:7], v[4:5], v[10:11], 0x3f81111111122322
	v_fmaak_f64 v[6:7], v[4:5], v[6:7], 0x3fa55555555502a1
	s_delay_alu instid0(VALU_DEP_1) | instskip(NEXT) | instid1(VALU_DEP_1)
	v_fmaak_f64 v[6:7], v[4:5], v[6:7], 0x3fc5555555555511
	v_fmaak_f64 v[6:7], v[4:5], v[6:7], 0x3fe000000000000b
	s_delay_alu instid0(VALU_DEP_1) | instskip(SKIP_1) | instid1(VALU_DEP_2)
	v_fma_f64 v[6:7], v[4:5], v[6:7], 1.0
	v_mul_f64_e32 v[0:1], 0.5, v[0:1]
	v_fma_f64 v[6:7], v[4:5], v[6:7], 1.0
	s_delay_alu instid0(VALU_DEP_2)
	v_mul_f64_e64 v[4:5], |v[2:3]|, v[0:1]
                                        ; implicit-def: $vgpr0_vgpr1
	v_cmpx_ngt_f64_e32 0, v[2:3]
	s_xor_b32 s20, exec_lo, s20
	s_cbranch_execz .LBB8_677
; %bb.676:
	s_delay_alu instid0(VALU_DEP_3) | instskip(SKIP_1) | instid1(VALU_DEP_2)
	v_ldexp_f64 v[0:1], v[6:7], v8
	v_cmp_nlt_f64_e64 vcc_lo, 0x40900000, |v[2:3]|
                                        ; implicit-def: $vgpr6_vgpr7
                                        ; implicit-def: $vgpr8
                                        ; implicit-def: $vgpr2_vgpr3
	v_cndmask_b32_e32 v1, 0x7ff00000, v1, vcc_lo
	s_delay_alu instid0(VALU_DEP_3) | instskip(NEXT) | instid1(VALU_DEP_1)
	v_cndmask_b32_e32 v0, 0, v0, vcc_lo
	v_mul_f64_e32 v[0:1], v[0:1], v[4:5]
                                        ; implicit-def: $vgpr4_vgpr5
.LBB8_677:
	s_and_not1_saveexec_b32 s20, s20
	s_cbranch_execz .LBB8_679
; %bb.678:
	s_delay_alu instid0(VALU_DEP_3) | instskip(SKIP_1) | instid1(VALU_DEP_2)
	v_ldexp_f64 v[0:1], -v[6:7], v8
	v_cmp_nlt_f64_e64 vcc_lo, 0x40900000, |v[2:3]|
	v_cndmask_b32_e32 v1, 0xfff00000, v1, vcc_lo
	s_delay_alu instid0(VALU_DEP_3) | instskip(NEXT) | instid1(VALU_DEP_1)
	v_cndmask_b32_e32 v0, 0, v0, vcc_lo
	v_mul_f64_e32 v[0:1], v[0:1], v[4:5]
.LBB8_679:
	s_or_b32 exec_lo, exec_lo, s20
                                        ; implicit-def: $vgpr2_vgpr3
.LBB8_680:
	s_and_not1_saveexec_b32 s20, s0
	s_cbranch_execz .LBB8_686
; %bb.681:
	v_and_b32_e32 v1, 0x7fffffff, v3
	v_mov_b32_e32 v0, v2
	s_mov_b64 s[22:23], 0x3c61556db352e8e6
	v_cmp_ngt_f64_e64 s0, 0, v[2:3]
	s_delay_alu instid0(VALU_DEP_2) | instskip(SKIP_1) | instid1(VALU_DEP_2)
	v_div_scale_f64 v[4:5], null, v[0:1], v[0:1], 0x40400000
	v_div_scale_f64 v[0:1], vcc_lo, 0x40400000, v[0:1], 0x40400000
	v_rcp_f64_e32 v[6:7], v[4:5]
	v_nop
	s_delay_alu instid0(TRANS32_DEP_1) | instskip(NEXT) | instid1(VALU_DEP_1)
	v_fma_f64 v[8:9], -v[4:5], v[6:7], 1.0
	v_fmac_f64_e32 v[6:7], v[6:7], v[8:9]
	s_delay_alu instid0(VALU_DEP_1) | instskip(NEXT) | instid1(VALU_DEP_1)
	v_fma_f64 v[8:9], -v[4:5], v[6:7], 1.0
	v_fmac_f64_e32 v[6:7], v[6:7], v[8:9]
	s_delay_alu instid0(VALU_DEP_1) | instskip(NEXT) | instid1(VALU_DEP_1)
	v_mul_f64_e32 v[8:9], v[0:1], v[6:7]
	v_fma_f64 v[0:1], -v[4:5], v[8:9], v[0:1]
	s_delay_alu instid0(VALU_DEP_1) | instskip(SKIP_1) | instid1(VALU_DEP_2)
	v_div_fmas_f64 v[0:1], v[0:1], v[6:7], v[8:9]
	v_cmp_nlt_f64_e64 vcc_lo, 0x40900000, |v[2:3]|
	v_div_fixup_f64 v[0:1], v[0:1], |v[2:3]|, 0x40400000
	s_delay_alu instid0(VALU_DEP_1) | instskip(NEXT) | instid1(VALU_DEP_1)
	v_add_f64_e32 v[0:1], -2.0, v[0:1]
	v_fmaak_f64 v[4:5], s[22:23], v[0:1], 0x3c545b8aea87b950
	s_mov_b64 s[22:23], 0x3ff71547652b82fe
	s_delay_alu instid0(SALU_CYCLE_1) | instskip(SKIP_1) | instid1(VALU_DEP_2)
	v_mul_f64_e64 v[8:9], |v[2:3]|, s[22:23]
	s_mov_b64 s[22:23], 0xbfe62e42fefa39ef
	v_fmaak_f64 v[6:7], v[0:1], v[4:5], 0xbc61556db352e8e6
	s_delay_alu instid0(VALU_DEP_1) | instskip(NEXT) | instid1(VALU_DEP_3)
	v_add_f64_e32 v[6:7], 0xbc8acea3b2532277, v[6:7]
	v_rndne_f64_e32 v[8:9], v[8:9]
	s_delay_alu instid0(VALU_DEP_2) | instskip(NEXT) | instid1(VALU_DEP_2)
	v_fma_f64 v[4:5], v[0:1], v[6:7], -v[4:5]
	v_fma_f64 v[10:11], v[8:9], s[22:23], |v[2:3]|
	s_mov_b64 s[22:23], 0x3e5ade156a5dcb37
	s_delay_alu instid0(VALU_DEP_2) | instskip(NEXT) | instid1(VALU_DEP_2)
	v_add_f64_e32 v[4:5], 0xbc82806c9c773320, v[4:5]
	v_fmamk_f64 v[10:11], v[8:9], 0xbc7abc9e3b39803f, v[10:11]
	v_cvt_i32_f64_e32 v8, v[8:9]
	s_delay_alu instid0(VALU_DEP_2) | instskip(NEXT) | instid1(VALU_DEP_4)
	v_fmaak_f64 v[12:13], s[22:23], v[10:11], 0x3e928af3fca7ab0c
	v_fma_f64 v[6:7], v[0:1], v[4:5], -v[6:7]
	s_delay_alu instid0(VALU_DEP_2) | instskip(NEXT) | instid1(VALU_DEP_1)
	v_fmaak_f64 v[12:13], v[10:11], v[12:13], 0x3ec71dee623fde64
	v_fmaak_f64 v[12:13], v[10:11], v[12:13], 0x3efa01997c89e6b0
	s_delay_alu instid0(VALU_DEP_1) | instskip(NEXT) | instid1(VALU_DEP_1)
	v_fmaak_f64 v[12:13], v[10:11], v[12:13], 0x3f2a01a014761f6e
	v_fmaak_f64 v[12:13], v[10:11], v[12:13], 0x3f56c16c1852b7b0
	s_delay_alu instid0(VALU_DEP_1) | instskip(SKIP_1) | instid1(VALU_DEP_2)
	v_fmaak_f64 v[12:13], v[10:11], v[12:13], 0x3f81111111122322
	v_add_f64_e32 v[6:7], 0x3cb55915fceb588a, v[6:7]
	v_fmaak_f64 v[12:13], v[10:11], v[12:13], 0x3fa55555555502a1
	s_delay_alu instid0(VALU_DEP_1) | instskip(NEXT) | instid1(VALU_DEP_1)
	v_fmaak_f64 v[12:13], v[10:11], v[12:13], 0x3fc5555555555511
	v_fmaak_f64 v[12:13], v[10:11], v[12:13], 0x3fe000000000000b
	s_delay_alu instid0(VALU_DEP_1) | instskip(SKIP_1) | instid1(VALU_DEP_1)
	v_fma_f64 v[12:13], v[10:11], v[12:13], 1.0
	v_fma_f64 v[4:5], v[0:1], v[6:7], -v[4:5]
	v_add_f64_e32 v[4:5], 0x3cb7d68e5f04a2d1, v[4:5]
	s_delay_alu instid0(VALU_DEP_1) | instskip(NEXT) | instid1(VALU_DEP_1)
	v_fma_f64 v[6:7], v[0:1], v[4:5], -v[6:7]
	v_add_f64_e32 v[6:7], 0xbce0efcd8bc4d22a, v[6:7]
	s_delay_alu instid0(VALU_DEP_1) | instskip(NEXT) | instid1(VALU_DEP_1)
	;; [unrolled: 3-line block ×18, first 2 shown]
	v_fma_f64 v[4:5], v[0:1], v[6:7], -v[4:5]
	v_add_f64_e32 v[4:5], 0xbf83fda053fcdb4c, v[4:5]
	s_delay_alu instid0(VALU_DEP_1) | instskip(SKIP_1) | instid1(VALU_DEP_2)
	v_fma_f64 v[0:1], v[0:1], v[4:5], -v[6:7]
	v_fma_f64 v[4:5], v[10:11], v[12:13], 1.0
	v_add_f64_e32 v[0:1], 0x3fe8ea18b55b1514, v[0:1]
	s_delay_alu instid0(VALU_DEP_2) | instskip(NEXT) | instid1(VALU_DEP_2)
	v_ldexp_f64 v[4:5], v[4:5], v8
	v_add_f64_e64 v[6:7], v[0:1], -v[6:7]
	s_delay_alu instid0(VALU_DEP_2) | instskip(NEXT) | instid1(VALU_DEP_3)
	v_cndmask_b32_e32 v5, 0x7ff00000, v5, vcc_lo
	v_cndmask_b32_e32 v4, 0, v4, vcc_lo
                                        ; implicit-def: $vgpr0_vgpr1
	s_and_saveexec_b32 s21, s0
	s_delay_alu instid0(SALU_CYCLE_1)
	s_xor_b32 s0, exec_lo, s21
	s_cbranch_execz .LBB8_683
; %bb.682:
	v_cmp_gt_f64_e64 s21, 0x10000000, |v[2:3]|
	s_delay_alu instid0(VALU_DEP_1) | instskip(NEXT) | instid1(VALU_DEP_1)
	v_cndmask_b32_e64 v0, 0, 0x100, s21
	v_ldexp_f64 v[0:1], |v[2:3]|, v0
	s_delay_alu instid0(VALU_DEP_1) | instskip(SKIP_1) | instid1(TRANS32_DEP_1)
	v_rsq_f64_e32 v[2:3], v[0:1]
	v_cmp_class_f64_e64 vcc_lo, v[0:1], 0x260
	v_mul_f64_e32 v[8:9], v[0:1], v[2:3]
	v_mul_f64_e32 v[2:3], 0.5, v[2:3]
	s_delay_alu instid0(VALU_DEP_1) | instskip(NEXT) | instid1(VALU_DEP_1)
	v_fma_f64 v[10:11], -v[2:3], v[8:9], 0.5
	v_fmac_f64_e32 v[8:9], v[8:9], v[10:11]
	v_fmac_f64_e32 v[2:3], v[2:3], v[10:11]
	s_delay_alu instid0(VALU_DEP_2) | instskip(NEXT) | instid1(VALU_DEP_1)
	v_fma_f64 v[10:11], -v[8:9], v[8:9], v[0:1]
	v_fmac_f64_e32 v[8:9], v[10:11], v[2:3]
	s_delay_alu instid0(VALU_DEP_1) | instskip(NEXT) | instid1(VALU_DEP_1)
	v_fma_f64 v[10:11], -v[8:9], v[8:9], v[0:1]
	v_fmac_f64_e32 v[8:9], v[10:11], v[2:3]
	v_mul_f64_e32 v[2:3], 0.5, v[6:7]
	v_cndmask_b32_e64 v6, 0, 0xffffff80, s21
	s_delay_alu instid0(VALU_DEP_1) | instskip(NEXT) | instid1(VALU_DEP_1)
	v_ldexp_f64 v[6:7], v[8:9], v6
	v_dual_mul_f64 v[2:3], v[4:5], v[2:3] :: v_dual_cndmask_b32 v1, v7, v1, vcc_lo
	s_delay_alu instid0(VALU_DEP_2) | instskip(NEXT) | instid1(VALU_DEP_1)
	v_cndmask_b32_e32 v0, v6, v0, vcc_lo
	v_div_scale_f64 v[4:5], null, v[0:1], v[0:1], v[2:3]
	s_delay_alu instid0(VALU_DEP_1) | instskip(SKIP_1) | instid1(TRANS32_DEP_1)
	v_rcp_f64_e32 v[6:7], v[4:5]
	v_nop
	v_fma_f64 v[8:9], -v[4:5], v[6:7], 1.0
	s_delay_alu instid0(VALU_DEP_1) | instskip(NEXT) | instid1(VALU_DEP_1)
	v_fmac_f64_e32 v[6:7], v[6:7], v[8:9]
	v_fma_f64 v[8:9], -v[4:5], v[6:7], 1.0
	s_delay_alu instid0(VALU_DEP_1) | instskip(SKIP_1) | instid1(VALU_DEP_1)
	v_fmac_f64_e32 v[6:7], v[6:7], v[8:9]
	v_div_scale_f64 v[8:9], vcc_lo, v[2:3], v[0:1], v[2:3]
	v_mul_f64_e32 v[10:11], v[8:9], v[6:7]
	s_delay_alu instid0(VALU_DEP_1) | instskip(NEXT) | instid1(VALU_DEP_1)
	v_fma_f64 v[4:5], -v[4:5], v[10:11], v[8:9]
	v_div_fmas_f64 v[4:5], v[4:5], v[6:7], v[10:11]
                                        ; implicit-def: $vgpr6_vgpr7
	s_delay_alu instid0(VALU_DEP_1)
	v_div_fixup_f64 v[0:1], v[4:5], v[0:1], v[2:3]
                                        ; implicit-def: $vgpr2_vgpr3
                                        ; implicit-def: $vgpr4_vgpr5
.LBB8_683:
	s_and_not1_saveexec_b32 s0, s0
	s_cbranch_execz .LBB8_685
; %bb.684:
	v_cmp_gt_f64_e64 s21, 0x10000000, |v[2:3]|
	s_delay_alu instid0(VALU_DEP_1) | instskip(NEXT) | instid1(VALU_DEP_1)
	v_cndmask_b32_e64 v0, 0, 0x100, s21
	v_ldexp_f64 v[0:1], |v[2:3]|, v0
	s_delay_alu instid0(VALU_DEP_1) | instskip(SKIP_1) | instid1(TRANS32_DEP_1)
	v_rsq_f64_e32 v[2:3], v[0:1]
	v_cmp_class_f64_e64 vcc_lo, v[0:1], 0x260
	v_mul_f64_e32 v[8:9], v[0:1], v[2:3]
	v_mul_f64_e32 v[2:3], 0.5, v[2:3]
	s_delay_alu instid0(VALU_DEP_1) | instskip(NEXT) | instid1(VALU_DEP_1)
	v_fma_f64 v[10:11], -v[2:3], v[8:9], 0.5
	v_fmac_f64_e32 v[8:9], v[8:9], v[10:11]
	v_fmac_f64_e32 v[2:3], v[2:3], v[10:11]
	s_delay_alu instid0(VALU_DEP_2) | instskip(NEXT) | instid1(VALU_DEP_1)
	v_fma_f64 v[10:11], -v[8:9], v[8:9], v[0:1]
	v_fmac_f64_e32 v[8:9], v[10:11], v[2:3]
	s_delay_alu instid0(VALU_DEP_1) | instskip(NEXT) | instid1(VALU_DEP_1)
	v_fma_f64 v[10:11], -v[8:9], v[8:9], v[0:1]
	v_fmac_f64_e32 v[8:9], v[10:11], v[2:3]
	v_mul_f64_e32 v[2:3], -0.5, v[6:7]
	v_cndmask_b32_e64 v6, 0, 0xffffff80, s21
	s_delay_alu instid0(VALU_DEP_1) | instskip(NEXT) | instid1(VALU_DEP_1)
	v_ldexp_f64 v[6:7], v[8:9], v6
	v_dual_mul_f64 v[2:3], v[4:5], v[2:3] :: v_dual_cndmask_b32 v1, v7, v1, vcc_lo
	s_delay_alu instid0(VALU_DEP_2) | instskip(NEXT) | instid1(VALU_DEP_1)
	v_cndmask_b32_e32 v0, v6, v0, vcc_lo
	v_div_scale_f64 v[4:5], null, v[0:1], v[0:1], v[2:3]
	s_delay_alu instid0(VALU_DEP_1) | instskip(SKIP_1) | instid1(TRANS32_DEP_1)
	v_rcp_f64_e32 v[6:7], v[4:5]
	v_nop
	v_fma_f64 v[8:9], -v[4:5], v[6:7], 1.0
	s_delay_alu instid0(VALU_DEP_1) | instskip(NEXT) | instid1(VALU_DEP_1)
	v_fmac_f64_e32 v[6:7], v[6:7], v[8:9]
	v_fma_f64 v[8:9], -v[4:5], v[6:7], 1.0
	s_delay_alu instid0(VALU_DEP_1) | instskip(SKIP_1) | instid1(VALU_DEP_1)
	v_fmac_f64_e32 v[6:7], v[6:7], v[8:9]
	v_div_scale_f64 v[8:9], vcc_lo, v[2:3], v[0:1], v[2:3]
	v_mul_f64_e32 v[10:11], v[8:9], v[6:7]
	s_delay_alu instid0(VALU_DEP_1) | instskip(NEXT) | instid1(VALU_DEP_1)
	v_fma_f64 v[4:5], -v[4:5], v[10:11], v[8:9]
	v_div_fmas_f64 v[4:5], v[4:5], v[6:7], v[10:11]
	s_delay_alu instid0(VALU_DEP_1)
	v_div_fixup_f64 v[0:1], v[4:5], v[0:1], v[2:3]
.LBB8_685:
	s_or_b32 exec_lo, exec_lo, s0
.LBB8_686:
	s_delay_alu instid0(SALU_CYCLE_1) | instskip(SKIP_2) | instid1(SALU_CYCLE_1)
	s_or_b32 exec_lo, exec_lo, s20
	v_mul_lo_u32 v2, v14, s2
	s_and_b32 s20, s8, 0xff
	s_cmp_lt_i32 s20, 11
	s_delay_alu instid0(VALU_DEP_1) | instskip(NEXT) | instid1(VALU_DEP_1)
	v_ashrrev_i32_e32 v3, 31, v2
	v_add_nc_u64_e32 v[4:5], s[4:5], v[2:3]
	s_cbranch_scc1 .LBB8_694
; %bb.687:
	s_and_b32 s21, 0xffff, s20
	s_delay_alu instid0(SALU_CYCLE_1)
	s_cmp_gt_i32 s21, 25
	s_cbranch_scc0 .LBB8_695
; %bb.688:
	s_cmp_gt_i32 s21, 28
	s_cbranch_scc0 .LBB8_696
; %bb.689:
	;; [unrolled: 3-line block ×4, first 2 shown]
	s_mov_b32 s23, 0
	s_mov_b32 s0, -1
	s_cmp_eq_u32 s21, 46
	s_mov_b32 s22, 0
	s_cbranch_scc0 .LBB8_699
; %bb.692:
	s_delay_alu instid0(VALU_DEP_4) | instskip(SKIP_2) | instid1(VALU_DEP_1)
	v_cvt_f32_f64_e32 v2, v[0:1]
	s_mov_b32 s22, -1
	s_mov_b32 s0, 0
	v_bfe_u32 v3, v2, 16, 1
	v_cmp_o_f32_e32 vcc_lo, v2, v2
	s_delay_alu instid0(VALU_DEP_2) | instskip(NEXT) | instid1(VALU_DEP_1)
	v_add3_u32 v3, v2, v3, 0x7fff
	v_lshrrev_b32_e32 v3, 16, v3
	s_delay_alu instid0(VALU_DEP_1)
	v_cndmask_b32_e32 v2, 0x7fc0, v3, vcc_lo
	global_store_b32 v[4:5], v2, off
	s_branch .LBB8_699
.LBB8_693:
	s_mov_b32 s20, 0
	s_mov_b32 s0, s16
	s_branch .LBB8_810
.LBB8_694:
	s_mov_b32 s21, -1
	s_mov_b32 s22, 0
	s_mov_b32 s0, s16
	s_branch .LBB8_768
.LBB8_695:
	s_mov_b32 s23, -1
	s_mov_b32 s22, 0
	s_mov_b32 s0, s16
	s_branch .LBB8_726
.LBB8_696:
	s_mov_b32 s23, -1
	s_mov_b32 s22, 0
	s_mov_b32 s0, s16
	s_branch .LBB8_709
.LBB8_697:
	s_mov_b32 s23, -1
	s_mov_b32 s22, 0
	s_mov_b32 s0, s16
	s_branch .LBB8_705
.LBB8_698:
	s_mov_b32 s23, -1
	s_mov_b32 s22, 0
	s_mov_b32 s0, s16
.LBB8_699:
	s_and_b32 vcc_lo, exec_lo, s23
	s_cbranch_vccz .LBB8_704
; %bb.700:
	s_cmp_eq_u32 s21, 44
	s_mov_b32 s0, -1
	s_cbranch_scc0 .LBB8_704
; %bb.701:
	s_wait_xcnt 0x0
	s_delay_alu instid0(VALU_DEP_4) | instskip(SKIP_2) | instid1(VALU_DEP_2)
	v_cvt_f32_f64_e32 v2, v[0:1]
	v_mov_b32_e32 v3, 0xff
	s_mov_b32 s22, exec_lo
	v_bfe_u32 v6, v2, 23, 8
	s_delay_alu instid0(VALU_DEP_1)
	v_cmpx_ne_u32_e32 0xff, v6
	s_cbranch_execz .LBB8_703
; %bb.702:
	v_and_b32_e32 v3, 0x400000, v2
	v_and_or_b32 v6, 0x3fffff, v2, v6
	v_lshrrev_b32_e32 v2, 23, v2
	s_delay_alu instid0(VALU_DEP_3) | instskip(NEXT) | instid1(VALU_DEP_3)
	v_cmp_ne_u32_e32 vcc_lo, 0, v3
	v_cmp_ne_u32_e64 s0, 0, v6
	s_and_b32 s0, vcc_lo, s0
	s_delay_alu instid0(SALU_CYCLE_1) | instskip(NEXT) | instid1(VALU_DEP_1)
	v_cndmask_b32_e64 v3, 0, 1, s0
	v_add_nc_u32_e32 v3, v2, v3
.LBB8_703:
	s_or_b32 exec_lo, exec_lo, s22
	s_mov_b32 s22, -1
	s_mov_b32 s0, 0
	global_store_b8 v[4:5], v3, off
.LBB8_704:
	s_mov_b32 s23, 0
.LBB8_705:
	s_delay_alu instid0(SALU_CYCLE_1)
	s_and_b32 vcc_lo, exec_lo, s23
	s_cbranch_vccz .LBB8_708
; %bb.706:
	s_cmp_eq_u32 s21, 29
	s_mov_b32 s0, -1
	s_cbranch_scc0 .LBB8_708
; %bb.707:
	s_wait_xcnt 0x0
	s_delay_alu instid0(VALU_DEP_4) | instskip(SKIP_3) | instid1(VALU_DEP_1)
	v_trunc_f64_e32 v[2:3], v[0:1]
	s_mov_b32 s22, -1
	s_mov_b32 s0, 0
	s_mov_b32 s23, 0
	v_ldexp_f64 v[6:7], v[2:3], 0xffffffe0
	s_delay_alu instid0(VALU_DEP_1) | instskip(NEXT) | instid1(VALU_DEP_1)
	v_floor_f64_e32 v[6:7], v[6:7]
	v_fmamk_f64 v[2:3], v[6:7], 0xc1f00000, v[2:3]
	v_cvt_u32_f64_e32 v7, v[6:7]
	s_delay_alu instid0(VALU_DEP_2)
	v_cvt_u32_f64_e32 v6, v[2:3]
	global_store_b64 v[4:5], v[6:7], off
	s_branch .LBB8_709
.LBB8_708:
	s_mov_b32 s23, 0
.LBB8_709:
	s_delay_alu instid0(SALU_CYCLE_1)
	s_and_b32 vcc_lo, exec_lo, s23
	s_cbranch_vccz .LBB8_725
; %bb.710:
	s_cmp_lt_i32 s21, 27
	s_mov_b32 s22, -1
	s_cbranch_scc1 .LBB8_716
; %bb.711:
	s_wait_xcnt 0x0
	s_delay_alu instid0(VALU_DEP_4)
	v_cvt_u32_f64_e32 v2, v[0:1]
	s_cmp_gt_i32 s21, 27
	s_cbranch_scc0 .LBB8_713
; %bb.712:
	s_mov_b32 s22, 0
	global_store_b32 v[4:5], v2, off
.LBB8_713:
	s_and_not1_b32 vcc_lo, exec_lo, s22
	s_cbranch_vccnz .LBB8_715
; %bb.714:
	global_store_b16 v[4:5], v2, off
.LBB8_715:
	s_mov_b32 s22, 0
.LBB8_716:
	s_delay_alu instid0(SALU_CYCLE_1)
	s_and_not1_b32 vcc_lo, exec_lo, s22
	s_cbranch_vccnz .LBB8_724
; %bb.717:
	s_wait_xcnt 0x0
	s_delay_alu instid0(VALU_DEP_4) | instskip(SKIP_2) | instid1(VALU_DEP_2)
	v_cvt_f32_f64_e32 v2, v[0:1]
	v_mov_b32_e32 v6, 0x80
	s_mov_b32 s22, exec_lo
	v_and_b32_e32 v3, 0x7fffffff, v2
	s_delay_alu instid0(VALU_DEP_1)
	v_cmpx_gt_u32_e32 0x43800000, v3
	s_cbranch_execz .LBB8_723
; %bb.718:
	v_cmp_lt_u32_e32 vcc_lo, 0x3bffffff, v3
	s_mov_b32 s23, 0
                                        ; implicit-def: $vgpr3
	s_and_saveexec_b32 s24, vcc_lo
	s_delay_alu instid0(SALU_CYCLE_1)
	s_xor_b32 s24, exec_lo, s24
	s_cbranch_execz .LBB8_825
; %bb.719:
	v_bfe_u32 v3, v2, 20, 1
	s_mov_b32 s23, exec_lo
	s_delay_alu instid0(VALU_DEP_1) | instskip(NEXT) | instid1(VALU_DEP_1)
	v_add3_u32 v3, v2, v3, 0x487ffff
	v_lshrrev_b32_e32 v3, 20, v3
	s_and_not1_saveexec_b32 s24, s24
	s_cbranch_execnz .LBB8_826
.LBB8_720:
	s_or_b32 exec_lo, exec_lo, s24
	v_mov_b32_e32 v6, 0
	s_and_saveexec_b32 s24, s23
.LBB8_721:
	v_lshrrev_b32_e32 v2, 24, v2
	s_delay_alu instid0(VALU_DEP_1)
	v_and_or_b32 v6, 0x80, v2, v3
.LBB8_722:
	s_or_b32 exec_lo, exec_lo, s24
.LBB8_723:
	s_delay_alu instid0(SALU_CYCLE_1)
	s_or_b32 exec_lo, exec_lo, s22
	global_store_b8 v[4:5], v6, off
.LBB8_724:
	s_mov_b32 s22, -1
.LBB8_725:
	s_mov_b32 s23, 0
.LBB8_726:
	s_delay_alu instid0(SALU_CYCLE_1)
	s_and_b32 vcc_lo, exec_lo, s23
	s_cbranch_vccz .LBB8_767
; %bb.727:
	s_cmp_gt_i32 s21, 22
	s_mov_b32 s23, -1
	s_cbranch_scc0 .LBB8_759
; %bb.728:
	s_cmp_lt_i32 s21, 24
	s_mov_b32 s22, -1
	s_cbranch_scc1 .LBB8_748
; %bb.729:
	s_cmp_gt_i32 s21, 24
	s_cbranch_scc0 .LBB8_737
; %bb.730:
	s_wait_xcnt 0x0
	s_delay_alu instid0(VALU_DEP_4) | instskip(SKIP_2) | instid1(VALU_DEP_2)
	v_cvt_f32_f64_e32 v2, v[0:1]
	v_mov_b32_e32 v6, 0x80
	s_mov_b32 s22, exec_lo
	v_and_b32_e32 v3, 0x7fffffff, v2
	s_delay_alu instid0(VALU_DEP_1)
	v_cmpx_gt_u32_e32 0x47800000, v3
	s_cbranch_execz .LBB8_736
; %bb.731:
	v_cmp_lt_u32_e32 vcc_lo, 0x37ffffff, v3
	s_mov_b32 s23, 0
                                        ; implicit-def: $vgpr3
	s_and_saveexec_b32 s24, vcc_lo
	s_delay_alu instid0(SALU_CYCLE_1)
	s_xor_b32 s24, exec_lo, s24
	s_cbranch_execz .LBB8_828
; %bb.732:
	v_bfe_u32 v3, v2, 21, 1
	s_mov_b32 s23, exec_lo
	s_delay_alu instid0(VALU_DEP_1) | instskip(NEXT) | instid1(VALU_DEP_1)
	v_add3_u32 v3, v2, v3, 0x88fffff
	v_lshrrev_b32_e32 v3, 21, v3
	s_and_not1_saveexec_b32 s24, s24
	s_cbranch_execnz .LBB8_829
.LBB8_733:
	s_or_b32 exec_lo, exec_lo, s24
	v_mov_b32_e32 v6, 0
	s_and_saveexec_b32 s24, s23
.LBB8_734:
	v_lshrrev_b32_e32 v2, 24, v2
	s_delay_alu instid0(VALU_DEP_1)
	v_and_or_b32 v6, 0x80, v2, v3
.LBB8_735:
	s_or_b32 exec_lo, exec_lo, s24
.LBB8_736:
	s_delay_alu instid0(SALU_CYCLE_1)
	s_or_b32 exec_lo, exec_lo, s22
	s_mov_b32 s22, 0
	global_store_b8 v[4:5], v6, off
.LBB8_737:
	s_and_b32 vcc_lo, exec_lo, s22
	s_cbranch_vccz .LBB8_747
; %bb.738:
	s_wait_xcnt 0x0
	s_delay_alu instid0(VALU_DEP_4) | instskip(SKIP_1) | instid1(VALU_DEP_1)
	v_cvt_f32_f64_e32 v2, v[0:1]
	s_mov_b32 s22, exec_lo
                                        ; implicit-def: $vgpr3
	v_and_b32_e32 v6, 0x7fffffff, v2
	s_delay_alu instid0(VALU_DEP_1)
	v_cmpx_gt_u32_e32 0x43f00000, v6
	s_xor_b32 s22, exec_lo, s22
	s_cbranch_execz .LBB8_744
; %bb.739:
	s_mov_b32 s23, exec_lo
                                        ; implicit-def: $vgpr3
	v_cmpx_lt_u32_e32 0x3c7fffff, v6
	s_xor_b32 s23, exec_lo, s23
; %bb.740:
	v_bfe_u32 v3, v2, 20, 1
	s_delay_alu instid0(VALU_DEP_1) | instskip(NEXT) | instid1(VALU_DEP_1)
	v_add3_u32 v3, v2, v3, 0x407ffff
	v_and_b32_e32 v6, 0xff00000, v3
	v_lshrrev_b32_e32 v3, 20, v3
	s_delay_alu instid0(VALU_DEP_2) | instskip(NEXT) | instid1(VALU_DEP_2)
	v_cmp_ne_u32_e32 vcc_lo, 0x7f00000, v6
	v_cndmask_b32_e32 v3, 0x7e, v3, vcc_lo
; %bb.741:
	s_and_not1_saveexec_b32 s23, s23
; %bb.742:
	v_add_f32_e64 v3, 0x46800000, |v2|
; %bb.743:
	s_or_b32 exec_lo, exec_lo, s23
                                        ; implicit-def: $vgpr6
.LBB8_744:
	s_and_not1_saveexec_b32 s22, s22
; %bb.745:
	v_mov_b32_e32 v3, 0x7f
	v_cmp_lt_u32_e32 vcc_lo, 0x7f800000, v6
	s_delay_alu instid0(VALU_DEP_2)
	v_cndmask_b32_e32 v3, 0x7e, v3, vcc_lo
; %bb.746:
	s_or_b32 exec_lo, exec_lo, s22
	v_lshrrev_b32_e32 v2, 24, v2
	s_delay_alu instid0(VALU_DEP_1)
	v_and_or_b32 v2, 0x80, v2, v3
	global_store_b8 v[4:5], v2, off
.LBB8_747:
	s_mov_b32 s22, 0
.LBB8_748:
	s_delay_alu instid0(SALU_CYCLE_1)
	s_and_not1_b32 vcc_lo, exec_lo, s22
	s_cbranch_vccnz .LBB8_758
; %bb.749:
	s_wait_xcnt 0x0
	s_delay_alu instid0(VALU_DEP_4) | instskip(SKIP_1) | instid1(VALU_DEP_1)
	v_cvt_f32_f64_e32 v2, v[0:1]
	s_mov_b32 s22, exec_lo
                                        ; implicit-def: $vgpr3
	v_and_b32_e32 v6, 0x7fffffff, v2
	s_delay_alu instid0(VALU_DEP_1)
	v_cmpx_gt_u32_e32 0x47800000, v6
	s_xor_b32 s22, exec_lo, s22
	s_cbranch_execz .LBB8_755
; %bb.750:
	s_mov_b32 s23, exec_lo
                                        ; implicit-def: $vgpr3
	v_cmpx_lt_u32_e32 0x387fffff, v6
	s_xor_b32 s23, exec_lo, s23
; %bb.751:
	v_bfe_u32 v3, v2, 21, 1
	s_delay_alu instid0(VALU_DEP_1) | instskip(NEXT) | instid1(VALU_DEP_1)
	v_add3_u32 v3, v2, v3, 0x80fffff
	v_lshrrev_b32_e32 v3, 21, v3
; %bb.752:
	s_and_not1_saveexec_b32 s23, s23
; %bb.753:
	v_add_f32_e64 v3, 0x43000000, |v2|
; %bb.754:
	s_or_b32 exec_lo, exec_lo, s23
                                        ; implicit-def: $vgpr6
.LBB8_755:
	s_and_not1_saveexec_b32 s22, s22
; %bb.756:
	v_mov_b32_e32 v3, 0x7f
	v_cmp_lt_u32_e32 vcc_lo, 0x7f800000, v6
	s_delay_alu instid0(VALU_DEP_2)
	v_cndmask_b32_e32 v3, 0x7c, v3, vcc_lo
; %bb.757:
	s_or_b32 exec_lo, exec_lo, s22
	v_lshrrev_b32_e32 v2, 24, v2
	s_delay_alu instid0(VALU_DEP_1)
	v_and_or_b32 v2, 0x80, v2, v3
	global_store_b8 v[4:5], v2, off
.LBB8_758:
	s_mov_b32 s23, 0
	s_mov_b32 s22, -1
.LBB8_759:
	s_and_not1_b32 vcc_lo, exec_lo, s23
	s_cbranch_vccnz .LBB8_767
; %bb.760:
	s_cmp_gt_i32 s21, 14
	s_mov_b32 s23, -1
	s_cbranch_scc0 .LBB8_764
; %bb.761:
	s_cmp_eq_u32 s21, 15
	s_mov_b32 s0, -1
	s_cbranch_scc0 .LBB8_763
; %bb.762:
	s_wait_xcnt 0x0
	s_delay_alu instid0(VALU_DEP_4) | instskip(SKIP_2) | instid1(VALU_DEP_1)
	v_cvt_f32_f64_e32 v2, v[0:1]
	s_mov_b32 s22, -1
	s_mov_b32 s0, 0
	v_bfe_u32 v3, v2, 16, 1
	v_cmp_o_f32_e32 vcc_lo, v2, v2
	s_delay_alu instid0(VALU_DEP_2) | instskip(NEXT) | instid1(VALU_DEP_1)
	v_add3_u32 v3, v2, v3, 0x7fff
	v_lshrrev_b32_e32 v3, 16, v3
	s_delay_alu instid0(VALU_DEP_1)
	v_cndmask_b32_e32 v2, 0x7fc0, v3, vcc_lo
	global_store_b16 v[4:5], v2, off
.LBB8_763:
	s_mov_b32 s23, 0
.LBB8_764:
	s_delay_alu instid0(SALU_CYCLE_1)
	s_and_b32 vcc_lo, exec_lo, s23
	s_cbranch_vccz .LBB8_767
; %bb.765:
	s_cmp_eq_u32 s21, 11
	s_mov_b32 s0, -1
	s_cbranch_scc0 .LBB8_767
; %bb.766:
	s_delay_alu instid0(VALU_DEP_4)
	v_cmp_neq_f64_e32 vcc_lo, 0, v[0:1]
	s_mov_b32 s22, -1
	s_mov_b32 s0, 0
	s_wait_xcnt 0x0
	v_cndmask_b32_e64 v2, 0, 1, vcc_lo
	global_store_b8 v[4:5], v2, off
.LBB8_767:
	s_mov_b32 s21, 0
.LBB8_768:
	s_delay_alu instid0(SALU_CYCLE_1)
	s_and_b32 vcc_lo, exec_lo, s21
	s_cbranch_vccz .LBB8_807
; %bb.769:
	s_and_b32 s20, 0xffff, s20
	s_mov_b32 s21, -1
	s_cmp_lt_i32 s20, 5
	s_cbranch_scc1 .LBB8_790
; %bb.770:
	s_cmp_lt_i32 s20, 8
	s_cbranch_scc1 .LBB8_780
; %bb.771:
	;; [unrolled: 3-line block ×3, first 2 shown]
	s_cmp_gt_i32 s20, 9
	s_cbranch_scc0 .LBB8_774
; %bb.773:
	s_wait_xcnt 0x0
	v_mov_b32_e32 v2, 0
	s_mov_b32 s21, 0
	s_delay_alu instid0(VALU_DEP_1)
	v_mov_b32_e32 v3, v2
	global_store_b128 v[4:5], v[0:3], off
.LBB8_774:
	s_and_not1_b32 vcc_lo, exec_lo, s21
	s_cbranch_vccnz .LBB8_776
; %bb.775:
	s_wait_xcnt 0x0
	s_delay_alu instid0(VALU_DEP_4)
	v_cvt_f32_f64_e32 v2, v[0:1]
	v_mov_b32_e32 v3, 0
	global_store_b64 v[4:5], v[2:3], off
.LBB8_776:
	s_mov_b32 s21, 0
.LBB8_777:
	s_delay_alu instid0(SALU_CYCLE_1)
	s_and_not1_b32 vcc_lo, exec_lo, s21
	s_cbranch_vccnz .LBB8_779
; %bb.778:
	s_wait_xcnt 0x0
	s_delay_alu instid0(VALU_DEP_4) | instskip(SKIP_2) | instid1(VALU_DEP_3)
	v_and_or_b32 v2, 0x1ff, v1, v0
	v_lshrrev_b32_e32 v3, 8, v1
	v_bfe_u32 v6, v1, 20, 11
	v_cmp_ne_u32_e32 vcc_lo, 0, v2
	s_delay_alu instid0(VALU_DEP_2) | instskip(SKIP_1) | instid1(VALU_DEP_1)
	v_sub_nc_u32_e32 v7, 0x3f1, v6
	v_cndmask_b32_e64 v2, 0, 1, vcc_lo
	v_and_or_b32 v2, 0xffe, v3, v2
	s_delay_alu instid0(VALU_DEP_3) | instskip(NEXT) | instid1(VALU_DEP_2)
	v_med3_i32 v3, v7, 0, 13
	v_or_b32_e32 v7, 0x1000, v2
	s_delay_alu instid0(VALU_DEP_1) | instskip(NEXT) | instid1(VALU_DEP_1)
	v_lshrrev_b32_e32 v8, v3, v7
	v_lshlrev_b32_e32 v3, v3, v8
	s_delay_alu instid0(VALU_DEP_1) | instskip(SKIP_1) | instid1(VALU_DEP_1)
	v_cmp_ne_u32_e32 vcc_lo, v3, v7
	v_cndmask_b32_e64 v3, 0, 1, vcc_lo
	v_or_b32_e32 v3, v8, v3
	v_add_nc_u32_e32 v6, 0xfffffc10, v6
	s_delay_alu instid0(VALU_DEP_1) | instskip(SKIP_1) | instid1(VALU_DEP_2)
	v_lshl_or_b32 v7, v6, 12, v2
	v_cmp_gt_i32_e32 vcc_lo, 1, v6
	v_cndmask_b32_e32 v3, v7, v3, vcc_lo
	s_delay_alu instid0(VALU_DEP_1) | instskip(NEXT) | instid1(VALU_DEP_1)
	v_dual_lshrrev_b32 v3, 2, v3 :: v_dual_bitop2_b32 v7, 7, v3 bitop3:0x40
	v_cmp_lt_i32_e32 vcc_lo, 5, v7
	v_cndmask_b32_e64 v8, 0, 1, vcc_lo
	v_cmp_eq_u32_e32 vcc_lo, 3, v7
	v_cndmask_b32_e64 v7, 0, 1, vcc_lo
	v_cmp_ne_u32_e32 vcc_lo, 0, v2
	s_delay_alu instid0(VALU_DEP_2) | instskip(NEXT) | instid1(VALU_DEP_1)
	v_or_b32_e32 v7, v7, v8
	v_dual_mov_b32 v8, 0x7e00 :: v_dual_add_nc_u32 v3, v3, v7
	s_delay_alu instid0(VALU_DEP_1) | instskip(SKIP_2) | instid1(VALU_DEP_4)
	v_cndmask_b32_e32 v2, 0x7c00, v8, vcc_lo
	v_cmp_gt_i32_e32 vcc_lo, 31, v6
	v_lshrrev_b32_e32 v7, 16, v1
	v_cndmask_b32_e32 v3, 0x7c00, v3, vcc_lo
	v_cmp_eq_u32_e32 vcc_lo, 0x40f, v6
	s_delay_alu instid0(VALU_DEP_2) | instskip(NEXT) | instid1(VALU_DEP_4)
	v_cndmask_b32_e32 v2, v3, v2, vcc_lo
	v_and_b32_e32 v3, 0x8000, v7
	s_delay_alu instid0(VALU_DEP_1)
	v_bitop3_b32 v2, v3, 0xffff, v2 bitop3:0xc8
	global_store_b32 v[4:5], v2, off
.LBB8_779:
	s_mov_b32 s21, 0
.LBB8_780:
	s_delay_alu instid0(SALU_CYCLE_1)
	s_and_not1_b32 vcc_lo, exec_lo, s21
	s_cbranch_vccnz .LBB8_789
; %bb.781:
	s_cmp_lt_i32 s20, 6
	s_mov_b32 s21, -1
	s_cbranch_scc1 .LBB8_787
; %bb.782:
	s_cmp_gt_i32 s20, 6
	s_cbranch_scc0 .LBB8_784
; %bb.783:
	s_mov_b32 s21, 0
	global_store_b64 v[4:5], v[0:1], off
.LBB8_784:
	s_and_not1_b32 vcc_lo, exec_lo, s21
	s_cbranch_vccnz .LBB8_786
; %bb.785:
	s_wait_xcnt 0x0
	s_delay_alu instid0(VALU_DEP_4)
	v_cvt_f32_f64_e32 v2, v[0:1]
	global_store_b32 v[4:5], v2, off
.LBB8_786:
	s_mov_b32 s21, 0
.LBB8_787:
	s_delay_alu instid0(SALU_CYCLE_1)
	s_and_not1_b32 vcc_lo, exec_lo, s21
	s_cbranch_vccnz .LBB8_789
; %bb.788:
	s_wait_xcnt 0x0
	s_delay_alu instid0(VALU_DEP_4) | instskip(SKIP_2) | instid1(VALU_DEP_3)
	v_and_or_b32 v2, 0x1ff, v1, v0
	v_lshrrev_b32_e32 v3, 8, v1
	v_bfe_u32 v6, v1, 20, 11
	v_cmp_ne_u32_e32 vcc_lo, 0, v2
	s_delay_alu instid0(VALU_DEP_2) | instskip(SKIP_1) | instid1(VALU_DEP_1)
	v_sub_nc_u32_e32 v7, 0x3f1, v6
	v_cndmask_b32_e64 v2, 0, 1, vcc_lo
	v_and_or_b32 v2, 0xffe, v3, v2
	s_delay_alu instid0(VALU_DEP_3) | instskip(NEXT) | instid1(VALU_DEP_2)
	v_med3_i32 v3, v7, 0, 13
	v_or_b32_e32 v7, 0x1000, v2
	s_delay_alu instid0(VALU_DEP_1) | instskip(NEXT) | instid1(VALU_DEP_1)
	v_lshrrev_b32_e32 v8, v3, v7
	v_lshlrev_b32_e32 v3, v3, v8
	s_delay_alu instid0(VALU_DEP_1) | instskip(SKIP_1) | instid1(VALU_DEP_1)
	v_cmp_ne_u32_e32 vcc_lo, v3, v7
	v_cndmask_b32_e64 v3, 0, 1, vcc_lo
	v_or_b32_e32 v3, v8, v3
	v_add_nc_u32_e32 v6, 0xfffffc10, v6
	s_delay_alu instid0(VALU_DEP_1) | instskip(SKIP_1) | instid1(VALU_DEP_2)
	v_lshl_or_b32 v7, v6, 12, v2
	v_cmp_gt_i32_e32 vcc_lo, 1, v6
	v_cndmask_b32_e32 v3, v7, v3, vcc_lo
	s_delay_alu instid0(VALU_DEP_1) | instskip(NEXT) | instid1(VALU_DEP_1)
	v_dual_lshrrev_b32 v3, 2, v3 :: v_dual_bitop2_b32 v7, 7, v3 bitop3:0x40
	v_cmp_lt_i32_e32 vcc_lo, 5, v7
	v_cndmask_b32_e64 v8, 0, 1, vcc_lo
	v_cmp_eq_u32_e32 vcc_lo, 3, v7
	v_cndmask_b32_e64 v7, 0, 1, vcc_lo
	v_cmp_ne_u32_e32 vcc_lo, 0, v2
	s_delay_alu instid0(VALU_DEP_2) | instskip(NEXT) | instid1(VALU_DEP_1)
	v_or_b32_e32 v7, v7, v8
	v_dual_mov_b32 v8, 0x7e00 :: v_dual_add_nc_u32 v3, v3, v7
	s_delay_alu instid0(VALU_DEP_1) | instskip(SKIP_1) | instid1(VALU_DEP_3)
	v_cndmask_b32_e32 v2, 0x7c00, v8, vcc_lo
	v_cmp_gt_i32_e32 vcc_lo, 31, v6
	v_cndmask_b32_e32 v3, 0x7c00, v3, vcc_lo
	v_cmp_eq_u32_e32 vcc_lo, 0x40f, v6
	s_delay_alu instid0(VALU_DEP_2) | instskip(NEXT) | instid1(VALU_DEP_1)
	v_dual_cndmask_b32 v2, v3, v2 :: v_dual_lshrrev_b32 v3, 16, v1
	v_and_or_b32 v2, 0x8000, v3, v2
	global_store_b16 v[4:5], v2, off
.LBB8_789:
	s_mov_b32 s21, 0
.LBB8_790:
	s_delay_alu instid0(SALU_CYCLE_1)
	s_and_not1_b32 vcc_lo, exec_lo, s21
	s_cbranch_vccnz .LBB8_806
; %bb.791:
	s_cmp_lt_i32 s20, 2
	s_mov_b32 s21, -1
	s_cbranch_scc1 .LBB8_801
; %bb.792:
	s_cmp_lt_i32 s20, 3
	s_cbranch_scc1 .LBB8_798
; %bb.793:
	s_cmp_gt_i32 s20, 3
	s_cbranch_scc0 .LBB8_795
; %bb.794:
	s_wait_xcnt 0x0
	s_delay_alu instid0(VALU_DEP_4) | instskip(SKIP_1) | instid1(VALU_DEP_1)
	v_trunc_f64_e32 v[2:3], v[0:1]
	s_mov_b32 s21, 0
	v_ldexp_f64 v[6:7], v[2:3], 0xffffffe0
	s_delay_alu instid0(VALU_DEP_1) | instskip(NEXT) | instid1(VALU_DEP_1)
	v_floor_f64_e32 v[6:7], v[6:7]
	v_fmamk_f64 v[2:3], v[6:7], 0xc1f00000, v[2:3]
	v_cvt_i32_f64_e32 v7, v[6:7]
	s_delay_alu instid0(VALU_DEP_2)
	v_cvt_u32_f64_e32 v6, v[2:3]
	global_store_b64 v[4:5], v[6:7], off
.LBB8_795:
	s_and_not1_b32 vcc_lo, exec_lo, s21
	s_cbranch_vccnz .LBB8_797
; %bb.796:
	s_wait_xcnt 0x0
	s_delay_alu instid0(VALU_DEP_4)
	v_cvt_i32_f64_e32 v2, v[0:1]
	global_store_b32 v[4:5], v2, off
.LBB8_797:
	s_mov_b32 s21, 0
.LBB8_798:
	s_delay_alu instid0(SALU_CYCLE_1)
	s_and_not1_b32 vcc_lo, exec_lo, s21
	s_cbranch_vccnz .LBB8_800
; %bb.799:
	s_wait_xcnt 0x0
	s_delay_alu instid0(VALU_DEP_4)
	v_cvt_i32_f64_e32 v2, v[0:1]
	global_store_b16 v[4:5], v2, off
.LBB8_800:
	s_mov_b32 s21, 0
.LBB8_801:
	s_delay_alu instid0(SALU_CYCLE_1)
	s_and_not1_b32 vcc_lo, exec_lo, s21
	s_cbranch_vccnz .LBB8_806
; %bb.802:
	s_cmp_gt_i32 s20, 0
	s_mov_b32 s20, -1
	s_cbranch_scc0 .LBB8_804
; %bb.803:
	s_wait_xcnt 0x0
	s_delay_alu instid0(VALU_DEP_4)
	v_cvt_i32_f64_e32 v2, v[0:1]
	s_mov_b32 s20, 0
	global_store_b8 v[4:5], v2, off
.LBB8_804:
	s_and_not1_b32 vcc_lo, exec_lo, s20
	s_cbranch_vccnz .LBB8_806
; %bb.805:
	s_wait_xcnt 0x0
	v_trunc_f64_e32 v[0:1], v[0:1]
	s_delay_alu instid0(VALU_DEP_1) | instskip(NEXT) | instid1(VALU_DEP_1)
	v_ldexp_f64 v[2:3], v[0:1], 0xffffffe0
	v_floor_f64_e32 v[2:3], v[2:3]
	s_delay_alu instid0(VALU_DEP_1) | instskip(NEXT) | instid1(VALU_DEP_1)
	v_fmamk_f64 v[0:1], v[2:3], 0xc1f00000, v[0:1]
	v_cvt_u32_f64_e32 v0, v[0:1]
	global_store_b8 v[4:5], v0, off
.LBB8_806:
	s_mov_b32 s22, -1
.LBB8_807:
	s_delay_alu instid0(SALU_CYCLE_1)
	s_and_not1_b32 vcc_lo, exec_lo, s22
	s_cbranch_vccnz .LBB8_809
; %bb.808:
	v_add_nc_u32_e32 v14, 0x80, v14
	s_mov_b32 s20, -1
	s_branch .LBB8_811
.LBB8_809:
	s_mov_b32 s20, 0
.LBB8_810:
                                        ; implicit-def: $vgpr14
.LBB8_811:
	s_and_not1_b32 s21, s16, exec_lo
	s_and_b32 s0, s0, exec_lo
	s_and_not1_b32 s22, s15, exec_lo
	s_and_b32 s23, s19, exec_lo
	s_or_b32 s19, s21, s0
	s_or_b32 s0, s22, s23
	s_or_not1_b32 s20, s20, exec_lo
.LBB8_812:
	s_wait_xcnt 0x0
	s_or_b32 exec_lo, exec_lo, s18
	s_mov_b32 s21, 0
	s_mov_b32 s22, 0
	;; [unrolled: 1-line block ×3, first 2 shown]
                                        ; implicit-def: $vgpr0_vgpr1
                                        ; implicit-def: $vgpr2_vgpr3
	s_and_saveexec_b32 s18, s20
	s_cbranch_execz .LBB8_897
; %bb.813:
	v_cmp_gt_i32_e32 vcc_lo, s12, v14
	s_mov_b32 s20, 0
	s_mov_b32 s21, s0
	;; [unrolled: 1-line block ×3, first 2 shown]
                                        ; implicit-def: $vgpr0_vgpr1
                                        ; implicit-def: $vgpr2_vgpr3
	s_and_saveexec_b32 s12, vcc_lo
	s_cbranch_execz .LBB8_896
; %bb.814:
	v_mul_lo_u32 v0, v14, s3
	s_and_b32 s20, 0xffff, s9
	s_delay_alu instid0(SALU_CYCLE_1) | instskip(NEXT) | instid1(VALU_DEP_1)
	s_cmp_lt_i32 s20, 11
	v_ashrrev_i32_e32 v1, 31, v0
	s_delay_alu instid0(VALU_DEP_1)
	v_add_nc_u64_e32 v[0:1], s[6:7], v[0:1]
	s_cbranch_scc1 .LBB8_821
; %bb.815:
	s_cmp_gt_i32 s20, 25
	s_cbranch_scc0 .LBB8_822
; %bb.816:
	s_cmp_gt_i32 s20, 28
	s_cbranch_scc0 .LBB8_823
	;; [unrolled: 3-line block ×4, first 2 shown]
; %bb.819:
	s_cmp_eq_u32 s20, 46
	s_cbranch_scc0 .LBB8_830
; %bb.820:
	s_wait_loadcnt 0x0
	global_load_b32 v2, v[0:1], off
	s_mov_b32 s21, 0
	s_mov_b32 s23, -1
	s_wait_loadcnt 0x0
	v_lshlrev_b32_e32 v2, 16, v2
	s_delay_alu instid0(VALU_DEP_1)
	v_cvt_f64_f32_e32 v[2:3], v2
	s_branch .LBB8_832
.LBB8_821:
	s_mov_b32 s20, -1
	s_mov_b32 s21, s0
                                        ; implicit-def: $vgpr2_vgpr3
	s_branch .LBB8_895
.LBB8_822:
	s_mov_b32 s24, -1
	s_mov_b32 s21, s0
                                        ; implicit-def: $vgpr2_vgpr3
	s_branch .LBB8_861
.LBB8_823:
	s_mov_b32 s24, -1
	s_mov_b32 s21, s0
                                        ; implicit-def: $vgpr2_vgpr3
	s_branch .LBB8_842
.LBB8_824:
	s_mov_b32 s24, -1
	s_mov_b32 s21, s0
                                        ; implicit-def: $vgpr2_vgpr3
	s_branch .LBB8_837
.LBB8_825:
	s_and_not1_saveexec_b32 s24, s24
	s_cbranch_execz .LBB8_720
.LBB8_826:
	v_add_f32_e64 v3, 0x46000000, |v2|
	s_and_not1_b32 s23, s23, exec_lo
	s_delay_alu instid0(VALU_DEP_1) | instskip(NEXT) | instid1(VALU_DEP_1)
	v_and_b32_e32 v3, 0xff, v3
	v_cmp_ne_u32_e32 vcc_lo, 0, v3
	s_and_b32 s25, vcc_lo, exec_lo
	s_delay_alu instid0(SALU_CYCLE_1)
	s_or_b32 s23, s23, s25
	s_or_b32 exec_lo, exec_lo, s24
	v_mov_b32_e32 v6, 0
	s_and_saveexec_b32 s24, s23
	s_cbranch_execnz .LBB8_721
	s_branch .LBB8_722
.LBB8_827:
	s_mov_b32 s24, -1
	s_mov_b32 s21, s0
	s_branch .LBB8_831
.LBB8_828:
	s_and_not1_saveexec_b32 s24, s24
	s_cbranch_execz .LBB8_733
.LBB8_829:
	v_add_f32_e64 v3, 0x42800000, |v2|
	s_and_not1_b32 s23, s23, exec_lo
	s_delay_alu instid0(VALU_DEP_1) | instskip(NEXT) | instid1(VALU_DEP_1)
	v_and_b32_e32 v3, 0xff, v3
	v_cmp_ne_u32_e32 vcc_lo, 0, v3
	s_and_b32 s25, vcc_lo, exec_lo
	s_delay_alu instid0(SALU_CYCLE_1)
	s_or_b32 s23, s23, s25
	s_or_b32 exec_lo, exec_lo, s24
	v_mov_b32_e32 v6, 0
	s_and_saveexec_b32 s24, s23
	s_cbranch_execnz .LBB8_734
	s_branch .LBB8_735
.LBB8_830:
	s_mov_b32 s21, -1
.LBB8_831:
                                        ; implicit-def: $vgpr2_vgpr3
.LBB8_832:
	s_and_b32 vcc_lo, exec_lo, s24
	s_cbranch_vccz .LBB8_836
; %bb.833:
	s_cmp_eq_u32 s20, 44
	s_cbranch_scc0 .LBB8_835
; %bb.834:
	global_load_u8 v4, v[0:1], off
	s_mov_b32 s21, 0
	s_mov_b32 s23, -1
	s_wait_loadcnt 0x0
	v_cmp_ne_u32_e32 vcc_lo, 0xff, v4
	v_lshlrev_b32_e32 v2, 23, v4
	s_delay_alu instid0(VALU_DEP_1) | instskip(NEXT) | instid1(VALU_DEP_1)
	v_cvt_f64_f32_e32 v[2:3], v2
	v_cndmask_b32_e32 v2, 0x20000000, v2, vcc_lo
	s_delay_alu instid0(VALU_DEP_2) | instskip(SKIP_1) | instid1(VALU_DEP_2)
	v_cndmask_b32_e32 v3, 0x7ff80000, v3, vcc_lo
	v_cmp_ne_u32_e32 vcc_lo, 0, v4
	v_cndmask_b32_e32 v3, 0x38000000, v3, vcc_lo
	s_delay_alu instid0(VALU_DEP_4)
	v_cndmask_b32_e32 v2, 0, v2, vcc_lo
	s_branch .LBB8_836
.LBB8_835:
	s_mov_b32 s21, -1
                                        ; implicit-def: $vgpr2_vgpr3
.LBB8_836:
	s_mov_b32 s24, 0
.LBB8_837:
	s_delay_alu instid0(SALU_CYCLE_1)
	s_and_b32 vcc_lo, exec_lo, s24
	s_cbranch_vccz .LBB8_841
; %bb.838:
	s_cmp_eq_u32 s20, 29
	s_cbranch_scc0 .LBB8_840
; %bb.839:
	s_wait_loadcnt 0x0
	global_load_b64 v[2:3], v[0:1], off
	s_mov_b32 s21, 0
	s_mov_b32 s23, -1
	s_mov_b32 s24, 0
	s_wait_loadcnt 0x0
	v_cvt_f64_u32_e32 v[4:5], v3
	v_cvt_f64_u32_e32 v[2:3], v2
	s_delay_alu instid0(VALU_DEP_2) | instskip(NEXT) | instid1(VALU_DEP_1)
	v_ldexp_f64 v[4:5], v[4:5], 32
	v_add_f64_e32 v[2:3], v[4:5], v[2:3]
	s_branch .LBB8_842
.LBB8_840:
	s_mov_b32 s21, -1
                                        ; implicit-def: $vgpr2_vgpr3
.LBB8_841:
	s_mov_b32 s24, 0
.LBB8_842:
	s_delay_alu instid0(SALU_CYCLE_1)
	s_and_b32 vcc_lo, exec_lo, s24
	s_cbranch_vccz .LBB8_860
; %bb.843:
	s_cmp_lt_i32 s20, 27
	s_cbranch_scc1 .LBB8_846
; %bb.844:
	s_cmp_gt_i32 s20, 27
	s_cbranch_scc0 .LBB8_847
; %bb.845:
	s_wait_loadcnt 0x0
	global_load_b32 v2, v[0:1], off
	s_mov_b32 s23, 0
	s_wait_loadcnt 0x0
	v_cvt_f64_u32_e32 v[2:3], v2
	s_branch .LBB8_848
.LBB8_846:
	s_mov_b32 s23, -1
                                        ; implicit-def: $vgpr2_vgpr3
	s_branch .LBB8_851
.LBB8_847:
	s_mov_b32 s23, -1
                                        ; implicit-def: $vgpr2_vgpr3
.LBB8_848:
	s_delay_alu instid0(SALU_CYCLE_1)
	s_and_not1_b32 vcc_lo, exec_lo, s23
	s_cbranch_vccnz .LBB8_850
; %bb.849:
	s_wait_loadcnt 0x0
	global_load_u16 v2, v[0:1], off
	s_wait_loadcnt 0x0
	v_cvt_f64_u32_e32 v[2:3], v2
.LBB8_850:
	s_mov_b32 s23, 0
.LBB8_851:
	s_delay_alu instid0(SALU_CYCLE_1)
	s_and_not1_b32 vcc_lo, exec_lo, s23
	s_cbranch_vccnz .LBB8_859
; %bb.852:
	global_load_u8 v4, v[0:1], off
	s_mov_b32 s23, 0
	s_mov_b32 s24, exec_lo
	s_wait_loadcnt 0x0
	v_cmpx_lt_i16_e32 0x7f, v4
	s_xor_b32 s24, exec_lo, s24
	s_cbranch_execz .LBB8_873
; %bb.853:
	s_mov_b32 s23, -1
	s_mov_b32 s25, exec_lo
	v_cmpx_eq_u16_e32 0x80, v4
; %bb.854:
	s_xor_b32 s23, exec_lo, -1
; %bb.855:
	s_or_b32 exec_lo, exec_lo, s25
	s_delay_alu instid0(SALU_CYCLE_1)
	s_and_b32 s23, s23, exec_lo
	s_or_saveexec_b32 s24, s24
	v_mov_b64_e32 v[2:3], 0x7ff8000020000000
	s_xor_b32 exec_lo, exec_lo, s24
	s_cbranch_execnz .LBB8_874
.LBB8_856:
	s_or_b32 exec_lo, exec_lo, s24
	s_and_saveexec_b32 s24, s23
	s_cbranch_execz .LBB8_858
.LBB8_857:
	v_and_b32_e32 v2, 0xffff, v4
	s_delay_alu instid0(VALU_DEP_1) | instskip(SKIP_1) | instid1(VALU_DEP_2)
	v_and_b32_e32 v3, 7, v2
	v_bfe_u32 v7, v2, 3, 4
	v_clz_i32_u32_e32 v5, v3
	s_delay_alu instid0(VALU_DEP_2) | instskip(NEXT) | instid1(VALU_DEP_2)
	v_cmp_eq_u32_e32 vcc_lo, 0, v7
	v_min_u32_e32 v5, 32, v5
	s_delay_alu instid0(VALU_DEP_1) | instskip(NEXT) | instid1(VALU_DEP_1)
	v_subrev_nc_u32_e32 v6, 28, v5
	v_dual_lshlrev_b32 v2, v6, v2 :: v_dual_sub_nc_u32 v5, 29, v5
	s_delay_alu instid0(VALU_DEP_1) | instskip(NEXT) | instid1(VALU_DEP_2)
	v_dual_lshlrev_b32 v4, 24, v4 :: v_dual_bitop2_b32 v2, 7, v2 bitop3:0x40
	v_cndmask_b32_e32 v5, v7, v5, vcc_lo
	s_delay_alu instid0(VALU_DEP_2) | instskip(NEXT) | instid1(VALU_DEP_3)
	v_cndmask_b32_e32 v2, v3, v2, vcc_lo
	v_and_b32_e32 v3, 0x80000000, v4
	s_delay_alu instid0(VALU_DEP_3) | instskip(NEXT) | instid1(VALU_DEP_3)
	v_lshl_add_u32 v4, v5, 23, 0x3b800000
	v_lshlrev_b32_e32 v2, 20, v2
	s_delay_alu instid0(VALU_DEP_1) | instskip(NEXT) | instid1(VALU_DEP_1)
	v_or3_b32 v2, v3, v4, v2
	v_cvt_f64_f32_e32 v[2:3], v2
.LBB8_858:
	s_or_b32 exec_lo, exec_lo, s24
.LBB8_859:
	s_mov_b32 s23, -1
.LBB8_860:
	s_mov_b32 s24, 0
.LBB8_861:
	s_delay_alu instid0(SALU_CYCLE_1)
	s_and_b32 vcc_lo, exec_lo, s24
	s_cbranch_vccz .LBB8_894
; %bb.862:
	s_cmp_gt_i32 s20, 22
	s_cbranch_scc0 .LBB8_872
; %bb.863:
	s_cmp_lt_i32 s20, 24
	s_cbranch_scc1 .LBB8_875
; %bb.864:
	s_cmp_gt_i32 s20, 24
	s_cbranch_scc0 .LBB8_876
; %bb.865:
	global_load_u8 v4, v[0:1], off
	s_mov_b32 s23, exec_lo
	s_wait_loadcnt 0x0
	v_cmpx_lt_i16_e32 0x7f, v4
	s_xor_b32 s23, exec_lo, s23
	s_cbranch_execz .LBB8_888
; %bb.866:
	s_mov_b32 s22, -1
	s_mov_b32 s24, exec_lo
	v_cmpx_eq_u16_e32 0x80, v4
; %bb.867:
	s_xor_b32 s22, exec_lo, -1
; %bb.868:
	s_or_b32 exec_lo, exec_lo, s24
	s_delay_alu instid0(SALU_CYCLE_1)
	s_and_b32 s22, s22, exec_lo
	s_or_saveexec_b32 s23, s23
	v_mov_b64_e32 v[2:3], 0x7ff8000020000000
	s_xor_b32 exec_lo, exec_lo, s23
	s_cbranch_execnz .LBB8_889
.LBB8_869:
	s_or_b32 exec_lo, exec_lo, s23
	s_and_saveexec_b32 s23, s22
	s_cbranch_execz .LBB8_871
.LBB8_870:
	v_and_b32_e32 v2, 0xffff, v4
	s_delay_alu instid0(VALU_DEP_1) | instskip(SKIP_1) | instid1(VALU_DEP_2)
	v_and_b32_e32 v3, 3, v2
	v_bfe_u32 v7, v2, 2, 5
	v_clz_i32_u32_e32 v5, v3
	s_delay_alu instid0(VALU_DEP_2) | instskip(NEXT) | instid1(VALU_DEP_2)
	v_cmp_eq_u32_e32 vcc_lo, 0, v7
	v_min_u32_e32 v5, 32, v5
	s_delay_alu instid0(VALU_DEP_1) | instskip(NEXT) | instid1(VALU_DEP_1)
	v_subrev_nc_u32_e32 v6, 29, v5
	v_dual_lshlrev_b32 v2, v6, v2 :: v_dual_sub_nc_u32 v5, 30, v5
	s_delay_alu instid0(VALU_DEP_1) | instskip(NEXT) | instid1(VALU_DEP_2)
	v_dual_lshlrev_b32 v4, 24, v4 :: v_dual_bitop2_b32 v2, 3, v2 bitop3:0x40
	v_cndmask_b32_e32 v5, v7, v5, vcc_lo
	s_delay_alu instid0(VALU_DEP_2) | instskip(NEXT) | instid1(VALU_DEP_3)
	v_cndmask_b32_e32 v2, v3, v2, vcc_lo
	v_and_b32_e32 v3, 0x80000000, v4
	s_delay_alu instid0(VALU_DEP_3) | instskip(NEXT) | instid1(VALU_DEP_3)
	v_lshl_add_u32 v4, v5, 23, 0x37800000
	v_lshlrev_b32_e32 v2, 21, v2
	s_delay_alu instid0(VALU_DEP_1) | instskip(NEXT) | instid1(VALU_DEP_1)
	v_or3_b32 v2, v3, v4, v2
	v_cvt_f64_f32_e32 v[2:3], v2
.LBB8_871:
	s_or_b32 exec_lo, exec_lo, s23
	s_mov_b32 s22, 0
	s_branch .LBB8_877
.LBB8_872:
	s_mov_b32 s22, -1
                                        ; implicit-def: $vgpr2_vgpr3
	s_branch .LBB8_883
.LBB8_873:
	s_or_saveexec_b32 s24, s24
	v_mov_b64_e32 v[2:3], 0x7ff8000020000000
	s_xor_b32 exec_lo, exec_lo, s24
	s_cbranch_execz .LBB8_856
.LBB8_874:
	v_cmp_ne_u16_e32 vcc_lo, 0, v4
	v_mov_b64_e32 v[2:3], 0
	s_and_not1_b32 s23, s23, exec_lo
	s_and_b32 s25, vcc_lo, exec_lo
	s_delay_alu instid0(SALU_CYCLE_1)
	s_or_b32 s23, s23, s25
	s_or_b32 exec_lo, exec_lo, s24
	s_and_saveexec_b32 s24, s23
	s_cbranch_execnz .LBB8_857
	s_branch .LBB8_858
.LBB8_875:
	s_mov_b32 s22, -1
                                        ; implicit-def: $vgpr2_vgpr3
	s_branch .LBB8_880
.LBB8_876:
	s_mov_b32 s22, -1
                                        ; implicit-def: $vgpr2_vgpr3
.LBB8_877:
	s_delay_alu instid0(SALU_CYCLE_1)
	s_and_b32 vcc_lo, exec_lo, s22
	s_cbranch_vccz .LBB8_879
; %bb.878:
	s_wait_loadcnt 0x0
	global_load_u8 v2, v[0:1], off
	s_wait_loadcnt 0x0
	v_lshlrev_b32_e32 v2, 24, v2
	s_delay_alu instid0(VALU_DEP_1) | instskip(NEXT) | instid1(VALU_DEP_1)
	v_and_b32_e32 v3, 0x7f000000, v2
	v_clz_i32_u32_e32 v4, v3
	v_cmp_ne_u32_e32 vcc_lo, 0, v3
	v_add_nc_u32_e32 v6, 0x1000000, v3
	s_delay_alu instid0(VALU_DEP_3) | instskip(NEXT) | instid1(VALU_DEP_1)
	v_min_u32_e32 v4, 32, v4
	v_sub_nc_u32_e64 v4, v4, 4 clamp
	s_delay_alu instid0(VALU_DEP_1) | instskip(NEXT) | instid1(VALU_DEP_1)
	v_dual_lshlrev_b32 v5, v4, v3 :: v_dual_lshlrev_b32 v4, 23, v4
	v_lshrrev_b32_e32 v5, 4, v5
	s_delay_alu instid0(VALU_DEP_1) | instskip(NEXT) | instid1(VALU_DEP_1)
	v_dual_sub_nc_u32 v4, v5, v4 :: v_dual_ashrrev_i32 v5, 8, v6
	v_add_nc_u32_e32 v4, 0x3c000000, v4
	s_delay_alu instid0(VALU_DEP_1) | instskip(NEXT) | instid1(VALU_DEP_1)
	v_and_or_b32 v4, 0x7f800000, v5, v4
	v_cndmask_b32_e32 v3, 0, v4, vcc_lo
	s_delay_alu instid0(VALU_DEP_1) | instskip(NEXT) | instid1(VALU_DEP_1)
	v_and_or_b32 v2, 0x80000000, v2, v3
	v_cvt_f64_f32_e32 v[2:3], v2
.LBB8_879:
	s_mov_b32 s22, 0
.LBB8_880:
	s_delay_alu instid0(SALU_CYCLE_1)
	s_and_not1_b32 vcc_lo, exec_lo, s22
	s_cbranch_vccnz .LBB8_882
; %bb.881:
	s_wait_loadcnt 0x0
	global_load_u8 v2, v[0:1], off
	s_wait_loadcnt 0x0
	v_lshlrev_b32_e32 v3, 25, v2
	v_lshlrev_b16 v2, 8, v2
	s_delay_alu instid0(VALU_DEP_1) | instskip(SKIP_1) | instid1(VALU_DEP_2)
	v_and_or_b32 v5, 0x7f00, v2, 0.5
	v_bfe_i32 v2, v2, 0, 16
	v_dual_add_f32 v5, -0.5, v5 :: v_dual_lshrrev_b32 v4, 4, v3
	v_cmp_gt_u32_e32 vcc_lo, 0x8000000, v3
	s_delay_alu instid0(VALU_DEP_2) | instskip(NEXT) | instid1(VALU_DEP_1)
	v_or_b32_e32 v4, 0x70000000, v4
	v_mul_f32_e32 v4, 0x7800000, v4
	s_delay_alu instid0(VALU_DEP_1) | instskip(NEXT) | instid1(VALU_DEP_1)
	v_cndmask_b32_e32 v3, v4, v5, vcc_lo
	v_and_or_b32 v2, 0x80000000, v2, v3
	s_delay_alu instid0(VALU_DEP_1)
	v_cvt_f64_f32_e32 v[2:3], v2
.LBB8_882:
	s_mov_b32 s22, 0
	s_mov_b32 s23, -1
.LBB8_883:
	s_and_not1_b32 vcc_lo, exec_lo, s22
	s_mov_b32 s22, 0
	s_cbranch_vccnz .LBB8_894
; %bb.884:
	s_cmp_gt_i32 s20, 14
	s_cbranch_scc0 .LBB8_887
; %bb.885:
	s_cmp_eq_u32 s20, 15
	s_cbranch_scc0 .LBB8_890
; %bb.886:
	s_wait_loadcnt 0x0
	global_load_u16 v2, v[0:1], off
	s_mov_b32 s21, 0
	s_mov_b32 s23, -1
	s_wait_loadcnt 0x0
	v_lshlrev_b32_e32 v2, 16, v2
	s_delay_alu instid0(VALU_DEP_1)
	v_cvt_f64_f32_e32 v[2:3], v2
	s_branch .LBB8_892
.LBB8_887:
	s_mov_b32 s22, -1
	s_branch .LBB8_891
.LBB8_888:
	s_or_saveexec_b32 s23, s23
	v_mov_b64_e32 v[2:3], 0x7ff8000020000000
	s_xor_b32 exec_lo, exec_lo, s23
	s_cbranch_execz .LBB8_869
.LBB8_889:
	v_cmp_ne_u16_e32 vcc_lo, 0, v4
	v_mov_b64_e32 v[2:3], 0
	s_and_not1_b32 s22, s22, exec_lo
	s_and_b32 s24, vcc_lo, exec_lo
	s_delay_alu instid0(SALU_CYCLE_1)
	s_or_b32 s22, s22, s24
	s_or_b32 exec_lo, exec_lo, s23
	s_and_saveexec_b32 s23, s22
	s_cbranch_execnz .LBB8_870
	s_branch .LBB8_871
.LBB8_890:
	s_mov_b32 s21, -1
.LBB8_891:
                                        ; implicit-def: $vgpr2_vgpr3
.LBB8_892:
	s_and_b32 vcc_lo, exec_lo, s22
	s_mov_b32 s22, 0
	s_cbranch_vccz .LBB8_894
; %bb.893:
	s_cmp_lg_u32 s20, 11
	s_mov_b32 s22, -1
	s_cselect_b32 s20, -1, 0
	s_and_not1_b32 s21, s21, exec_lo
	s_and_b32 s20, s20, exec_lo
	s_delay_alu instid0(SALU_CYCLE_1)
	s_or_b32 s21, s21, s20
.LBB8_894:
	s_mov_b32 s20, 0
.LBB8_895:
	s_and_not1_b32 s25, s0, exec_lo
	s_and_b32 s21, s21, exec_lo
	s_and_b32 s23, s23, exec_lo
	;; [unrolled: 1-line block ×4, first 2 shown]
	s_or_b32 s21, s25, s21
.LBB8_896:
	s_wait_xcnt 0x0
	s_or_b32 exec_lo, exec_lo, s12
	s_delay_alu instid0(SALU_CYCLE_1)
	s_and_not1_b32 s0, s0, exec_lo
	s_and_b32 s12, s21, exec_lo
	s_and_b32 s23, s23, exec_lo
	;; [unrolled: 1-line block ×4, first 2 shown]
	s_or_b32 s0, s0, s12
.LBB8_897:
	s_or_b32 exec_lo, exec_lo, s18
	s_delay_alu instid0(SALU_CYCLE_1)
	s_and_not1_b32 s12, s16, exec_lo
	s_and_b32 s16, s19, exec_lo
	s_and_b32 s0, s0, exec_lo
	s_or_b32 s16, s12, s16
	s_and_not1_b32 s12, s15, exec_lo
	s_and_b32 s20, s23, exec_lo
	s_and_b32 s19, s22, exec_lo
	;; [unrolled: 1-line block ×3, first 2 shown]
	s_or_b32 s15, s12, s0
.LBB8_898:
	s_or_b32 exec_lo, exec_lo, s17
	s_delay_alu instid0(SALU_CYCLE_1)
	s_and_not1_b32 s0, s11, exec_lo
	s_and_b32 s11, s16, exec_lo
	s_and_not1_b32 s12, s13, exec_lo
	s_and_b32 s13, s15, exec_lo
	s_or_b32 s11, s0, s11
	s_and_b32 s0, s20, exec_lo
	s_and_b32 s16, s19, exec_lo
	;; [unrolled: 1-line block ×3, first 2 shown]
	s_or_b32 s13, s12, s13
	s_or_b32 exec_lo, exec_lo, s14
	s_mov_b32 s12, 0
	s_and_saveexec_b32 s14, s13
	s_cbranch_execz .LBB8_274
.LBB8_899:
	s_mov_b32 s12, exec_lo
	s_and_not1_b32 s15, s15, exec_lo
	s_trap 2
	s_or_b32 exec_lo, exec_lo, s14
	s_and_saveexec_b32 s13, s15
	s_delay_alu instid0(SALU_CYCLE_1)
	s_xor_b32 s13, exec_lo, s13
	s_cbranch_execnz .LBB8_275
.LBB8_900:
	s_or_b32 exec_lo, exec_lo, s13
	s_and_saveexec_b32 s13, s16
	s_cbranch_execz .LBB8_946
.LBB8_901:
	s_sext_i32_i16 s14, s9
	s_delay_alu instid0(SALU_CYCLE_1)
	s_cmp_lt_i32 s14, 5
	s_cbranch_scc1 .LBB8_906
; %bb.902:
	s_cmp_lt_i32 s14, 8
	s_cbranch_scc1 .LBB8_907
; %bb.903:
	;; [unrolled: 3-line block ×3, first 2 shown]
	s_cmp_gt_i32 s14, 9
	s_cbranch_scc0 .LBB8_909
; %bb.905:
	s_wait_loadcnt 0x0
	global_load_b64 v[2:3], v[0:1], off
	s_mov_b32 s14, 0
	s_branch .LBB8_910
.LBB8_906:
                                        ; implicit-def: $vgpr2_vgpr3
	s_branch .LBB8_927
.LBB8_907:
                                        ; implicit-def: $vgpr2_vgpr3
	s_branch .LBB8_916
.LBB8_908:
	s_mov_b32 s14, -1
                                        ; implicit-def: $vgpr2_vgpr3
	s_branch .LBB8_913
.LBB8_909:
	s_mov_b32 s14, -1
                                        ; implicit-def: $vgpr2_vgpr3
.LBB8_910:
	s_delay_alu instid0(SALU_CYCLE_1)
	s_and_not1_b32 vcc_lo, exec_lo, s14
	s_cbranch_vccnz .LBB8_912
; %bb.911:
	s_wait_loadcnt 0x0
	global_load_b32 v2, v[0:1], off
	s_wait_loadcnt 0x0
	v_cvt_f64_f32_e32 v[2:3], v2
.LBB8_912:
	s_mov_b32 s14, 0
.LBB8_913:
	s_delay_alu instid0(SALU_CYCLE_1)
	s_and_not1_b32 vcc_lo, exec_lo, s14
	s_cbranch_vccnz .LBB8_915
; %bb.914:
	s_wait_loadcnt 0x0
	global_load_b32 v2, v[0:1], off
	s_wait_loadcnt 0x0
	v_cvt_f32_f16_e32 v2, v2
	s_delay_alu instid0(VALU_DEP_1)
	v_cvt_f64_f32_e32 v[2:3], v2
.LBB8_915:
	s_cbranch_execnz .LBB8_926
.LBB8_916:
	s_sext_i32_i16 s14, s9
	s_delay_alu instid0(SALU_CYCLE_1)
	s_cmp_lt_i32 s14, 6
	s_cbranch_scc1 .LBB8_919
; %bb.917:
	s_cmp_gt_i32 s14, 6
	s_cbranch_scc0 .LBB8_920
; %bb.918:
	s_wait_loadcnt 0x0
	global_load_b64 v[2:3], v[0:1], off
	s_mov_b32 s14, 0
	s_branch .LBB8_921
.LBB8_919:
	s_mov_b32 s14, -1
                                        ; implicit-def: $vgpr2_vgpr3
	s_branch .LBB8_924
.LBB8_920:
	s_mov_b32 s14, -1
                                        ; implicit-def: $vgpr2_vgpr3
.LBB8_921:
	s_delay_alu instid0(SALU_CYCLE_1)
	s_and_not1_b32 vcc_lo, exec_lo, s14
	s_cbranch_vccnz .LBB8_923
; %bb.922:
	s_wait_loadcnt 0x0
	global_load_b32 v2, v[0:1], off
	s_wait_loadcnt 0x0
	v_cvt_f64_f32_e32 v[2:3], v2
.LBB8_923:
	s_mov_b32 s14, 0
.LBB8_924:
	s_delay_alu instid0(SALU_CYCLE_1)
	s_and_not1_b32 vcc_lo, exec_lo, s14
	s_cbranch_vccnz .LBB8_926
; %bb.925:
	s_wait_loadcnt 0x0
	global_load_u16 v2, v[0:1], off
	s_wait_loadcnt 0x0
	v_cvt_f32_f16_e32 v2, v2
	s_delay_alu instid0(VALU_DEP_1)
	v_cvt_f64_f32_e32 v[2:3], v2
.LBB8_926:
	s_cbranch_execnz .LBB8_945
.LBB8_927:
	s_sext_i32_i16 s14, s9
	s_delay_alu instid0(SALU_CYCLE_1)
	s_cmp_lt_i32 s14, 2
	s_cbranch_scc1 .LBB8_931
; %bb.928:
	s_cmp_lt_i32 s14, 3
	s_cbranch_scc1 .LBB8_932
; %bb.929:
	s_cmp_gt_i32 s14, 3
	s_cbranch_scc0 .LBB8_933
; %bb.930:
	s_wait_loadcnt 0x0
	global_load_b64 v[2:3], v[0:1], off
	s_mov_b32 s14, 0
	s_wait_loadcnt 0x0
	v_cvt_f64_i32_e32 v[4:5], v3
	v_cvt_f64_u32_e32 v[2:3], v2
	s_delay_alu instid0(VALU_DEP_2) | instskip(NEXT) | instid1(VALU_DEP_1)
	v_ldexp_f64 v[4:5], v[4:5], 32
	v_add_f64_e32 v[2:3], v[4:5], v[2:3]
	s_branch .LBB8_934
.LBB8_931:
                                        ; implicit-def: $vgpr2_vgpr3
	s_branch .LBB8_940
.LBB8_932:
	s_mov_b32 s14, -1
                                        ; implicit-def: $vgpr2_vgpr3
	s_branch .LBB8_937
.LBB8_933:
	s_mov_b32 s14, -1
                                        ; implicit-def: $vgpr2_vgpr3
.LBB8_934:
	s_delay_alu instid0(SALU_CYCLE_1)
	s_and_not1_b32 vcc_lo, exec_lo, s14
	s_cbranch_vccnz .LBB8_936
; %bb.935:
	s_wait_loadcnt 0x0
	global_load_b32 v2, v[0:1], off
	s_wait_loadcnt 0x0
	v_cvt_f64_i32_e32 v[2:3], v2
.LBB8_936:
	s_mov_b32 s14, 0
.LBB8_937:
	s_delay_alu instid0(SALU_CYCLE_1)
	s_and_not1_b32 vcc_lo, exec_lo, s14
	s_cbranch_vccnz .LBB8_939
; %bb.938:
	s_wait_loadcnt 0x0
	global_load_i16 v2, v[0:1], off
	s_wait_loadcnt 0x0
	v_cvt_f64_i32_e32 v[2:3], v2
.LBB8_939:
	s_cbranch_execnz .LBB8_945
.LBB8_940:
	s_sext_i32_i16 s14, s9
	s_delay_alu instid0(SALU_CYCLE_1)
	s_cmp_gt_i32 s14, 0
	s_mov_b32 s14, 0
	s_cbranch_scc0 .LBB8_942
; %bb.941:
	s_wait_loadcnt 0x0
	global_load_i8 v2, v[0:1], off
	s_wait_loadcnt 0x0
	v_cvt_f64_i32_e32 v[2:3], v2
	s_branch .LBB8_943
.LBB8_942:
	s_mov_b32 s14, -1
                                        ; implicit-def: $vgpr2_vgpr3
.LBB8_943:
	s_delay_alu instid0(SALU_CYCLE_1)
	s_and_not1_b32 vcc_lo, exec_lo, s14
	s_cbranch_vccnz .LBB8_945
; %bb.944:
	global_load_u8 v0, v[0:1], off
	s_wait_loadcnt 0x0
	v_cvt_f64_u32_e32 v[2:3], v0
.LBB8_945:
	s_or_b32 s0, s0, exec_lo
.LBB8_946:
	s_wait_xcnt 0x0
	s_or_b32 exec_lo, exec_lo, s13
	s_mov_b32 s16, 0
	s_mov_b32 s15, 0
                                        ; implicit-def: $sgpr13
                                        ; implicit-def: $vgpr4_vgpr5
                                        ; implicit-def: $vgpr0_vgpr1
	s_and_saveexec_b32 s14, s0
	s_cbranch_execz .LBB8_966
; %bb.947:
	s_wait_loadcnt 0x0
	s_delay_alu instid0(VALU_DEP_1) | instskip(SKIP_1) | instid1(SALU_CYCLE_1)
	v_cmp_ge_f64_e64 s0, 0x40200000, |v[2:3]|
                                        ; implicit-def: $vgpr0_vgpr1
	s_and_saveexec_b32 s13, s0
	s_xor_b32 s0, exec_lo, s13
	s_cbranch_execz .LBB8_953
; %bb.948:
	v_fma_f64 v[0:1], |v[2:3]|, 0.5, -2.0
	s_mov_b64 s[16:17], 0x3c499f2a0c3c4014
	s_mov_b32 s13, exec_lo
	s_delay_alu instid0(VALU_DEP_1) | instskip(SKIP_1) | instid1(SALU_CYCLE_1)
	v_fmaak_f64 v[4:5], s[16:17], v[0:1], 0xbc7857d0c38a0576
	s_mov_b64 s[16:17], 0x3ff71547652b82fe
	v_mul_f64_e64 v[8:9], |v[2:3]|, s[16:17]
	s_mov_b64 s[16:17], 0xbfe62e42fefa39ef
	s_delay_alu instid0(VALU_DEP_2) | instskip(NEXT) | instid1(VALU_DEP_1)
	v_fmaak_f64 v[6:7], v[0:1], v[4:5], 0xbc499f2a0c3c4014
	v_add_f64_e32 v[6:7], 0x3ca663e3e593bfac, v[6:7]
	s_delay_alu instid0(VALU_DEP_3) | instskip(NEXT) | instid1(VALU_DEP_2)
	v_rndne_f64_e32 v[8:9], v[8:9]
	v_fma_f64 v[4:5], v[0:1], v[6:7], -v[4:5]
	s_delay_alu instid0(VALU_DEP_2) | instskip(SKIP_1) | instid1(VALU_DEP_2)
	v_fma_f64 v[10:11], v[8:9], s[16:17], |v[2:3]|
	s_mov_b64 s[16:17], 0x3e5ade156a5dcb37
	v_add_f64_e32 v[4:5], 0xbcd3eaaa7e0d1573, v[4:5]
	s_delay_alu instid0(VALU_DEP_1) | instskip(NEXT) | instid1(VALU_DEP_1)
	v_fma_f64 v[6:7], v[0:1], v[4:5], -v[6:7]
	v_add_f64_e32 v[6:7], 0x3d011d7f0615290c, v[6:7]
	s_delay_alu instid0(VALU_DEP_1) | instskip(NEXT) | instid1(VALU_DEP_1)
	v_fma_f64 v[4:5], v[0:1], v[6:7], -v[4:5]
	;; [unrolled: 3-line block ×24, first 2 shown]
	v_add_f64_e32 v[4:5], 0xbfc694d10469192e, v[4:5]
	s_delay_alu instid0(VALU_DEP_1) | instskip(SKIP_2) | instid1(VALU_DEP_2)
	v_fma_f64 v[0:1], v[0:1], v[4:5], -v[6:7]
	v_fmamk_f64 v[4:5], v[8:9], 0xbc7abc9e3b39803f, v[10:11]
	v_cvt_i32_f64_e32 v8, v[8:9]
	v_fmaak_f64 v[10:11], s[16:17], v[4:5], 0x3e928af3fca7ab0c
	s_delay_alu instid0(VALU_DEP_1) | instskip(NEXT) | instid1(VALU_DEP_1)
	v_fmaak_f64 v[10:11], v[4:5], v[10:11], 0x3ec71dee623fde64
	v_fmaak_f64 v[10:11], v[4:5], v[10:11], 0x3efa01997c89e6b0
	s_delay_alu instid0(VALU_DEP_1) | instskip(SKIP_1) | instid1(VALU_DEP_2)
	v_fmaak_f64 v[10:11], v[4:5], v[10:11], 0x3f2a01a014761f6e
	v_add_f64_e32 v[0:1], 0x3fd02a63724a7ffa, v[0:1]
	v_fmaak_f64 v[10:11], v[4:5], v[10:11], 0x3f56c16c1852b7b0
	s_delay_alu instid0(VALU_DEP_2) | instskip(NEXT) | instid1(VALU_DEP_2)
	v_add_f64_e64 v[0:1], v[0:1], -v[6:7]
	v_fmaak_f64 v[6:7], v[4:5], v[10:11], 0x3f81111111122322
	s_delay_alu instid0(VALU_DEP_1) | instskip(NEXT) | instid1(VALU_DEP_1)
	v_fmaak_f64 v[6:7], v[4:5], v[6:7], 0x3fa55555555502a1
	v_fmaak_f64 v[6:7], v[4:5], v[6:7], 0x3fc5555555555511
	s_delay_alu instid0(VALU_DEP_1) | instskip(NEXT) | instid1(VALU_DEP_1)
	v_fmaak_f64 v[6:7], v[4:5], v[6:7], 0x3fe000000000000b
	v_fma_f64 v[6:7], v[4:5], v[6:7], 1.0
	v_mul_f64_e32 v[0:1], 0.5, v[0:1]
	s_delay_alu instid0(VALU_DEP_2) | instskip(NEXT) | instid1(VALU_DEP_2)
	v_fma_f64 v[6:7], v[4:5], v[6:7], 1.0
	v_mul_f64_e64 v[4:5], |v[2:3]|, v[0:1]
                                        ; implicit-def: $vgpr0_vgpr1
	v_cmpx_ngt_f64_e32 0, v[2:3]
	s_xor_b32 s13, exec_lo, s13
	s_cbranch_execz .LBB8_950
; %bb.949:
	s_delay_alu instid0(VALU_DEP_3) | instskip(SKIP_1) | instid1(VALU_DEP_2)
	v_ldexp_f64 v[0:1], v[6:7], v8
	v_cmp_nlt_f64_e64 vcc_lo, 0x40900000, |v[2:3]|
                                        ; implicit-def: $vgpr6_vgpr7
                                        ; implicit-def: $vgpr8
                                        ; implicit-def: $vgpr2_vgpr3
	v_cndmask_b32_e32 v1, 0x7ff00000, v1, vcc_lo
	s_delay_alu instid0(VALU_DEP_3) | instskip(NEXT) | instid1(VALU_DEP_1)
	v_cndmask_b32_e32 v0, 0, v0, vcc_lo
	v_mul_f64_e32 v[0:1], v[0:1], v[4:5]
                                        ; implicit-def: $vgpr4_vgpr5
.LBB8_950:
	s_and_not1_saveexec_b32 s13, s13
	s_cbranch_execz .LBB8_952
; %bb.951:
	s_delay_alu instid0(VALU_DEP_3) | instskip(SKIP_1) | instid1(VALU_DEP_2)
	v_ldexp_f64 v[0:1], -v[6:7], v8
	v_cmp_nlt_f64_e64 vcc_lo, 0x40900000, |v[2:3]|
	v_cndmask_b32_e32 v1, 0xfff00000, v1, vcc_lo
	s_delay_alu instid0(VALU_DEP_3) | instskip(NEXT) | instid1(VALU_DEP_1)
	v_cndmask_b32_e32 v0, 0, v0, vcc_lo
	v_mul_f64_e32 v[0:1], v[0:1], v[4:5]
.LBB8_952:
	s_or_b32 exec_lo, exec_lo, s13
                                        ; implicit-def: $vgpr2_vgpr3
.LBB8_953:
	s_and_not1_saveexec_b32 s13, s0
	s_cbranch_execz .LBB8_959
; %bb.954:
	v_and_b32_e32 v1, 0x7fffffff, v3
	v_mov_b32_e32 v0, v2
	s_mov_b64 s[16:17], 0x3c61556db352e8e6
	v_cmp_ngt_f64_e64 s0, 0, v[2:3]
	s_delay_alu instid0(VALU_DEP_2) | instskip(SKIP_1) | instid1(VALU_DEP_2)
	v_div_scale_f64 v[4:5], null, v[0:1], v[0:1], 0x40400000
	v_div_scale_f64 v[0:1], vcc_lo, 0x40400000, v[0:1], 0x40400000
	v_rcp_f64_e32 v[6:7], v[4:5]
	v_nop
	s_delay_alu instid0(TRANS32_DEP_1) | instskip(NEXT) | instid1(VALU_DEP_1)
	v_fma_f64 v[8:9], -v[4:5], v[6:7], 1.0
	v_fmac_f64_e32 v[6:7], v[6:7], v[8:9]
	s_delay_alu instid0(VALU_DEP_1) | instskip(NEXT) | instid1(VALU_DEP_1)
	v_fma_f64 v[8:9], -v[4:5], v[6:7], 1.0
	v_fmac_f64_e32 v[6:7], v[6:7], v[8:9]
	s_delay_alu instid0(VALU_DEP_1) | instskip(NEXT) | instid1(VALU_DEP_1)
	v_mul_f64_e32 v[8:9], v[0:1], v[6:7]
	v_fma_f64 v[0:1], -v[4:5], v[8:9], v[0:1]
	s_delay_alu instid0(VALU_DEP_1) | instskip(SKIP_1) | instid1(VALU_DEP_2)
	v_div_fmas_f64 v[0:1], v[0:1], v[6:7], v[8:9]
	v_cmp_nlt_f64_e64 vcc_lo, 0x40900000, |v[2:3]|
	v_div_fixup_f64 v[0:1], v[0:1], |v[2:3]|, 0x40400000
	s_delay_alu instid0(VALU_DEP_1) | instskip(NEXT) | instid1(VALU_DEP_1)
	v_add_f64_e32 v[0:1], -2.0, v[0:1]
	v_fmaak_f64 v[4:5], s[16:17], v[0:1], 0x3c545b8aea87b950
	s_mov_b64 s[16:17], 0x3ff71547652b82fe
	s_delay_alu instid0(SALU_CYCLE_1) | instskip(SKIP_1) | instid1(VALU_DEP_2)
	v_mul_f64_e64 v[8:9], |v[2:3]|, s[16:17]
	s_mov_b64 s[16:17], 0xbfe62e42fefa39ef
	v_fmaak_f64 v[6:7], v[0:1], v[4:5], 0xbc61556db352e8e6
	s_delay_alu instid0(VALU_DEP_1) | instskip(NEXT) | instid1(VALU_DEP_3)
	v_add_f64_e32 v[6:7], 0xbc8acea3b2532277, v[6:7]
	v_rndne_f64_e32 v[8:9], v[8:9]
	s_delay_alu instid0(VALU_DEP_2) | instskip(NEXT) | instid1(VALU_DEP_2)
	v_fma_f64 v[4:5], v[0:1], v[6:7], -v[4:5]
	v_fma_f64 v[10:11], v[8:9], s[16:17], |v[2:3]|
	s_mov_b64 s[16:17], 0x3e5ade156a5dcb37
	s_delay_alu instid0(VALU_DEP_2) | instskip(NEXT) | instid1(VALU_DEP_2)
	v_add_f64_e32 v[4:5], 0xbc82806c9c773320, v[4:5]
	v_fmamk_f64 v[10:11], v[8:9], 0xbc7abc9e3b39803f, v[10:11]
	v_cvt_i32_f64_e32 v8, v[8:9]
	s_delay_alu instid0(VALU_DEP_2) | instskip(NEXT) | instid1(VALU_DEP_4)
	v_fmaak_f64 v[12:13], s[16:17], v[10:11], 0x3e928af3fca7ab0c
	v_fma_f64 v[6:7], v[0:1], v[4:5], -v[6:7]
	s_delay_alu instid0(VALU_DEP_2) | instskip(NEXT) | instid1(VALU_DEP_1)
	v_fmaak_f64 v[12:13], v[10:11], v[12:13], 0x3ec71dee623fde64
	v_fmaak_f64 v[12:13], v[10:11], v[12:13], 0x3efa01997c89e6b0
	s_delay_alu instid0(VALU_DEP_1) | instskip(NEXT) | instid1(VALU_DEP_1)
	v_fmaak_f64 v[12:13], v[10:11], v[12:13], 0x3f2a01a014761f6e
	v_fmaak_f64 v[12:13], v[10:11], v[12:13], 0x3f56c16c1852b7b0
	s_delay_alu instid0(VALU_DEP_1) | instskip(SKIP_1) | instid1(VALU_DEP_2)
	v_fmaak_f64 v[12:13], v[10:11], v[12:13], 0x3f81111111122322
	v_add_f64_e32 v[6:7], 0x3cb55915fceb588a, v[6:7]
	v_fmaak_f64 v[12:13], v[10:11], v[12:13], 0x3fa55555555502a1
	s_delay_alu instid0(VALU_DEP_1) | instskip(NEXT) | instid1(VALU_DEP_1)
	v_fmaak_f64 v[12:13], v[10:11], v[12:13], 0x3fc5555555555511
	v_fmaak_f64 v[12:13], v[10:11], v[12:13], 0x3fe000000000000b
	s_delay_alu instid0(VALU_DEP_1) | instskip(SKIP_1) | instid1(VALU_DEP_1)
	v_fma_f64 v[12:13], v[10:11], v[12:13], 1.0
	v_fma_f64 v[4:5], v[0:1], v[6:7], -v[4:5]
	v_add_f64_e32 v[4:5], 0x3cb7d68e5f04a2d1, v[4:5]
	s_delay_alu instid0(VALU_DEP_1) | instskip(NEXT) | instid1(VALU_DEP_1)
	v_fma_f64 v[6:7], v[0:1], v[4:5], -v[6:7]
	v_add_f64_e32 v[6:7], 0xbce0efcd8bc4d22a, v[6:7]
	s_delay_alu instid0(VALU_DEP_1) | instskip(NEXT) | instid1(VALU_DEP_1)
	;; [unrolled: 3-line block ×18, first 2 shown]
	v_fma_f64 v[4:5], v[0:1], v[6:7], -v[4:5]
	v_add_f64_e32 v[4:5], 0xbf83fda053fcdb4c, v[4:5]
	s_delay_alu instid0(VALU_DEP_1) | instskip(SKIP_1) | instid1(VALU_DEP_2)
	v_fma_f64 v[0:1], v[0:1], v[4:5], -v[6:7]
	v_fma_f64 v[4:5], v[10:11], v[12:13], 1.0
	v_add_f64_e32 v[0:1], 0x3fe8ea18b55b1514, v[0:1]
	s_delay_alu instid0(VALU_DEP_2) | instskip(NEXT) | instid1(VALU_DEP_2)
	v_ldexp_f64 v[4:5], v[4:5], v8
	v_add_f64_e64 v[6:7], v[0:1], -v[6:7]
	s_delay_alu instid0(VALU_DEP_2) | instskip(NEXT) | instid1(VALU_DEP_3)
	v_cndmask_b32_e32 v5, 0x7ff00000, v5, vcc_lo
	v_cndmask_b32_e32 v4, 0, v4, vcc_lo
                                        ; implicit-def: $vgpr0_vgpr1
	s_and_saveexec_b32 s15, s0
	s_delay_alu instid0(SALU_CYCLE_1)
	s_xor_b32 s0, exec_lo, s15
	s_cbranch_execz .LBB8_956
; %bb.955:
	v_cmp_gt_f64_e64 s15, 0x10000000, |v[2:3]|
	s_delay_alu instid0(VALU_DEP_1) | instskip(NEXT) | instid1(VALU_DEP_1)
	v_cndmask_b32_e64 v0, 0, 0x100, s15
	v_ldexp_f64 v[0:1], |v[2:3]|, v0
	s_delay_alu instid0(VALU_DEP_1) | instskip(SKIP_1) | instid1(TRANS32_DEP_1)
	v_rsq_f64_e32 v[2:3], v[0:1]
	v_cmp_class_f64_e64 vcc_lo, v[0:1], 0x260
	v_mul_f64_e32 v[8:9], v[0:1], v[2:3]
	v_mul_f64_e32 v[2:3], 0.5, v[2:3]
	s_delay_alu instid0(VALU_DEP_1) | instskip(NEXT) | instid1(VALU_DEP_1)
	v_fma_f64 v[10:11], -v[2:3], v[8:9], 0.5
	v_fmac_f64_e32 v[8:9], v[8:9], v[10:11]
	v_fmac_f64_e32 v[2:3], v[2:3], v[10:11]
	s_delay_alu instid0(VALU_DEP_2) | instskip(NEXT) | instid1(VALU_DEP_1)
	v_fma_f64 v[10:11], -v[8:9], v[8:9], v[0:1]
	v_fmac_f64_e32 v[8:9], v[10:11], v[2:3]
	s_delay_alu instid0(VALU_DEP_1) | instskip(NEXT) | instid1(VALU_DEP_1)
	v_fma_f64 v[10:11], -v[8:9], v[8:9], v[0:1]
	v_fmac_f64_e32 v[8:9], v[10:11], v[2:3]
	v_mul_f64_e32 v[2:3], 0.5, v[6:7]
	v_cndmask_b32_e64 v6, 0, 0xffffff80, s15
	s_delay_alu instid0(VALU_DEP_1) | instskip(NEXT) | instid1(VALU_DEP_1)
	v_ldexp_f64 v[6:7], v[8:9], v6
	v_dual_mul_f64 v[2:3], v[4:5], v[2:3] :: v_dual_cndmask_b32 v1, v7, v1, vcc_lo
	s_delay_alu instid0(VALU_DEP_2) | instskip(NEXT) | instid1(VALU_DEP_1)
	v_cndmask_b32_e32 v0, v6, v0, vcc_lo
	v_div_scale_f64 v[4:5], null, v[0:1], v[0:1], v[2:3]
	s_delay_alu instid0(VALU_DEP_1) | instskip(SKIP_1) | instid1(TRANS32_DEP_1)
	v_rcp_f64_e32 v[6:7], v[4:5]
	v_nop
	v_fma_f64 v[8:9], -v[4:5], v[6:7], 1.0
	s_delay_alu instid0(VALU_DEP_1) | instskip(NEXT) | instid1(VALU_DEP_1)
	v_fmac_f64_e32 v[6:7], v[6:7], v[8:9]
	v_fma_f64 v[8:9], -v[4:5], v[6:7], 1.0
	s_delay_alu instid0(VALU_DEP_1) | instskip(SKIP_1) | instid1(VALU_DEP_1)
	v_fmac_f64_e32 v[6:7], v[6:7], v[8:9]
	v_div_scale_f64 v[8:9], vcc_lo, v[2:3], v[0:1], v[2:3]
	v_mul_f64_e32 v[10:11], v[8:9], v[6:7]
	s_delay_alu instid0(VALU_DEP_1) | instskip(NEXT) | instid1(VALU_DEP_1)
	v_fma_f64 v[4:5], -v[4:5], v[10:11], v[8:9]
	v_div_fmas_f64 v[4:5], v[4:5], v[6:7], v[10:11]
                                        ; implicit-def: $vgpr6_vgpr7
	s_delay_alu instid0(VALU_DEP_1)
	v_div_fixup_f64 v[0:1], v[4:5], v[0:1], v[2:3]
                                        ; implicit-def: $vgpr2_vgpr3
                                        ; implicit-def: $vgpr4_vgpr5
.LBB8_956:
	s_and_not1_saveexec_b32 s0, s0
	s_cbranch_execz .LBB8_958
; %bb.957:
	v_cmp_gt_f64_e64 s15, 0x10000000, |v[2:3]|
	s_delay_alu instid0(VALU_DEP_1) | instskip(NEXT) | instid1(VALU_DEP_1)
	v_cndmask_b32_e64 v0, 0, 0x100, s15
	v_ldexp_f64 v[0:1], |v[2:3]|, v0
	s_delay_alu instid0(VALU_DEP_1) | instskip(SKIP_1) | instid1(TRANS32_DEP_1)
	v_rsq_f64_e32 v[2:3], v[0:1]
	v_cmp_class_f64_e64 vcc_lo, v[0:1], 0x260
	v_mul_f64_e32 v[8:9], v[0:1], v[2:3]
	v_mul_f64_e32 v[2:3], 0.5, v[2:3]
	s_delay_alu instid0(VALU_DEP_1) | instskip(NEXT) | instid1(VALU_DEP_1)
	v_fma_f64 v[10:11], -v[2:3], v[8:9], 0.5
	v_fmac_f64_e32 v[8:9], v[8:9], v[10:11]
	v_fmac_f64_e32 v[2:3], v[2:3], v[10:11]
	s_delay_alu instid0(VALU_DEP_2) | instskip(NEXT) | instid1(VALU_DEP_1)
	v_fma_f64 v[10:11], -v[8:9], v[8:9], v[0:1]
	v_fmac_f64_e32 v[8:9], v[10:11], v[2:3]
	s_delay_alu instid0(VALU_DEP_1) | instskip(NEXT) | instid1(VALU_DEP_1)
	v_fma_f64 v[10:11], -v[8:9], v[8:9], v[0:1]
	v_fmac_f64_e32 v[8:9], v[10:11], v[2:3]
	v_mul_f64_e32 v[2:3], -0.5, v[6:7]
	v_cndmask_b32_e64 v6, 0, 0xffffff80, s15
	s_delay_alu instid0(VALU_DEP_1) | instskip(NEXT) | instid1(VALU_DEP_1)
	v_ldexp_f64 v[6:7], v[8:9], v6
	v_dual_mul_f64 v[2:3], v[4:5], v[2:3] :: v_dual_cndmask_b32 v1, v7, v1, vcc_lo
	s_delay_alu instid0(VALU_DEP_2) | instskip(NEXT) | instid1(VALU_DEP_1)
	v_cndmask_b32_e32 v0, v6, v0, vcc_lo
	v_div_scale_f64 v[4:5], null, v[0:1], v[0:1], v[2:3]
	s_delay_alu instid0(VALU_DEP_1) | instskip(SKIP_1) | instid1(TRANS32_DEP_1)
	v_rcp_f64_e32 v[6:7], v[4:5]
	v_nop
	v_fma_f64 v[8:9], -v[4:5], v[6:7], 1.0
	s_delay_alu instid0(VALU_DEP_1) | instskip(NEXT) | instid1(VALU_DEP_1)
	v_fmac_f64_e32 v[6:7], v[6:7], v[8:9]
	v_fma_f64 v[8:9], -v[4:5], v[6:7], 1.0
	s_delay_alu instid0(VALU_DEP_1) | instskip(SKIP_1) | instid1(VALU_DEP_1)
	v_fmac_f64_e32 v[6:7], v[6:7], v[8:9]
	v_div_scale_f64 v[8:9], vcc_lo, v[2:3], v[0:1], v[2:3]
	v_mul_f64_e32 v[10:11], v[8:9], v[6:7]
	s_delay_alu instid0(VALU_DEP_1) | instskip(NEXT) | instid1(VALU_DEP_1)
	v_fma_f64 v[4:5], -v[4:5], v[10:11], v[8:9]
	v_div_fmas_f64 v[4:5], v[4:5], v[6:7], v[10:11]
	s_delay_alu instid0(VALU_DEP_1)
	v_div_fixup_f64 v[0:1], v[4:5], v[0:1], v[2:3]
.LBB8_958:
	s_or_b32 exec_lo, exec_lo, s0
.LBB8_959:
	s_delay_alu instid0(SALU_CYCLE_1) | instskip(SKIP_2) | instid1(SALU_CYCLE_1)
	s_or_b32 exec_lo, exec_lo, s13
	v_mul_lo_u32 v2, v14, s2
	s_and_b32 s13, s8, 0xff
	s_cmp_lt_i32 s13, 11
	s_delay_alu instid0(VALU_DEP_1) | instskip(NEXT) | instid1(VALU_DEP_1)
	v_ashrrev_i32_e32 v3, 31, v2
	v_add_nc_u64_e32 v[4:5], s[4:5], v[2:3]
	s_cbranch_scc1 .LBB8_969
; %bb.960:
	s_and_b32 s15, 0xffff, s13
	s_mov_b32 s16, -1
	s_cmp_gt_i32 s15, 25
	s_mov_b32 s0, s11
	s_cbranch_scc0 .LBB8_997
; %bb.961:
	s_cmp_gt_i32 s15, 28
	s_mov_b32 s0, s11
	s_cbranch_scc0 .LBB8_981
; %bb.962:
	;; [unrolled: 4-line block ×4, first 2 shown]
	s_cmp_eq_u32 s15, 46
	s_mov_b32 s0, -1
	s_cbranch_scc0 .LBB8_970
; %bb.965:
	s_delay_alu instid0(VALU_DEP_4) | instskip(SKIP_2) | instid1(VALU_DEP_1)
	v_cvt_f32_f64_e32 v2, v[0:1]
	s_mov_b32 s0, 0
	s_mov_b32 s16, 0
	v_bfe_u32 v3, v2, 16, 1
	v_cmp_o_f32_e32 vcc_lo, v2, v2
	s_delay_alu instid0(VALU_DEP_2) | instskip(NEXT) | instid1(VALU_DEP_1)
	v_add3_u32 v3, v2, v3, 0x7fff
	v_lshrrev_b32_e32 v3, 16, v3
	s_delay_alu instid0(VALU_DEP_1)
	v_cndmask_b32_e32 v2, 0x7fc0, v3, vcc_lo
	global_store_b32 v[4:5], v2, off
	s_branch .LBB8_971
.LBB8_966:
	s_or_b32 exec_lo, exec_lo, s14
	s_and_saveexec_b32 s0, s11
	s_cbranch_execnz .LBB8_1039
.LBB8_967:
	s_or_b32 exec_lo, exec_lo, s0
	s_and_saveexec_b32 s0, s16
	s_delay_alu instid0(SALU_CYCLE_1)
	s_xor_b32 s0, exec_lo, s0
	s_cbranch_execz .LBB8_1040
.LBB8_968:
	s_delay_alu instid0(VALU_DEP_4)
	v_cmp_neq_f64_e32 vcc_lo, 0, v[0:1]
	s_wait_loadcnt 0x0
	v_cndmask_b32_e64 v2, 0, 1, vcc_lo
	global_store_b8 v[4:5], v2, off
	s_wait_xcnt 0x0
	s_or_b32 exec_lo, exec_lo, s0
	s_and_saveexec_b32 s0, s15
	s_delay_alu instid0(SALU_CYCLE_1)
	s_xor_b32 s0, exec_lo, s0
	s_cbranch_execz .LBB8_1078
	s_branch .LBB8_1041
.LBB8_969:
	s_mov_b32 s17, 0
	s_mov_b32 s16, -1
	s_mov_b32 s0, s11
	s_branch .LBB8_1038
.LBB8_970:
	s_mov_b32 s16, 0
.LBB8_971:
	s_delay_alu instid0(SALU_CYCLE_1)
	s_and_b32 vcc_lo, exec_lo, s16
	s_cbranch_vccz .LBB8_976
; %bb.972:
	s_cmp_eq_u32 s15, 44
	s_mov_b32 s0, -1
	s_cbranch_scc0 .LBB8_976
; %bb.973:
	s_wait_xcnt 0x0
	s_delay_alu instid0(VALU_DEP_4) | instskip(SKIP_2) | instid1(VALU_DEP_2)
	v_cvt_f32_f64_e32 v2, v[0:1]
	v_mov_b32_e32 v3, 0xff
	s_mov_b32 s16, exec_lo
	v_bfe_u32 v6, v2, 23, 8
	s_delay_alu instid0(VALU_DEP_1)
	v_cmpx_ne_u32_e32 0xff, v6
	s_cbranch_execz .LBB8_975
; %bb.974:
	v_and_b32_e32 v3, 0x400000, v2
	v_and_or_b32 v6, 0x3fffff, v2, v6
	v_lshrrev_b32_e32 v2, 23, v2
	s_delay_alu instid0(VALU_DEP_3) | instskip(NEXT) | instid1(VALU_DEP_3)
	v_cmp_ne_u32_e32 vcc_lo, 0, v3
	v_cmp_ne_u32_e64 s0, 0, v6
	s_and_b32 s0, vcc_lo, s0
	s_delay_alu instid0(SALU_CYCLE_1) | instskip(NEXT) | instid1(VALU_DEP_1)
	v_cndmask_b32_e64 v3, 0, 1, s0
	v_add_nc_u32_e32 v3, v2, v3
.LBB8_975:
	s_or_b32 exec_lo, exec_lo, s16
	s_mov_b32 s0, 0
	global_store_b8 v[4:5], v3, off
.LBB8_976:
	s_mov_b32 s16, 0
.LBB8_977:
	s_delay_alu instid0(SALU_CYCLE_1)
	s_and_b32 vcc_lo, exec_lo, s16
	s_cbranch_vccz .LBB8_980
; %bb.978:
	s_cmp_eq_u32 s15, 29
	s_mov_b32 s0, -1
	s_cbranch_scc0 .LBB8_980
; %bb.979:
	s_wait_xcnt 0x0
	s_delay_alu instid0(VALU_DEP_4) | instskip(SKIP_2) | instid1(VALU_DEP_1)
	v_trunc_f64_e32 v[2:3], v[0:1]
	s_mov_b32 s0, 0
	s_mov_b32 s16, 0
	v_ldexp_f64 v[6:7], v[2:3], 0xffffffe0
	s_delay_alu instid0(VALU_DEP_1) | instskip(NEXT) | instid1(VALU_DEP_1)
	v_floor_f64_e32 v[6:7], v[6:7]
	v_fmamk_f64 v[2:3], v[6:7], 0xc1f00000, v[2:3]
	v_cvt_u32_f64_e32 v7, v[6:7]
	s_delay_alu instid0(VALU_DEP_2)
	v_cvt_u32_f64_e32 v6, v[2:3]
	global_store_b64 v[4:5], v[6:7], off
	s_branch .LBB8_981
.LBB8_980:
	s_mov_b32 s16, 0
.LBB8_981:
	s_delay_alu instid0(SALU_CYCLE_1)
	s_and_b32 vcc_lo, exec_lo, s16
	s_cbranch_vccz .LBB8_996
; %bb.982:
	s_cmp_lt_i32 s15, 27
	s_mov_b32 s16, -1
	s_cbranch_scc1 .LBB8_988
; %bb.983:
	s_wait_xcnt 0x0
	s_delay_alu instid0(VALU_DEP_4)
	v_cvt_u32_f64_e32 v2, v[0:1]
	s_cmp_gt_i32 s15, 27
	s_cbranch_scc0 .LBB8_985
; %bb.984:
	s_mov_b32 s16, 0
	global_store_b32 v[4:5], v2, off
.LBB8_985:
	s_and_not1_b32 vcc_lo, exec_lo, s16
	s_cbranch_vccnz .LBB8_987
; %bb.986:
	global_store_b16 v[4:5], v2, off
.LBB8_987:
	s_mov_b32 s16, 0
.LBB8_988:
	s_delay_alu instid0(SALU_CYCLE_1)
	s_and_not1_b32 vcc_lo, exec_lo, s16
	s_cbranch_vccnz .LBB8_996
; %bb.989:
	s_wait_xcnt 0x0
	s_delay_alu instid0(VALU_DEP_4) | instskip(SKIP_2) | instid1(VALU_DEP_2)
	v_cvt_f32_f64_e32 v2, v[0:1]
	v_mov_b32_e32 v6, 0x80
	s_mov_b32 s16, exec_lo
	v_and_b32_e32 v3, 0x7fffffff, v2
	s_delay_alu instid0(VALU_DEP_1)
	v_cmpx_gt_u32_e32 0x43800000, v3
	s_cbranch_execz .LBB8_995
; %bb.990:
	v_cmp_lt_u32_e32 vcc_lo, 0x3bffffff, v3
	s_mov_b32 s17, 0
                                        ; implicit-def: $vgpr3
	s_and_saveexec_b32 s18, vcc_lo
	s_delay_alu instid0(SALU_CYCLE_1)
	s_xor_b32 s18, exec_lo, s18
	s_cbranch_execz .LBB8_1093
; %bb.991:
	v_bfe_u32 v3, v2, 20, 1
	s_mov_b32 s17, exec_lo
	s_delay_alu instid0(VALU_DEP_1) | instskip(NEXT) | instid1(VALU_DEP_1)
	v_add3_u32 v3, v2, v3, 0x487ffff
	v_lshrrev_b32_e32 v3, 20, v3
	s_and_not1_saveexec_b32 s18, s18
	s_cbranch_execnz .LBB8_1094
.LBB8_992:
	s_or_b32 exec_lo, exec_lo, s18
	v_mov_b32_e32 v6, 0
	s_and_saveexec_b32 s18, s17
.LBB8_993:
	v_lshrrev_b32_e32 v2, 24, v2
	s_delay_alu instid0(VALU_DEP_1)
	v_and_or_b32 v6, 0x80, v2, v3
.LBB8_994:
	s_or_b32 exec_lo, exec_lo, s18
.LBB8_995:
	s_delay_alu instid0(SALU_CYCLE_1)
	s_or_b32 exec_lo, exec_lo, s16
	global_store_b8 v[4:5], v6, off
.LBB8_996:
	s_mov_b32 s16, 0
.LBB8_997:
	s_delay_alu instid0(SALU_CYCLE_1)
	s_and_b32 vcc_lo, exec_lo, s16
	s_mov_b32 s16, 0
	s_cbranch_vccz .LBB8_1037
; %bb.998:
	s_cmp_gt_i32 s15, 22
	s_mov_b32 s17, -1
	s_cbranch_scc0 .LBB8_1030
; %bb.999:
	s_cmp_lt_i32 s15, 24
	s_cbranch_scc1 .LBB8_1019
; %bb.1000:
	s_cmp_gt_i32 s15, 24
	s_cbranch_scc0 .LBB8_1008
; %bb.1001:
	s_wait_xcnt 0x0
	s_delay_alu instid0(VALU_DEP_4) | instskip(SKIP_2) | instid1(VALU_DEP_2)
	v_cvt_f32_f64_e32 v2, v[0:1]
	v_mov_b32_e32 v6, 0x80
	s_mov_b32 s17, exec_lo
	v_and_b32_e32 v3, 0x7fffffff, v2
	s_delay_alu instid0(VALU_DEP_1)
	v_cmpx_gt_u32_e32 0x47800000, v3
	s_cbranch_execz .LBB8_1007
; %bb.1002:
	v_cmp_lt_u32_e32 vcc_lo, 0x37ffffff, v3
	s_mov_b32 s18, 0
                                        ; implicit-def: $vgpr3
	s_and_saveexec_b32 s19, vcc_lo
	s_delay_alu instid0(SALU_CYCLE_1)
	s_xor_b32 s19, exec_lo, s19
	s_cbranch_execz .LBB8_1231
; %bb.1003:
	v_bfe_u32 v3, v2, 21, 1
	s_mov_b32 s18, exec_lo
	s_delay_alu instid0(VALU_DEP_1) | instskip(NEXT) | instid1(VALU_DEP_1)
	v_add3_u32 v3, v2, v3, 0x88fffff
	v_lshrrev_b32_e32 v3, 21, v3
	s_and_not1_saveexec_b32 s19, s19
	s_cbranch_execnz .LBB8_1232
.LBB8_1004:
	s_or_b32 exec_lo, exec_lo, s19
	v_mov_b32_e32 v6, 0
	s_and_saveexec_b32 s19, s18
.LBB8_1005:
	v_lshrrev_b32_e32 v2, 24, v2
	s_delay_alu instid0(VALU_DEP_1)
	v_and_or_b32 v6, 0x80, v2, v3
.LBB8_1006:
	s_or_b32 exec_lo, exec_lo, s19
.LBB8_1007:
	s_delay_alu instid0(SALU_CYCLE_1)
	s_or_b32 exec_lo, exec_lo, s17
	s_mov_b32 s17, 0
	global_store_b8 v[4:5], v6, off
.LBB8_1008:
	s_and_b32 vcc_lo, exec_lo, s17
	s_cbranch_vccz .LBB8_1018
; %bb.1009:
	s_wait_xcnt 0x0
	s_delay_alu instid0(VALU_DEP_4) | instskip(SKIP_1) | instid1(VALU_DEP_1)
	v_cvt_f32_f64_e32 v2, v[0:1]
	s_mov_b32 s17, exec_lo
                                        ; implicit-def: $vgpr3
	v_and_b32_e32 v6, 0x7fffffff, v2
	s_delay_alu instid0(VALU_DEP_1)
	v_cmpx_gt_u32_e32 0x43f00000, v6
	s_xor_b32 s17, exec_lo, s17
	s_cbranch_execz .LBB8_1015
; %bb.1010:
	s_mov_b32 s18, exec_lo
                                        ; implicit-def: $vgpr3
	v_cmpx_lt_u32_e32 0x3c7fffff, v6
	s_xor_b32 s18, exec_lo, s18
; %bb.1011:
	v_bfe_u32 v3, v2, 20, 1
	s_delay_alu instid0(VALU_DEP_1) | instskip(NEXT) | instid1(VALU_DEP_1)
	v_add3_u32 v3, v2, v3, 0x407ffff
	v_and_b32_e32 v6, 0xff00000, v3
	v_lshrrev_b32_e32 v3, 20, v3
	s_delay_alu instid0(VALU_DEP_2) | instskip(NEXT) | instid1(VALU_DEP_2)
	v_cmp_ne_u32_e32 vcc_lo, 0x7f00000, v6
	v_cndmask_b32_e32 v3, 0x7e, v3, vcc_lo
; %bb.1012:
	s_and_not1_saveexec_b32 s18, s18
; %bb.1013:
	v_add_f32_e64 v3, 0x46800000, |v2|
; %bb.1014:
	s_or_b32 exec_lo, exec_lo, s18
                                        ; implicit-def: $vgpr6
.LBB8_1015:
	s_and_not1_saveexec_b32 s17, s17
; %bb.1016:
	v_mov_b32_e32 v3, 0x7f
	v_cmp_lt_u32_e32 vcc_lo, 0x7f800000, v6
	s_delay_alu instid0(VALU_DEP_2)
	v_cndmask_b32_e32 v3, 0x7e, v3, vcc_lo
; %bb.1017:
	s_or_b32 exec_lo, exec_lo, s17
	v_lshrrev_b32_e32 v2, 24, v2
	s_delay_alu instid0(VALU_DEP_1)
	v_and_or_b32 v2, 0x80, v2, v3
	global_store_b8 v[4:5], v2, off
.LBB8_1018:
	s_mov_b32 s17, 0
.LBB8_1019:
	s_delay_alu instid0(SALU_CYCLE_1)
	s_and_not1_b32 vcc_lo, exec_lo, s17
	s_cbranch_vccnz .LBB8_1029
; %bb.1020:
	s_wait_xcnt 0x0
	s_delay_alu instid0(VALU_DEP_4) | instskip(SKIP_1) | instid1(VALU_DEP_1)
	v_cvt_f32_f64_e32 v2, v[0:1]
	s_mov_b32 s17, exec_lo
                                        ; implicit-def: $vgpr3
	v_and_b32_e32 v6, 0x7fffffff, v2
	s_delay_alu instid0(VALU_DEP_1)
	v_cmpx_gt_u32_e32 0x47800000, v6
	s_xor_b32 s17, exec_lo, s17
	s_cbranch_execz .LBB8_1026
; %bb.1021:
	s_mov_b32 s18, exec_lo
                                        ; implicit-def: $vgpr3
	v_cmpx_lt_u32_e32 0x387fffff, v6
	s_xor_b32 s18, exec_lo, s18
; %bb.1022:
	v_bfe_u32 v3, v2, 21, 1
	s_delay_alu instid0(VALU_DEP_1) | instskip(NEXT) | instid1(VALU_DEP_1)
	v_add3_u32 v3, v2, v3, 0x80fffff
	v_lshrrev_b32_e32 v3, 21, v3
; %bb.1023:
	s_and_not1_saveexec_b32 s18, s18
; %bb.1024:
	v_add_f32_e64 v3, 0x43000000, |v2|
; %bb.1025:
	s_or_b32 exec_lo, exec_lo, s18
                                        ; implicit-def: $vgpr6
.LBB8_1026:
	s_and_not1_saveexec_b32 s17, s17
; %bb.1027:
	v_mov_b32_e32 v3, 0x7f
	v_cmp_lt_u32_e32 vcc_lo, 0x7f800000, v6
	s_delay_alu instid0(VALU_DEP_2)
	v_cndmask_b32_e32 v3, 0x7c, v3, vcc_lo
; %bb.1028:
	s_or_b32 exec_lo, exec_lo, s17
	v_lshrrev_b32_e32 v2, 24, v2
	s_delay_alu instid0(VALU_DEP_1)
	v_and_or_b32 v2, 0x80, v2, v3
	global_store_b8 v[4:5], v2, off
.LBB8_1029:
	s_mov_b32 s17, 0
.LBB8_1030:
	s_delay_alu instid0(SALU_CYCLE_1)
	s_and_not1_b32 vcc_lo, exec_lo, s17
	s_mov_b32 s17, 0
	s_cbranch_vccnz .LBB8_1038
; %bb.1031:
	s_cmp_gt_i32 s15, 14
	s_mov_b32 s17, -1
	s_cbranch_scc0 .LBB8_1035
; %bb.1032:
	s_cmp_eq_u32 s15, 15
	s_mov_b32 s0, -1
	s_cbranch_scc0 .LBB8_1034
; %bb.1033:
	s_wait_xcnt 0x0
	s_delay_alu instid0(VALU_DEP_4) | instskip(SKIP_1) | instid1(VALU_DEP_1)
	v_cvt_f32_f64_e32 v2, v[0:1]
	s_mov_b32 s0, 0
	v_bfe_u32 v3, v2, 16, 1
	v_cmp_o_f32_e32 vcc_lo, v2, v2
	s_delay_alu instid0(VALU_DEP_2) | instskip(NEXT) | instid1(VALU_DEP_1)
	v_add3_u32 v3, v2, v3, 0x7fff
	v_lshrrev_b32_e32 v3, 16, v3
	s_delay_alu instid0(VALU_DEP_1)
	v_cndmask_b32_e32 v2, 0x7fc0, v3, vcc_lo
	global_store_b16 v[4:5], v2, off
.LBB8_1034:
	s_mov_b32 s17, 0
.LBB8_1035:
	s_delay_alu instid0(SALU_CYCLE_1)
	s_and_b32 vcc_lo, exec_lo, s17
	s_mov_b32 s17, 0
	s_cbranch_vccz .LBB8_1038
; %bb.1036:
	s_cmp_lg_u32 s15, 11
	s_mov_b32 s17, -1
	s_cselect_b32 s15, -1, 0
	s_and_not1_b32 s0, s0, exec_lo
	s_and_b32 s15, s15, exec_lo
	s_delay_alu instid0(SALU_CYCLE_1)
	s_or_b32 s0, s0, s15
	s_branch .LBB8_1038
.LBB8_1037:
	s_mov_b32 s17, 0
.LBB8_1038:
	s_and_not1_b32 s11, s11, exec_lo
	s_and_b32 s0, s0, exec_lo
	s_and_b32 s15, s16, exec_lo
	;; [unrolled: 1-line block ×3, first 2 shown]
	s_or_b32 s11, s11, s0
	s_wait_xcnt 0x0
	s_or_b32 exec_lo, exec_lo, s14
	s_and_saveexec_b32 s0, s11
	s_cbranch_execz .LBB8_967
.LBB8_1039:
	s_or_b32 s12, s12, exec_lo
	s_and_not1_b32 s16, s16, exec_lo
	s_trap 2
	s_or_b32 exec_lo, exec_lo, s0
	s_and_saveexec_b32 s0, s16
	s_delay_alu instid0(SALU_CYCLE_1)
	s_xor_b32 s0, exec_lo, s0
	s_cbranch_execnz .LBB8_968
.LBB8_1040:
	s_or_b32 exec_lo, exec_lo, s0
	s_and_saveexec_b32 s0, s15
	s_delay_alu instid0(SALU_CYCLE_1)
	s_xor_b32 s0, exec_lo, s0
	s_cbranch_execz .LBB8_1078
.LBB8_1041:
	s_sext_i32_i16 s14, s13
	s_mov_b32 s11, -1
	s_cmp_lt_i32 s14, 5
	s_cbranch_scc1 .LBB8_1062
; %bb.1042:
	s_cmp_lt_i32 s14, 8
	s_cbranch_scc1 .LBB8_1052
; %bb.1043:
	s_cmp_lt_i32 s14, 9
	s_cbranch_scc1 .LBB8_1049
; %bb.1044:
	s_cmp_gt_i32 s14, 9
	s_cbranch_scc0 .LBB8_1046
; %bb.1045:
	s_wait_loadcnt 0x0
	v_mov_b32_e32 v2, 0
	s_mov_b32 s11, 0
	s_delay_alu instid0(VALU_DEP_1)
	v_mov_b32_e32 v3, v2
	global_store_b128 v[4:5], v[0:3], off
.LBB8_1046:
	s_and_not1_b32 vcc_lo, exec_lo, s11
	s_cbranch_vccnz .LBB8_1048
; %bb.1047:
	s_wait_loadcnt 0x0
	v_cvt_f32_f64_e32 v2, v[0:1]
	v_mov_b32_e32 v3, 0
	global_store_b64 v[4:5], v[2:3], off
.LBB8_1048:
	s_mov_b32 s11, 0
.LBB8_1049:
	s_delay_alu instid0(SALU_CYCLE_1)
	s_and_not1_b32 vcc_lo, exec_lo, s11
	s_cbranch_vccnz .LBB8_1051
; %bb.1050:
	s_wait_loadcnt 0x0
	v_and_or_b32 v2, 0x1ff, v1, v0
	v_lshrrev_b32_e32 v3, 8, v1
	v_bfe_u32 v6, v1, 20, 11
	s_delay_alu instid0(VALU_DEP_3) | instskip(NEXT) | instid1(VALU_DEP_2)
	v_cmp_ne_u32_e32 vcc_lo, 0, v2
	v_sub_nc_u32_e32 v7, 0x3f1, v6
	v_cndmask_b32_e64 v2, 0, 1, vcc_lo
	s_delay_alu instid0(VALU_DEP_1) | instskip(NEXT) | instid1(VALU_DEP_3)
	v_and_or_b32 v2, 0xffe, v3, v2
	v_med3_i32 v3, v7, 0, 13
	s_delay_alu instid0(VALU_DEP_2) | instskip(NEXT) | instid1(VALU_DEP_1)
	v_or_b32_e32 v7, 0x1000, v2
	v_lshrrev_b32_e32 v8, v3, v7
	s_delay_alu instid0(VALU_DEP_1) | instskip(NEXT) | instid1(VALU_DEP_1)
	v_lshlrev_b32_e32 v3, v3, v8
	v_cmp_ne_u32_e32 vcc_lo, v3, v7
	v_cndmask_b32_e64 v3, 0, 1, vcc_lo
	s_delay_alu instid0(VALU_DEP_1) | instskip(SKIP_1) | instid1(VALU_DEP_1)
	v_or_b32_e32 v3, v8, v3
	v_add_nc_u32_e32 v6, 0xfffffc10, v6
	v_lshl_or_b32 v7, v6, 12, v2
	v_cmp_gt_i32_e32 vcc_lo, 1, v6
	s_delay_alu instid0(VALU_DEP_2) | instskip(NEXT) | instid1(VALU_DEP_1)
	v_cndmask_b32_e32 v3, v7, v3, vcc_lo
	v_dual_lshrrev_b32 v3, 2, v3 :: v_dual_bitop2_b32 v7, 7, v3 bitop3:0x40
	s_delay_alu instid0(VALU_DEP_1) | instskip(SKIP_4) | instid1(VALU_DEP_2)
	v_cmp_lt_i32_e32 vcc_lo, 5, v7
	v_cndmask_b32_e64 v8, 0, 1, vcc_lo
	v_cmp_eq_u32_e32 vcc_lo, 3, v7
	v_cndmask_b32_e64 v7, 0, 1, vcc_lo
	v_cmp_ne_u32_e32 vcc_lo, 0, v2
	v_or_b32_e32 v7, v7, v8
	s_delay_alu instid0(VALU_DEP_1) | instskip(NEXT) | instid1(VALU_DEP_1)
	v_dual_mov_b32 v8, 0x7e00 :: v_dual_add_nc_u32 v3, v3, v7
	v_cndmask_b32_e32 v2, 0x7c00, v8, vcc_lo
	v_cmp_gt_i32_e32 vcc_lo, 31, v6
	v_lshrrev_b32_e32 v7, 16, v1
	s_delay_alu instid0(VALU_DEP_4) | instskip(SKIP_1) | instid1(VALU_DEP_2)
	v_cndmask_b32_e32 v3, 0x7c00, v3, vcc_lo
	v_cmp_eq_u32_e32 vcc_lo, 0x40f, v6
	v_cndmask_b32_e32 v2, v3, v2, vcc_lo
	s_delay_alu instid0(VALU_DEP_4) | instskip(NEXT) | instid1(VALU_DEP_1)
	v_and_b32_e32 v3, 0x8000, v7
	v_bitop3_b32 v2, v3, 0xffff, v2 bitop3:0xc8
	global_store_b32 v[4:5], v2, off
.LBB8_1051:
	s_mov_b32 s11, 0
.LBB8_1052:
	s_delay_alu instid0(SALU_CYCLE_1)
	s_and_not1_b32 vcc_lo, exec_lo, s11
	s_cbranch_vccnz .LBB8_1061
; %bb.1053:
	s_sext_i32_i16 s14, s13
	s_mov_b32 s11, -1
	s_cmp_lt_i32 s14, 6
	s_cbranch_scc1 .LBB8_1059
; %bb.1054:
	s_cmp_gt_i32 s14, 6
	s_cbranch_scc0 .LBB8_1056
; %bb.1055:
	s_mov_b32 s11, 0
	global_store_b64 v[4:5], v[0:1], off
.LBB8_1056:
	s_and_not1_b32 vcc_lo, exec_lo, s11
	s_cbranch_vccnz .LBB8_1058
; %bb.1057:
	s_wait_loadcnt 0x0
	v_cvt_f32_f64_e32 v2, v[0:1]
	global_store_b32 v[4:5], v2, off
.LBB8_1058:
	s_mov_b32 s11, 0
.LBB8_1059:
	s_delay_alu instid0(SALU_CYCLE_1)
	s_and_not1_b32 vcc_lo, exec_lo, s11
	s_cbranch_vccnz .LBB8_1061
; %bb.1060:
	s_wait_loadcnt 0x0
	v_and_or_b32 v2, 0x1ff, v1, v0
	v_lshrrev_b32_e32 v3, 8, v1
	v_bfe_u32 v6, v1, 20, 11
	s_delay_alu instid0(VALU_DEP_3) | instskip(NEXT) | instid1(VALU_DEP_2)
	v_cmp_ne_u32_e32 vcc_lo, 0, v2
	v_sub_nc_u32_e32 v7, 0x3f1, v6
	v_cndmask_b32_e64 v2, 0, 1, vcc_lo
	s_delay_alu instid0(VALU_DEP_1) | instskip(NEXT) | instid1(VALU_DEP_3)
	v_and_or_b32 v2, 0xffe, v3, v2
	v_med3_i32 v3, v7, 0, 13
	s_delay_alu instid0(VALU_DEP_2) | instskip(NEXT) | instid1(VALU_DEP_1)
	v_or_b32_e32 v7, 0x1000, v2
	v_lshrrev_b32_e32 v8, v3, v7
	s_delay_alu instid0(VALU_DEP_1) | instskip(NEXT) | instid1(VALU_DEP_1)
	v_lshlrev_b32_e32 v3, v3, v8
	v_cmp_ne_u32_e32 vcc_lo, v3, v7
	v_cndmask_b32_e64 v3, 0, 1, vcc_lo
	s_delay_alu instid0(VALU_DEP_1) | instskip(SKIP_1) | instid1(VALU_DEP_1)
	v_or_b32_e32 v3, v8, v3
	v_add_nc_u32_e32 v6, 0xfffffc10, v6
	v_lshl_or_b32 v7, v6, 12, v2
	v_cmp_gt_i32_e32 vcc_lo, 1, v6
	s_delay_alu instid0(VALU_DEP_2) | instskip(NEXT) | instid1(VALU_DEP_1)
	v_cndmask_b32_e32 v3, v7, v3, vcc_lo
	v_dual_lshrrev_b32 v3, 2, v3 :: v_dual_bitop2_b32 v7, 7, v3 bitop3:0x40
	s_delay_alu instid0(VALU_DEP_1) | instskip(SKIP_4) | instid1(VALU_DEP_2)
	v_cmp_lt_i32_e32 vcc_lo, 5, v7
	v_cndmask_b32_e64 v8, 0, 1, vcc_lo
	v_cmp_eq_u32_e32 vcc_lo, 3, v7
	v_cndmask_b32_e64 v7, 0, 1, vcc_lo
	v_cmp_ne_u32_e32 vcc_lo, 0, v2
	v_or_b32_e32 v7, v7, v8
	s_delay_alu instid0(VALU_DEP_1) | instskip(NEXT) | instid1(VALU_DEP_1)
	v_dual_mov_b32 v8, 0x7e00 :: v_dual_add_nc_u32 v3, v3, v7
	v_cndmask_b32_e32 v2, 0x7c00, v8, vcc_lo
	v_cmp_gt_i32_e32 vcc_lo, 31, v6
	s_delay_alu instid0(VALU_DEP_3) | instskip(SKIP_1) | instid1(VALU_DEP_2)
	v_cndmask_b32_e32 v3, 0x7c00, v3, vcc_lo
	v_cmp_eq_u32_e32 vcc_lo, 0x40f, v6
	v_dual_cndmask_b32 v2, v3, v2 :: v_dual_lshrrev_b32 v3, 16, v1
	s_delay_alu instid0(VALU_DEP_1)
	v_and_or_b32 v2, 0x8000, v3, v2
	global_store_b16 v[4:5], v2, off
.LBB8_1061:
	s_mov_b32 s11, 0
.LBB8_1062:
	s_delay_alu instid0(SALU_CYCLE_1)
	s_and_not1_b32 vcc_lo, exec_lo, s11
	s_cbranch_vccnz .LBB8_1078
; %bb.1063:
	s_sext_i32_i16 s14, s13
	s_mov_b32 s11, -1
	s_cmp_lt_i32 s14, 2
	s_cbranch_scc1 .LBB8_1073
; %bb.1064:
	s_cmp_lt_i32 s14, 3
	s_cbranch_scc1 .LBB8_1070
; %bb.1065:
	s_cmp_gt_i32 s14, 3
	s_cbranch_scc0 .LBB8_1067
; %bb.1066:
	s_wait_loadcnt 0x0
	v_trunc_f64_e32 v[2:3], v[0:1]
	s_mov_b32 s11, 0
	s_delay_alu instid0(VALU_DEP_1) | instskip(NEXT) | instid1(VALU_DEP_1)
	v_ldexp_f64 v[6:7], v[2:3], 0xffffffe0
	v_floor_f64_e32 v[6:7], v[6:7]
	s_delay_alu instid0(VALU_DEP_1) | instskip(SKIP_1) | instid1(VALU_DEP_2)
	v_fmamk_f64 v[2:3], v[6:7], 0xc1f00000, v[2:3]
	v_cvt_i32_f64_e32 v7, v[6:7]
	v_cvt_u32_f64_e32 v6, v[2:3]
	global_store_b64 v[4:5], v[6:7], off
.LBB8_1067:
	s_and_not1_b32 vcc_lo, exec_lo, s11
	s_cbranch_vccnz .LBB8_1069
; %bb.1068:
	s_wait_loadcnt 0x0
	v_cvt_i32_f64_e32 v2, v[0:1]
	global_store_b32 v[4:5], v2, off
.LBB8_1069:
	s_mov_b32 s11, 0
.LBB8_1070:
	s_delay_alu instid0(SALU_CYCLE_1)
	s_and_not1_b32 vcc_lo, exec_lo, s11
	s_cbranch_vccnz .LBB8_1072
; %bb.1071:
	s_wait_loadcnt 0x0
	v_cvt_i32_f64_e32 v2, v[0:1]
	global_store_b16 v[4:5], v2, off
.LBB8_1072:
	s_mov_b32 s11, 0
.LBB8_1073:
	s_delay_alu instid0(SALU_CYCLE_1)
	s_and_not1_b32 vcc_lo, exec_lo, s11
	s_cbranch_vccnz .LBB8_1078
; %bb.1074:
	s_sext_i32_i16 s11, s13
	s_delay_alu instid0(SALU_CYCLE_1)
	s_cmp_gt_i32 s11, 0
	s_mov_b32 s11, -1
	s_cbranch_scc0 .LBB8_1076
; %bb.1075:
	s_wait_loadcnt 0x0
	v_cvt_i32_f64_e32 v2, v[0:1]
	s_mov_b32 s11, 0
	global_store_b8 v[4:5], v2, off
.LBB8_1076:
	s_and_not1_b32 vcc_lo, exec_lo, s11
	s_cbranch_vccnz .LBB8_1078
; %bb.1077:
	s_wait_xcnt 0x0
	v_trunc_f64_e32 v[0:1], v[0:1]
	s_wait_loadcnt 0x0
	s_delay_alu instid0(VALU_DEP_1) | instskip(NEXT) | instid1(VALU_DEP_1)
	v_ldexp_f64 v[2:3], v[0:1], 0xffffffe0
	v_floor_f64_e32 v[2:3], v[2:3]
	s_delay_alu instid0(VALU_DEP_1) | instskip(NEXT) | instid1(VALU_DEP_1)
	v_fmamk_f64 v[0:1], v[2:3], 0xc1f00000, v[0:1]
	v_cvt_u32_f64_e32 v0, v[0:1]
	global_store_b8 v[4:5], v0, off
.LBB8_1078:
	s_wait_xcnt 0x0
	s_or_b32 exec_lo, exec_lo, s0
	s_delay_alu instid0(SALU_CYCLE_1)
	s_and_b32 s11, s12, exec_lo
                                        ; implicit-def: $vgpr14
.LBB8_1079:
	s_or_saveexec_b32 s10, s10
	s_mov_b32 s0, 0
                                        ; implicit-def: $sgpr12
                                        ; implicit-def: $vgpr0_vgpr1
                                        ; implicit-def: $vgpr12_vgpr13
	s_xor_b32 exec_lo, exec_lo, s10
	s_cbranch_execz .LBB8_1724
; %bb.1080:
	s_wait_loadcnt 0x0
	v_mul_lo_u32 v2, s3, v14
	s_and_b32 s9, 0xffff, s9
	s_delay_alu instid0(SALU_CYCLE_1) | instskip(NEXT) | instid1(VALU_DEP_1)
	s_cmp_lt_i32 s9, 11
	v_ashrrev_i32_e32 v3, 31, v2
	s_delay_alu instid0(VALU_DEP_1)
	v_add_nc_u64_e32 v[0:1], s[6:7], v[2:3]
	s_cbranch_scc1 .LBB8_1087
; %bb.1081:
	s_cmp_gt_i32 s9, 25
	s_mov_b32 s12, 0
	s_cbranch_scc0 .LBB8_1089
; %bb.1082:
	s_cmp_gt_i32 s9, 28
	s_cbranch_scc0 .LBB8_1090
; %bb.1083:
	s_cmp_gt_i32 s9, 43
	s_cbranch_scc0 .LBB8_1091
; %bb.1084:
	s_cmp_gt_i32 s9, 45
	s_cbranch_scc0 .LBB8_1092
; %bb.1085:
	s_cmp_eq_u32 s9, 46
	s_cbranch_scc0 .LBB8_1095
; %bb.1086:
	global_load_b32 v3, v[0:1], off
	s_mov_b32 s13, -1
	s_wait_loadcnt 0x0
	v_lshlrev_b32_e32 v3, 16, v3
	s_delay_alu instid0(VALU_DEP_1)
	v_cvt_f64_f32_e32 v[4:5], v3
	s_branch .LBB8_1097
.LBB8_1087:
	s_mov_b32 s13, 0
	s_mov_b32 s1, s11
                                        ; implicit-def: $vgpr4_vgpr5
	s_cbranch_execnz .LBB8_1160
.LBB8_1088:
	s_and_not1_b32 vcc_lo, exec_lo, s13
	s_cbranch_vccz .LBB8_1205
	s_branch .LBB8_1722
.LBB8_1089:
	s_mov_b32 s13, 0
                                        ; implicit-def: $vgpr4_vgpr5
	s_cbranch_execnz .LBB8_1125
	s_branch .LBB8_1156
.LBB8_1090:
	s_mov_b32 s1, -1
	s_mov_b32 s13, 0
                                        ; implicit-def: $vgpr4_vgpr5
	s_branch .LBB8_1106
.LBB8_1091:
	s_mov_b32 s13, 0
                                        ; implicit-def: $vgpr4_vgpr5
	s_cbranch_execnz .LBB8_1102
	s_branch .LBB8_1105
.LBB8_1092:
	s_mov_b32 s1, -1
	s_branch .LBB8_1096
.LBB8_1093:
	s_and_not1_saveexec_b32 s18, s18
	s_cbranch_execz .LBB8_992
.LBB8_1094:
	v_add_f32_e64 v3, 0x46000000, |v2|
	s_and_not1_b32 s17, s17, exec_lo
	s_delay_alu instid0(VALU_DEP_1) | instskip(NEXT) | instid1(VALU_DEP_1)
	v_and_b32_e32 v3, 0xff, v3
	v_cmp_ne_u32_e32 vcc_lo, 0, v3
	s_and_b32 s19, vcc_lo, exec_lo
	s_delay_alu instid0(SALU_CYCLE_1)
	s_or_b32 s17, s17, s19
	s_or_b32 exec_lo, exec_lo, s18
	v_mov_b32_e32 v6, 0
	s_and_saveexec_b32 s18, s17
	s_cbranch_execnz .LBB8_993
	s_branch .LBB8_994
.LBB8_1095:
	s_mov_b32 s0, -1
.LBB8_1096:
	s_mov_b32 s13, 0
                                        ; implicit-def: $vgpr4_vgpr5
.LBB8_1097:
	s_and_b32 vcc_lo, exec_lo, s1
	s_cbranch_vccz .LBB8_1100
; %bb.1098:
	s_cmp_eq_u32 s9, 44
	s_cbranch_scc0 .LBB8_1101
; %bb.1099:
	global_load_u8 v3, v[0:1], off
	s_mov_b32 s0, 0
	s_mov_b32 s13, -1
	s_wait_loadcnt 0x0
	v_cmp_ne_u32_e32 vcc_lo, 0xff, v3
	v_lshlrev_b32_e32 v4, 23, v3
	s_delay_alu instid0(VALU_DEP_1) | instskip(NEXT) | instid1(VALU_DEP_1)
	v_cvt_f64_f32_e32 v[4:5], v4
	v_cndmask_b32_e32 v4, 0x20000000, v4, vcc_lo
	s_delay_alu instid0(VALU_DEP_2) | instskip(SKIP_1) | instid1(VALU_DEP_2)
	v_cndmask_b32_e32 v5, 0x7ff80000, v5, vcc_lo
	v_cmp_ne_u32_e32 vcc_lo, 0, v3
	v_cndmask_b32_e32 v5, 0x38000000, v5, vcc_lo
	s_delay_alu instid0(VALU_DEP_4)
	v_cndmask_b32_e32 v4, 0, v4, vcc_lo
.LBB8_1100:
	s_branch .LBB8_1105
.LBB8_1101:
	s_mov_b32 s0, -1
                                        ; implicit-def: $vgpr4_vgpr5
	s_branch .LBB8_1105
.LBB8_1102:
	s_cmp_eq_u32 s9, 29
	s_cbranch_scc0 .LBB8_1104
; %bb.1103:
	global_load_b64 v[4:5], v[0:1], off
	s_mov_b32 s0, 0
	s_mov_b32 s13, -1
	s_mov_b32 s1, 0
	s_wait_loadcnt 0x0
	v_cvt_f64_u32_e32 v[6:7], v5
	v_cvt_f64_u32_e32 v[4:5], v4
	s_delay_alu instid0(VALU_DEP_2) | instskip(NEXT) | instid1(VALU_DEP_1)
	v_ldexp_f64 v[6:7], v[6:7], 32
	v_add_f64_e32 v[4:5], v[6:7], v[4:5]
	s_branch .LBB8_1106
.LBB8_1104:
	s_mov_b32 s0, -1
                                        ; implicit-def: $vgpr4_vgpr5
.LBB8_1105:
	s_mov_b32 s1, 0
.LBB8_1106:
	s_delay_alu instid0(SALU_CYCLE_1)
	s_and_b32 vcc_lo, exec_lo, s1
	s_cbranch_vccz .LBB8_1124
; %bb.1107:
	s_cmp_lt_i32 s9, 27
	s_cbranch_scc1 .LBB8_1110
; %bb.1108:
	s_cmp_gt_i32 s9, 27
	s_cbranch_scc0 .LBB8_1111
; %bb.1109:
	global_load_b32 v3, v[0:1], off
	s_mov_b32 s1, 0
	s_wait_loadcnt 0x0
	v_cvt_f64_u32_e32 v[4:5], v3
	s_branch .LBB8_1112
.LBB8_1110:
	s_mov_b32 s1, -1
                                        ; implicit-def: $vgpr4_vgpr5
	s_branch .LBB8_1115
.LBB8_1111:
	s_mov_b32 s1, -1
                                        ; implicit-def: $vgpr4_vgpr5
.LBB8_1112:
	s_delay_alu instid0(SALU_CYCLE_1)
	s_and_not1_b32 vcc_lo, exec_lo, s1
	s_cbranch_vccnz .LBB8_1114
; %bb.1113:
	global_load_u16 v3, v[0:1], off
	s_wait_loadcnt 0x0
	v_cvt_f64_u32_e32 v[4:5], v3
.LBB8_1114:
	s_mov_b32 s1, 0
.LBB8_1115:
	s_delay_alu instid0(SALU_CYCLE_1)
	s_and_not1_b32 vcc_lo, exec_lo, s1
	s_cbranch_vccnz .LBB8_1123
; %bb.1116:
	global_load_u8 v3, v[0:1], off
	s_mov_b32 s1, 0
	s_mov_b32 s13, exec_lo
	s_wait_loadcnt 0x0
	v_cmpx_lt_i16_e32 0x7f, v3
	s_xor_b32 s13, exec_lo, s13
	s_cbranch_execz .LBB8_1136
; %bb.1117:
	s_mov_b32 s1, -1
	s_mov_b32 s14, exec_lo
	v_cmpx_eq_u16_e32 0x80, v3
; %bb.1118:
	s_xor_b32 s1, exec_lo, -1
; %bb.1119:
	s_or_b32 exec_lo, exec_lo, s14
	s_delay_alu instid0(SALU_CYCLE_1)
	s_and_b32 s1, s1, exec_lo
	s_or_saveexec_b32 s13, s13
	v_mov_b64_e32 v[4:5], 0x7ff8000020000000
	s_xor_b32 exec_lo, exec_lo, s13
	s_cbranch_execnz .LBB8_1137
.LBB8_1120:
	s_or_b32 exec_lo, exec_lo, s13
	s_and_saveexec_b32 s13, s1
	s_cbranch_execz .LBB8_1122
.LBB8_1121:
	v_and_b32_e32 v4, 0xffff, v3
	s_delay_alu instid0(VALU_DEP_1) | instskip(SKIP_1) | instid1(VALU_DEP_2)
	v_and_b32_e32 v5, 7, v4
	v_bfe_u32 v8, v4, 3, 4
	v_clz_i32_u32_e32 v6, v5
	s_delay_alu instid0(VALU_DEP_2) | instskip(NEXT) | instid1(VALU_DEP_2)
	v_cmp_eq_u32_e32 vcc_lo, 0, v8
	v_min_u32_e32 v6, 32, v6
	s_delay_alu instid0(VALU_DEP_1) | instskip(NEXT) | instid1(VALU_DEP_1)
	v_subrev_nc_u32_e32 v7, 28, v6
	v_dual_lshlrev_b32 v4, v7, v4 :: v_dual_sub_nc_u32 v6, 29, v6
	s_delay_alu instid0(VALU_DEP_1) | instskip(NEXT) | instid1(VALU_DEP_1)
	v_dual_lshlrev_b32 v3, 24, v3 :: v_dual_bitop2_b32 v4, 7, v4 bitop3:0x40
	v_dual_cndmask_b32 v6, v8, v6, vcc_lo :: v_dual_cndmask_b32 v4, v5, v4, vcc_lo
	s_delay_alu instid0(VALU_DEP_2) | instskip(NEXT) | instid1(VALU_DEP_2)
	v_and_b32_e32 v3, 0x80000000, v3
	v_lshl_add_u32 v5, v6, 23, 0x3b800000
	s_delay_alu instid0(VALU_DEP_3) | instskip(NEXT) | instid1(VALU_DEP_1)
	v_lshlrev_b32_e32 v4, 20, v4
	v_or3_b32 v3, v3, v5, v4
	s_delay_alu instid0(VALU_DEP_1)
	v_cvt_f64_f32_e32 v[4:5], v3
.LBB8_1122:
	s_or_b32 exec_lo, exec_lo, s13
.LBB8_1123:
	s_mov_b32 s13, -1
.LBB8_1124:
	s_branch .LBB8_1156
.LBB8_1125:
	s_cmp_gt_i32 s9, 22
	s_cbranch_scc0 .LBB8_1135
; %bb.1126:
	s_cmp_lt_i32 s9, 24
	s_cbranch_scc1 .LBB8_1138
; %bb.1127:
	s_cmp_gt_i32 s9, 24
	s_cbranch_scc0 .LBB8_1139
; %bb.1128:
	global_load_u8 v3, v[0:1], off
	s_mov_b32 s1, 0
	s_mov_b32 s12, exec_lo
	s_wait_loadcnt 0x0
	v_cmpx_lt_i16_e32 0x7f, v3
	s_xor_b32 s12, exec_lo, s12
	s_cbranch_execz .LBB8_1150
; %bb.1129:
	s_mov_b32 s1, -1
	s_mov_b32 s13, exec_lo
	v_cmpx_eq_u16_e32 0x80, v3
; %bb.1130:
	s_xor_b32 s1, exec_lo, -1
; %bb.1131:
	s_or_b32 exec_lo, exec_lo, s13
	s_delay_alu instid0(SALU_CYCLE_1)
	s_and_b32 s1, s1, exec_lo
	s_or_saveexec_b32 s12, s12
	v_mov_b64_e32 v[4:5], 0x7ff8000020000000
	s_xor_b32 exec_lo, exec_lo, s12
	s_cbranch_execnz .LBB8_1151
.LBB8_1132:
	s_or_b32 exec_lo, exec_lo, s12
	s_and_saveexec_b32 s12, s1
	s_cbranch_execz .LBB8_1134
.LBB8_1133:
	v_and_b32_e32 v4, 0xffff, v3
	s_delay_alu instid0(VALU_DEP_1) | instskip(SKIP_1) | instid1(VALU_DEP_2)
	v_and_b32_e32 v5, 3, v4
	v_bfe_u32 v8, v4, 2, 5
	v_clz_i32_u32_e32 v6, v5
	s_delay_alu instid0(VALU_DEP_2) | instskip(NEXT) | instid1(VALU_DEP_2)
	v_cmp_eq_u32_e32 vcc_lo, 0, v8
	v_min_u32_e32 v6, 32, v6
	s_delay_alu instid0(VALU_DEP_1) | instskip(NEXT) | instid1(VALU_DEP_1)
	v_subrev_nc_u32_e32 v7, 29, v6
	v_dual_lshlrev_b32 v4, v7, v4 :: v_dual_sub_nc_u32 v6, 30, v6
	s_delay_alu instid0(VALU_DEP_1) | instskip(NEXT) | instid1(VALU_DEP_1)
	v_dual_lshlrev_b32 v3, 24, v3 :: v_dual_bitop2_b32 v4, 3, v4 bitop3:0x40
	v_dual_cndmask_b32 v6, v8, v6, vcc_lo :: v_dual_cndmask_b32 v4, v5, v4, vcc_lo
	s_delay_alu instid0(VALU_DEP_2) | instskip(NEXT) | instid1(VALU_DEP_2)
	v_and_b32_e32 v3, 0x80000000, v3
	v_lshl_add_u32 v5, v6, 23, 0x37800000
	s_delay_alu instid0(VALU_DEP_3) | instskip(NEXT) | instid1(VALU_DEP_1)
	v_lshlrev_b32_e32 v4, 21, v4
	v_or3_b32 v3, v3, v5, v4
	s_delay_alu instid0(VALU_DEP_1)
	v_cvt_f64_f32_e32 v[4:5], v3
.LBB8_1134:
	s_or_b32 exec_lo, exec_lo, s12
	s_mov_b32 s1, 0
	s_branch .LBB8_1140
.LBB8_1135:
                                        ; implicit-def: $vgpr4_vgpr5
	s_mov_b32 s12, 0
	s_branch .LBB8_1146
.LBB8_1136:
	s_or_saveexec_b32 s13, s13
	v_mov_b64_e32 v[4:5], 0x7ff8000020000000
	s_xor_b32 exec_lo, exec_lo, s13
	s_cbranch_execz .LBB8_1120
.LBB8_1137:
	v_cmp_ne_u16_e32 vcc_lo, 0, v3
	v_mov_b64_e32 v[4:5], 0
	s_and_not1_b32 s1, s1, exec_lo
	s_and_b32 s14, vcc_lo, exec_lo
	s_delay_alu instid0(SALU_CYCLE_1)
	s_or_b32 s1, s1, s14
	s_or_b32 exec_lo, exec_lo, s13
	s_and_saveexec_b32 s13, s1
	s_cbranch_execnz .LBB8_1121
	s_branch .LBB8_1122
.LBB8_1138:
	s_mov_b32 s1, -1
                                        ; implicit-def: $vgpr4_vgpr5
	s_branch .LBB8_1143
.LBB8_1139:
	s_mov_b32 s1, -1
                                        ; implicit-def: $vgpr4_vgpr5
.LBB8_1140:
	s_delay_alu instid0(SALU_CYCLE_1)
	s_and_b32 vcc_lo, exec_lo, s1
	s_cbranch_vccz .LBB8_1142
; %bb.1141:
	global_load_u8 v3, v[0:1], off
	s_wait_loadcnt 0x0
	v_lshlrev_b32_e32 v3, 24, v3
	s_delay_alu instid0(VALU_DEP_1) | instskip(NEXT) | instid1(VALU_DEP_1)
	v_and_b32_e32 v4, 0x7f000000, v3
	v_clz_i32_u32_e32 v5, v4
	v_cmp_ne_u32_e32 vcc_lo, 0, v4
	v_add_nc_u32_e32 v7, 0x1000000, v4
	s_delay_alu instid0(VALU_DEP_3) | instskip(NEXT) | instid1(VALU_DEP_1)
	v_min_u32_e32 v5, 32, v5
	v_sub_nc_u32_e64 v5, v5, 4 clamp
	s_delay_alu instid0(VALU_DEP_1) | instskip(NEXT) | instid1(VALU_DEP_1)
	v_dual_lshlrev_b32 v6, v5, v4 :: v_dual_lshlrev_b32 v5, 23, v5
	v_lshrrev_b32_e32 v6, 4, v6
	s_delay_alu instid0(VALU_DEP_1) | instskip(NEXT) | instid1(VALU_DEP_1)
	v_dual_sub_nc_u32 v5, v6, v5 :: v_dual_ashrrev_i32 v6, 8, v7
	v_add_nc_u32_e32 v5, 0x3c000000, v5
	s_delay_alu instid0(VALU_DEP_1) | instskip(NEXT) | instid1(VALU_DEP_1)
	v_and_or_b32 v5, 0x7f800000, v6, v5
	v_cndmask_b32_e32 v4, 0, v5, vcc_lo
	s_delay_alu instid0(VALU_DEP_1) | instskip(NEXT) | instid1(VALU_DEP_1)
	v_and_or_b32 v3, 0x80000000, v3, v4
	v_cvt_f64_f32_e32 v[4:5], v3
.LBB8_1142:
	s_mov_b32 s1, 0
.LBB8_1143:
	s_delay_alu instid0(SALU_CYCLE_1)
	s_and_not1_b32 vcc_lo, exec_lo, s1
	s_cbranch_vccnz .LBB8_1145
; %bb.1144:
	global_load_u8 v3, v[0:1], off
	s_wait_loadcnt 0x0
	v_lshlrev_b32_e32 v4, 25, v3
	v_lshlrev_b16 v3, 8, v3
	s_delay_alu instid0(VALU_DEP_1) | instskip(SKIP_1) | instid1(VALU_DEP_2)
	v_and_or_b32 v6, 0x7f00, v3, 0.5
	v_bfe_i32 v3, v3, 0, 16
	v_dual_add_f32 v6, -0.5, v6 :: v_dual_lshrrev_b32 v5, 4, v4
	v_cmp_gt_u32_e32 vcc_lo, 0x8000000, v4
	s_delay_alu instid0(VALU_DEP_2) | instskip(NEXT) | instid1(VALU_DEP_1)
	v_or_b32_e32 v5, 0x70000000, v5
	v_mul_f32_e32 v5, 0x7800000, v5
	s_delay_alu instid0(VALU_DEP_1) | instskip(NEXT) | instid1(VALU_DEP_1)
	v_cndmask_b32_e32 v4, v5, v6, vcc_lo
	v_and_or_b32 v3, 0x80000000, v3, v4
	s_delay_alu instid0(VALU_DEP_1)
	v_cvt_f64_f32_e32 v[4:5], v3
.LBB8_1145:
	s_mov_b32 s13, -1
	s_mov_b32 s12, 0
	s_cbranch_execnz .LBB8_1156
.LBB8_1146:
	s_cmp_gt_i32 s9, 14
	s_cbranch_scc0 .LBB8_1149
; %bb.1147:
	s_cmp_eq_u32 s9, 15
	s_cbranch_scc0 .LBB8_1152
; %bb.1148:
	global_load_u16 v3, v[0:1], off
	s_mov_b32 s0, 0
	s_mov_b32 s13, -1
	s_wait_loadcnt 0x0
	v_lshlrev_b32_e32 v3, 16, v3
	s_delay_alu instid0(VALU_DEP_1)
	v_cvt_f64_f32_e32 v[4:5], v3
	s_branch .LBB8_1153
.LBB8_1149:
	s_mov_b32 s1, -1
                                        ; implicit-def: $vgpr4_vgpr5
	s_branch .LBB8_1154
.LBB8_1150:
	s_or_saveexec_b32 s12, s12
	v_mov_b64_e32 v[4:5], 0x7ff8000020000000
	s_xor_b32 exec_lo, exec_lo, s12
	s_cbranch_execz .LBB8_1132
.LBB8_1151:
	v_cmp_ne_u16_e32 vcc_lo, 0, v3
	v_mov_b64_e32 v[4:5], 0
	s_and_not1_b32 s1, s1, exec_lo
	s_and_b32 s13, vcc_lo, exec_lo
	s_delay_alu instid0(SALU_CYCLE_1)
	s_or_b32 s1, s1, s13
	s_or_b32 exec_lo, exec_lo, s12
	s_and_saveexec_b32 s12, s1
	s_cbranch_execnz .LBB8_1133
	s_branch .LBB8_1134
.LBB8_1152:
	s_mov_b32 s0, -1
                                        ; implicit-def: $vgpr4_vgpr5
.LBB8_1153:
	s_mov_b32 s1, 0
.LBB8_1154:
	s_delay_alu instid0(SALU_CYCLE_1)
	s_and_b32 vcc_lo, exec_lo, s1
	s_cbranch_vccz .LBB8_1156
; %bb.1155:
	s_cmp_lg_u32 s9, 11
	s_mov_b32 s12, -1
	s_cselect_b32 s0, -1, 0
.LBB8_1156:
	s_delay_alu instid0(SALU_CYCLE_1)
	s_and_b32 vcc_lo, exec_lo, s0
	s_mov_b32 s1, s11
	s_cbranch_vccnz .LBB8_1229
; %bb.1157:
	s_and_not1_b32 vcc_lo, exec_lo, s12
	s_cbranch_vccnz .LBB8_1159
.LBB8_1158:
	global_load_u8 v3, v[0:1], off
	v_mov_b32_e32 v4, 0
	s_mov_b32 s13, -1
	s_wait_loadcnt 0x0
	v_cmp_ne_u16_e32 vcc_lo, 0, v3
	v_cndmask_b32_e64 v5, 0, 0x3ff00000, vcc_lo
.LBB8_1159:
	s_branch .LBB8_1088
.LBB8_1160:
	s_cmp_lt_i32 s9, 5
	s_cbranch_scc1 .LBB8_1165
; %bb.1161:
	s_cmp_lt_i32 s9, 8
	s_cbranch_scc1 .LBB8_1166
; %bb.1162:
	;; [unrolled: 3-line block ×3, first 2 shown]
	s_cmp_gt_i32 s9, 9
	s_cbranch_scc0 .LBB8_1168
; %bb.1164:
	global_load_b64 v[4:5], v[0:1], off
	s_mov_b32 s0, 0
	s_branch .LBB8_1169
.LBB8_1165:
                                        ; implicit-def: $vgpr4_vgpr5
	s_branch .LBB8_1186
.LBB8_1166:
                                        ; implicit-def: $vgpr4_vgpr5
	s_branch .LBB8_1175
.LBB8_1167:
	s_mov_b32 s0, -1
                                        ; implicit-def: $vgpr4_vgpr5
	s_branch .LBB8_1172
.LBB8_1168:
	s_mov_b32 s0, -1
                                        ; implicit-def: $vgpr4_vgpr5
.LBB8_1169:
	s_delay_alu instid0(SALU_CYCLE_1)
	s_and_not1_b32 vcc_lo, exec_lo, s0
	s_cbranch_vccnz .LBB8_1171
; %bb.1170:
	global_load_b32 v3, v[0:1], off
	s_wait_loadcnt 0x0
	v_cvt_f64_f32_e32 v[4:5], v3
.LBB8_1171:
	s_mov_b32 s0, 0
.LBB8_1172:
	s_delay_alu instid0(SALU_CYCLE_1)
	s_and_not1_b32 vcc_lo, exec_lo, s0
	s_cbranch_vccnz .LBB8_1174
; %bb.1173:
	global_load_b32 v3, v[0:1], off
	s_wait_loadcnt 0x0
	v_cvt_f32_f16_e32 v3, v3
	s_delay_alu instid0(VALU_DEP_1)
	v_cvt_f64_f32_e32 v[4:5], v3
.LBB8_1174:
	s_cbranch_execnz .LBB8_1185
.LBB8_1175:
	s_cmp_lt_i32 s9, 6
	s_cbranch_scc1 .LBB8_1178
; %bb.1176:
	s_cmp_gt_i32 s9, 6
	s_cbranch_scc0 .LBB8_1179
; %bb.1177:
	s_wait_loadcnt 0x0
	global_load_b64 v[4:5], v[0:1], off
	s_mov_b32 s0, 0
	s_branch .LBB8_1180
.LBB8_1178:
	s_mov_b32 s0, -1
                                        ; implicit-def: $vgpr4_vgpr5
	s_branch .LBB8_1183
.LBB8_1179:
	s_mov_b32 s0, -1
                                        ; implicit-def: $vgpr4_vgpr5
.LBB8_1180:
	s_delay_alu instid0(SALU_CYCLE_1)
	s_and_not1_b32 vcc_lo, exec_lo, s0
	s_cbranch_vccnz .LBB8_1182
; %bb.1181:
	global_load_b32 v3, v[0:1], off
	s_wait_loadcnt 0x0
	v_cvt_f64_f32_e32 v[4:5], v3
.LBB8_1182:
	s_mov_b32 s0, 0
.LBB8_1183:
	s_delay_alu instid0(SALU_CYCLE_1)
	s_and_not1_b32 vcc_lo, exec_lo, s0
	s_cbranch_vccnz .LBB8_1185
; %bb.1184:
	global_load_u16 v3, v[0:1], off
	s_wait_loadcnt 0x0
	v_cvt_f32_f16_e32 v3, v3
	s_delay_alu instid0(VALU_DEP_1)
	v_cvt_f64_f32_e32 v[4:5], v3
.LBB8_1185:
	s_cbranch_execnz .LBB8_1204
.LBB8_1186:
	s_cmp_lt_i32 s9, 2
	s_cbranch_scc1 .LBB8_1190
; %bb.1187:
	s_cmp_lt_i32 s9, 3
	s_cbranch_scc1 .LBB8_1191
; %bb.1188:
	s_cmp_gt_i32 s9, 3
	s_cbranch_scc0 .LBB8_1192
; %bb.1189:
	s_wait_loadcnt 0x0
	global_load_b64 v[4:5], v[0:1], off
	s_mov_b32 s0, 0
	s_wait_loadcnt 0x0
	v_cvt_f64_i32_e32 v[6:7], v5
	v_cvt_f64_u32_e32 v[4:5], v4
	s_delay_alu instid0(VALU_DEP_2) | instskip(NEXT) | instid1(VALU_DEP_1)
	v_ldexp_f64 v[6:7], v[6:7], 32
	v_add_f64_e32 v[4:5], v[6:7], v[4:5]
	s_branch .LBB8_1193
.LBB8_1190:
                                        ; implicit-def: $vgpr4_vgpr5
	s_branch .LBB8_1199
.LBB8_1191:
	s_mov_b32 s0, -1
                                        ; implicit-def: $vgpr4_vgpr5
	s_branch .LBB8_1196
.LBB8_1192:
	s_mov_b32 s0, -1
                                        ; implicit-def: $vgpr4_vgpr5
.LBB8_1193:
	s_delay_alu instid0(SALU_CYCLE_1)
	s_and_not1_b32 vcc_lo, exec_lo, s0
	s_cbranch_vccnz .LBB8_1195
; %bb.1194:
	global_load_b32 v3, v[0:1], off
	s_wait_loadcnt 0x0
	v_cvt_f64_i32_e32 v[4:5], v3
.LBB8_1195:
	s_mov_b32 s0, 0
.LBB8_1196:
	s_delay_alu instid0(SALU_CYCLE_1)
	s_and_not1_b32 vcc_lo, exec_lo, s0
	s_cbranch_vccnz .LBB8_1198
; %bb.1197:
	global_load_i16 v3, v[0:1], off
	s_wait_loadcnt 0x0
	v_cvt_f64_i32_e32 v[4:5], v3
.LBB8_1198:
	s_cbranch_execnz .LBB8_1204
.LBB8_1199:
	s_cmp_gt_i32 s9, 0
	s_mov_b32 s0, 0
	s_cbranch_scc0 .LBB8_1201
; %bb.1200:
	global_load_i8 v3, v[0:1], off
	s_wait_loadcnt 0x0
	v_cvt_f64_i32_e32 v[4:5], v3
	s_branch .LBB8_1202
.LBB8_1201:
	s_mov_b32 s0, -1
                                        ; implicit-def: $vgpr4_vgpr5
.LBB8_1202:
	s_delay_alu instid0(SALU_CYCLE_1)
	s_and_not1_b32 vcc_lo, exec_lo, s0
	s_cbranch_vccnz .LBB8_1204
; %bb.1203:
	global_load_u8 v0, v[0:1], off
	s_wait_loadcnt 0x0
	v_cvt_f64_u32_e32 v[4:5], v0
.LBB8_1204:
.LBB8_1205:
	s_wait_loadcnt 0x0
	s_delay_alu instid0(VALU_DEP_1) | instskip(SKIP_2) | instid1(SALU_CYCLE_1)
	v_cmp_ge_f64_e64 s0, 0x40200000, |v[4:5]|
                                        ; implicit-def: $vgpr0_vgpr1
	s_wait_xcnt 0x0
	s_and_saveexec_b32 s12, s0
	s_xor_b32 s0, exec_lo, s12
	s_cbranch_execz .LBB8_1211
; %bb.1206:
	v_fma_f64 v[0:1], |v[4:5]|, 0.5, -2.0
	s_mov_b64 s[12:13], 0x3c499f2a0c3c4014
	s_delay_alu instid0(VALU_DEP_1) | instid1(SALU_CYCLE_1)
	v_fmaak_f64 v[6:7], s[12:13], v[0:1], 0xbc7857d0c38a0576
	s_mov_b64 s[12:13], 0x3ff71547652b82fe
	s_delay_alu instid0(SALU_CYCLE_1) | instskip(SKIP_1) | instid1(VALU_DEP_2)
	v_mul_f64_e64 v[10:11], |v[4:5]|, s[12:13]
	s_mov_b64 s[12:13], 0xbfe62e42fefa39ef
	v_fmaak_f64 v[8:9], v[0:1], v[6:7], 0xbc499f2a0c3c4014
	s_delay_alu instid0(VALU_DEP_1) | instskip(NEXT) | instid1(VALU_DEP_3)
	v_add_f64_e32 v[8:9], 0x3ca663e3e593bfac, v[8:9]
	v_rndne_f64_e32 v[10:11], v[10:11]
	s_delay_alu instid0(VALU_DEP_2) | instskip(NEXT) | instid1(VALU_DEP_2)
	v_fma_f64 v[6:7], v[0:1], v[8:9], -v[6:7]
	v_fma_f64 v[12:13], v[10:11], s[12:13], |v[4:5]|
	s_mov_b64 s[12:13], 0x3e5ade156a5dcb37
	v_cvt_i32_f64_e32 v3, v[10:11]
	s_delay_alu instid0(VALU_DEP_3) | instskip(NEXT) | instid1(VALU_DEP_1)
	v_add_f64_e32 v[6:7], 0xbcd3eaaa7e0d1573, v[6:7]
	v_fma_f64 v[8:9], v[0:1], v[6:7], -v[8:9]
	s_delay_alu instid0(VALU_DEP_1) | instskip(NEXT) | instid1(VALU_DEP_1)
	v_add_f64_e32 v[8:9], 0x3d011d7f0615290c, v[8:9]
	v_fma_f64 v[6:7], v[0:1], v[8:9], -v[6:7]
	s_delay_alu instid0(VALU_DEP_1) | instskip(NEXT) | instid1(VALU_DEP_1)
	;; [unrolled: 3-line block ×24, first 2 shown]
	v_add_f64_e32 v[6:7], 0xbfc694d10469192e, v[6:7]
	v_fma_f64 v[0:1], v[0:1], v[6:7], -v[8:9]
	v_fmamk_f64 v[6:7], v[10:11], 0xbc7abc9e3b39803f, v[12:13]
	s_delay_alu instid0(VALU_DEP_1) | instskip(SKIP_1) | instid1(VALU_DEP_1)
	v_fmaak_f64 v[12:13], s[12:13], v[6:7], 0x3e928af3fca7ab0c
	s_mov_b32 s12, exec_lo
	v_fmaak_f64 v[12:13], v[6:7], v[12:13], 0x3ec71dee623fde64
	s_delay_alu instid0(VALU_DEP_1) | instskip(NEXT) | instid1(VALU_DEP_1)
	v_fmaak_f64 v[12:13], v[6:7], v[12:13], 0x3efa01997c89e6b0
	v_fmaak_f64 v[12:13], v[6:7], v[12:13], 0x3f2a01a014761f6e
	v_add_f64_e32 v[0:1], 0x3fd02a63724a7ffa, v[0:1]
	s_delay_alu instid0(VALU_DEP_2) | instskip(NEXT) | instid1(VALU_DEP_2)
	v_fmaak_f64 v[12:13], v[6:7], v[12:13], 0x3f56c16c1852b7b0
	v_add_f64_e64 v[0:1], v[0:1], -v[8:9]
	s_delay_alu instid0(VALU_DEP_2) | instskip(NEXT) | instid1(VALU_DEP_1)
	v_fmaak_f64 v[8:9], v[6:7], v[12:13], 0x3f81111111122322
	v_fmaak_f64 v[8:9], v[6:7], v[8:9], 0x3fa55555555502a1
	s_delay_alu instid0(VALU_DEP_1) | instskip(NEXT) | instid1(VALU_DEP_1)
	v_fmaak_f64 v[8:9], v[6:7], v[8:9], 0x3fc5555555555511
	v_fmaak_f64 v[8:9], v[6:7], v[8:9], 0x3fe000000000000b
	s_delay_alu instid0(VALU_DEP_1) | instskip(SKIP_1) | instid1(VALU_DEP_2)
	v_fma_f64 v[8:9], v[6:7], v[8:9], 1.0
	v_mul_f64_e32 v[0:1], 0.5, v[0:1]
	v_fma_f64 v[8:9], v[6:7], v[8:9], 1.0
	s_delay_alu instid0(VALU_DEP_2)
	v_mul_f64_e64 v[6:7], |v[4:5]|, v[0:1]
                                        ; implicit-def: $vgpr0_vgpr1
	v_cmpx_ngt_f64_e32 0, v[4:5]
	s_xor_b32 s12, exec_lo, s12
	s_cbranch_execz .LBB8_1208
; %bb.1207:
	s_delay_alu instid0(VALU_DEP_3) | instskip(SKIP_1) | instid1(VALU_DEP_2)
	v_ldexp_f64 v[0:1], v[8:9], v3
	v_cmp_nlt_f64_e64 vcc_lo, 0x40900000, |v[4:5]|
                                        ; implicit-def: $vgpr8_vgpr9
                                        ; implicit-def: $vgpr3
                                        ; implicit-def: $vgpr4_vgpr5
	v_cndmask_b32_e32 v1, 0x7ff00000, v1, vcc_lo
	s_delay_alu instid0(VALU_DEP_3) | instskip(NEXT) | instid1(VALU_DEP_1)
	v_cndmask_b32_e32 v0, 0, v0, vcc_lo
	v_mul_f64_e32 v[0:1], v[0:1], v[6:7]
                                        ; implicit-def: $vgpr6_vgpr7
.LBB8_1208:
	s_and_not1_saveexec_b32 s12, s12
	s_cbranch_execz .LBB8_1210
; %bb.1209:
	s_delay_alu instid0(VALU_DEP_3) | instskip(SKIP_1) | instid1(VALU_DEP_2)
	v_ldexp_f64 v[0:1], -v[8:9], v3
	v_cmp_nlt_f64_e64 vcc_lo, 0x40900000, |v[4:5]|
	v_cndmask_b32_e32 v1, 0xfff00000, v1, vcc_lo
	s_delay_alu instid0(VALU_DEP_3) | instskip(NEXT) | instid1(VALU_DEP_1)
	v_cndmask_b32_e32 v0, 0, v0, vcc_lo
	v_mul_f64_e32 v[0:1], v[0:1], v[6:7]
.LBB8_1210:
	s_or_b32 exec_lo, exec_lo, s12
                                        ; implicit-def: $vgpr4_vgpr5
.LBB8_1211:
	s_and_not1_saveexec_b32 s12, s0
	s_cbranch_execz .LBB8_1217
; %bb.1212:
	v_and_b32_e32 v1, 0x7fffffff, v5
	v_mov_b32_e32 v0, v4
	s_mov_b64 s[14:15], 0x3c61556db352e8e6
	v_cmp_ngt_f64_e64 s0, 0, v[4:5]
	s_delay_alu instid0(VALU_DEP_2) | instskip(SKIP_1) | instid1(VALU_DEP_2)
	v_div_scale_f64 v[6:7], null, v[0:1], v[0:1], 0x40400000
	v_div_scale_f64 v[0:1], vcc_lo, 0x40400000, v[0:1], 0x40400000
	v_rcp_f64_e32 v[8:9], v[6:7]
	v_nop
	s_delay_alu instid0(TRANS32_DEP_1) | instskip(NEXT) | instid1(VALU_DEP_1)
	v_fma_f64 v[10:11], -v[6:7], v[8:9], 1.0
	v_fmac_f64_e32 v[8:9], v[8:9], v[10:11]
	s_delay_alu instid0(VALU_DEP_1) | instskip(NEXT) | instid1(VALU_DEP_1)
	v_fma_f64 v[10:11], -v[6:7], v[8:9], 1.0
	v_fmac_f64_e32 v[8:9], v[8:9], v[10:11]
	s_delay_alu instid0(VALU_DEP_1) | instskip(NEXT) | instid1(VALU_DEP_1)
	v_mul_f64_e32 v[10:11], v[0:1], v[8:9]
	v_fma_f64 v[0:1], -v[6:7], v[10:11], v[0:1]
	s_delay_alu instid0(VALU_DEP_1) | instskip(SKIP_1) | instid1(VALU_DEP_2)
	v_div_fmas_f64 v[0:1], v[0:1], v[8:9], v[10:11]
	v_cmp_nlt_f64_e64 vcc_lo, 0x40900000, |v[4:5]|
	v_div_fixup_f64 v[0:1], v[0:1], |v[4:5]|, 0x40400000
	s_delay_alu instid0(VALU_DEP_1) | instskip(NEXT) | instid1(VALU_DEP_1)
	v_add_f64_e32 v[0:1], -2.0, v[0:1]
	v_fmaak_f64 v[6:7], s[14:15], v[0:1], 0x3c545b8aea87b950
	s_mov_b64 s[14:15], 0x3ff71547652b82fe
	s_delay_alu instid0(SALU_CYCLE_1) | instskip(SKIP_1) | instid1(VALU_DEP_2)
	v_mul_f64_e64 v[10:11], |v[4:5]|, s[14:15]
	s_mov_b64 s[14:15], 0xbfe62e42fefa39ef
	v_fmaak_f64 v[8:9], v[0:1], v[6:7], 0xbc61556db352e8e6
	s_delay_alu instid0(VALU_DEP_1) | instskip(NEXT) | instid1(VALU_DEP_3)
	v_add_f64_e32 v[8:9], 0xbc8acea3b2532277, v[8:9]
	v_rndne_f64_e32 v[10:11], v[10:11]
	s_delay_alu instid0(VALU_DEP_2) | instskip(NEXT) | instid1(VALU_DEP_2)
	v_fma_f64 v[6:7], v[0:1], v[8:9], -v[6:7]
	v_fma_f64 v[12:13], v[10:11], s[14:15], |v[4:5]|
	s_mov_b64 s[14:15], 0x3e5ade156a5dcb37
	v_cvt_i32_f64_e32 v3, v[10:11]
	s_delay_alu instid0(VALU_DEP_3) | instskip(NEXT) | instid1(VALU_DEP_3)
	v_add_f64_e32 v[6:7], 0xbc82806c9c773320, v[6:7]
	v_fmamk_f64 v[12:13], v[10:11], 0xbc7abc9e3b39803f, v[12:13]
	s_delay_alu instid0(VALU_DEP_1) | instskip(NEXT) | instid1(VALU_DEP_3)
	v_fmaak_f64 v[16:17], s[14:15], v[12:13], 0x3e928af3fca7ab0c
	v_fma_f64 v[8:9], v[0:1], v[6:7], -v[8:9]
	s_delay_alu instid0(VALU_DEP_2) | instskip(NEXT) | instid1(VALU_DEP_1)
	v_fmaak_f64 v[16:17], v[12:13], v[16:17], 0x3ec71dee623fde64
	v_fmaak_f64 v[16:17], v[12:13], v[16:17], 0x3efa01997c89e6b0
	s_delay_alu instid0(VALU_DEP_1) | instskip(NEXT) | instid1(VALU_DEP_1)
	v_fmaak_f64 v[16:17], v[12:13], v[16:17], 0x3f2a01a014761f6e
	v_fmaak_f64 v[16:17], v[12:13], v[16:17], 0x3f56c16c1852b7b0
	s_delay_alu instid0(VALU_DEP_1) | instskip(SKIP_1) | instid1(VALU_DEP_2)
	v_fmaak_f64 v[16:17], v[12:13], v[16:17], 0x3f81111111122322
	v_add_f64_e32 v[8:9], 0x3cb55915fceb588a, v[8:9]
	v_fmaak_f64 v[16:17], v[12:13], v[16:17], 0x3fa55555555502a1
	s_delay_alu instid0(VALU_DEP_1) | instskip(NEXT) | instid1(VALU_DEP_1)
	v_fmaak_f64 v[16:17], v[12:13], v[16:17], 0x3fc5555555555511
	v_fmaak_f64 v[16:17], v[12:13], v[16:17], 0x3fe000000000000b
	s_delay_alu instid0(VALU_DEP_1) | instskip(SKIP_1) | instid1(VALU_DEP_1)
	v_fma_f64 v[16:17], v[12:13], v[16:17], 1.0
	v_fma_f64 v[6:7], v[0:1], v[8:9], -v[6:7]
	v_add_f64_e32 v[6:7], 0x3cb7d68e5f04a2d1, v[6:7]
	s_delay_alu instid0(VALU_DEP_1) | instskip(NEXT) | instid1(VALU_DEP_1)
	v_fma_f64 v[8:9], v[0:1], v[6:7], -v[8:9]
	v_add_f64_e32 v[8:9], 0xbce0efcd8bc4d22a, v[8:9]
	s_delay_alu instid0(VALU_DEP_1) | instskip(NEXT) | instid1(VALU_DEP_1)
	;; [unrolled: 3-line block ×18, first 2 shown]
	v_fma_f64 v[6:7], v[0:1], v[8:9], -v[6:7]
	v_add_f64_e32 v[6:7], 0xbf83fda053fcdb4c, v[6:7]
	s_delay_alu instid0(VALU_DEP_1) | instskip(SKIP_1) | instid1(VALU_DEP_2)
	v_fma_f64 v[0:1], v[0:1], v[6:7], -v[8:9]
	v_fma_f64 v[6:7], v[12:13], v[16:17], 1.0
	v_add_f64_e32 v[0:1], 0x3fe8ea18b55b1514, v[0:1]
	s_delay_alu instid0(VALU_DEP_2) | instskip(NEXT) | instid1(VALU_DEP_2)
	v_ldexp_f64 v[6:7], v[6:7], v3
	v_add_f64_e64 v[8:9], v[0:1], -v[8:9]
	s_delay_alu instid0(VALU_DEP_2) | instskip(NEXT) | instid1(VALU_DEP_3)
	v_cndmask_b32_e32 v7, 0x7ff00000, v7, vcc_lo
	v_cndmask_b32_e32 v6, 0, v6, vcc_lo
                                        ; implicit-def: $vgpr0_vgpr1
	s_and_saveexec_b32 s13, s0
	s_delay_alu instid0(SALU_CYCLE_1)
	s_xor_b32 s0, exec_lo, s13
	s_cbranch_execz .LBB8_1214
; %bb.1213:
	v_cmp_gt_f64_e64 s13, 0x10000000, |v[4:5]|
	s_delay_alu instid0(VALU_DEP_1) | instskip(SKIP_1) | instid1(VALU_DEP_2)
	v_cndmask_b32_e64 v0, 0, 0x100, s13
	v_cndmask_b32_e64 v3, 0, 0xffffff80, s13
	v_ldexp_f64 v[0:1], |v[4:5]|, v0
	s_delay_alu instid0(VALU_DEP_1) | instskip(SKIP_1) | instid1(TRANS32_DEP_1)
	v_rsq_f64_e32 v[4:5], v[0:1]
	v_cmp_class_f64_e64 vcc_lo, v[0:1], 0x260
	v_mul_f64_e32 v[10:11], v[0:1], v[4:5]
	v_mul_f64_e32 v[4:5], 0.5, v[4:5]
	s_delay_alu instid0(VALU_DEP_1) | instskip(NEXT) | instid1(VALU_DEP_1)
	v_fma_f64 v[12:13], -v[4:5], v[10:11], 0.5
	v_fmac_f64_e32 v[10:11], v[10:11], v[12:13]
	v_fmac_f64_e32 v[4:5], v[4:5], v[12:13]
	s_delay_alu instid0(VALU_DEP_2) | instskip(NEXT) | instid1(VALU_DEP_1)
	v_fma_f64 v[12:13], -v[10:11], v[10:11], v[0:1]
	v_fmac_f64_e32 v[10:11], v[12:13], v[4:5]
	s_delay_alu instid0(VALU_DEP_1) | instskip(NEXT) | instid1(VALU_DEP_1)
	v_fma_f64 v[12:13], -v[10:11], v[10:11], v[0:1]
	v_fmac_f64_e32 v[10:11], v[12:13], v[4:5]
	v_mul_f64_e32 v[4:5], 0.5, v[8:9]
	s_delay_alu instid0(VALU_DEP_2) | instskip(NEXT) | instid1(VALU_DEP_2)
	v_ldexp_f64 v[8:9], v[10:11], v3
	v_mul_f64_e32 v[4:5], v[6:7], v[4:5]
	s_delay_alu instid0(VALU_DEP_2) | instskip(NEXT) | instid1(VALU_DEP_1)
	v_dual_cndmask_b32 v1, v9, v1 :: v_dual_cndmask_b32 v0, v8, v0
	v_div_scale_f64 v[6:7], null, v[0:1], v[0:1], v[4:5]
	s_delay_alu instid0(VALU_DEP_1) | instskip(SKIP_1) | instid1(TRANS32_DEP_1)
	v_rcp_f64_e32 v[8:9], v[6:7]
	v_nop
	v_fma_f64 v[10:11], -v[6:7], v[8:9], 1.0
	s_delay_alu instid0(VALU_DEP_1) | instskip(NEXT) | instid1(VALU_DEP_1)
	v_fmac_f64_e32 v[8:9], v[8:9], v[10:11]
	v_fma_f64 v[10:11], -v[6:7], v[8:9], 1.0
	s_delay_alu instid0(VALU_DEP_1) | instskip(SKIP_1) | instid1(VALU_DEP_1)
	v_fmac_f64_e32 v[8:9], v[8:9], v[10:11]
	v_div_scale_f64 v[10:11], vcc_lo, v[4:5], v[0:1], v[4:5]
	v_mul_f64_e32 v[12:13], v[10:11], v[8:9]
	s_delay_alu instid0(VALU_DEP_1) | instskip(NEXT) | instid1(VALU_DEP_1)
	v_fma_f64 v[6:7], -v[6:7], v[12:13], v[10:11]
	v_div_fmas_f64 v[6:7], v[6:7], v[8:9], v[12:13]
                                        ; implicit-def: $vgpr8_vgpr9
	s_delay_alu instid0(VALU_DEP_1)
	v_div_fixup_f64 v[0:1], v[6:7], v[0:1], v[4:5]
                                        ; implicit-def: $vgpr4_vgpr5
                                        ; implicit-def: $vgpr6_vgpr7
.LBB8_1214:
	s_and_not1_saveexec_b32 s0, s0
	s_cbranch_execz .LBB8_1216
; %bb.1215:
	v_cmp_gt_f64_e64 s13, 0x10000000, |v[4:5]|
	s_delay_alu instid0(VALU_DEP_1) | instskip(SKIP_1) | instid1(VALU_DEP_2)
	v_cndmask_b32_e64 v0, 0, 0x100, s13
	v_cndmask_b32_e64 v3, 0, 0xffffff80, s13
	v_ldexp_f64 v[0:1], |v[4:5]|, v0
	s_delay_alu instid0(VALU_DEP_1) | instskip(SKIP_1) | instid1(TRANS32_DEP_1)
	v_rsq_f64_e32 v[4:5], v[0:1]
	v_cmp_class_f64_e64 vcc_lo, v[0:1], 0x260
	v_mul_f64_e32 v[10:11], v[0:1], v[4:5]
	v_mul_f64_e32 v[4:5], 0.5, v[4:5]
	s_delay_alu instid0(VALU_DEP_1) | instskip(NEXT) | instid1(VALU_DEP_1)
	v_fma_f64 v[12:13], -v[4:5], v[10:11], 0.5
	v_fmac_f64_e32 v[10:11], v[10:11], v[12:13]
	v_fmac_f64_e32 v[4:5], v[4:5], v[12:13]
	s_delay_alu instid0(VALU_DEP_2) | instskip(NEXT) | instid1(VALU_DEP_1)
	v_fma_f64 v[12:13], -v[10:11], v[10:11], v[0:1]
	v_fmac_f64_e32 v[10:11], v[12:13], v[4:5]
	s_delay_alu instid0(VALU_DEP_1) | instskip(NEXT) | instid1(VALU_DEP_1)
	v_fma_f64 v[12:13], -v[10:11], v[10:11], v[0:1]
	v_fmac_f64_e32 v[10:11], v[12:13], v[4:5]
	v_mul_f64_e32 v[4:5], -0.5, v[8:9]
	s_delay_alu instid0(VALU_DEP_2) | instskip(NEXT) | instid1(VALU_DEP_2)
	v_ldexp_f64 v[8:9], v[10:11], v3
	v_mul_f64_e32 v[4:5], v[6:7], v[4:5]
	s_delay_alu instid0(VALU_DEP_2) | instskip(NEXT) | instid1(VALU_DEP_1)
	v_dual_cndmask_b32 v1, v9, v1 :: v_dual_cndmask_b32 v0, v8, v0
	v_div_scale_f64 v[6:7], null, v[0:1], v[0:1], v[4:5]
	s_delay_alu instid0(VALU_DEP_1) | instskip(SKIP_1) | instid1(TRANS32_DEP_1)
	v_rcp_f64_e32 v[8:9], v[6:7]
	v_nop
	v_fma_f64 v[10:11], -v[6:7], v[8:9], 1.0
	s_delay_alu instid0(VALU_DEP_1) | instskip(NEXT) | instid1(VALU_DEP_1)
	v_fmac_f64_e32 v[8:9], v[8:9], v[10:11]
	v_fma_f64 v[10:11], -v[6:7], v[8:9], 1.0
	s_delay_alu instid0(VALU_DEP_1) | instskip(SKIP_1) | instid1(VALU_DEP_1)
	v_fmac_f64_e32 v[8:9], v[8:9], v[10:11]
	v_div_scale_f64 v[10:11], vcc_lo, v[4:5], v[0:1], v[4:5]
	v_mul_f64_e32 v[12:13], v[10:11], v[8:9]
	s_delay_alu instid0(VALU_DEP_1) | instskip(NEXT) | instid1(VALU_DEP_1)
	v_fma_f64 v[6:7], -v[6:7], v[12:13], v[10:11]
	v_div_fmas_f64 v[6:7], v[6:7], v[8:9], v[12:13]
	s_delay_alu instid0(VALU_DEP_1)
	v_div_fixup_f64 v[0:1], v[6:7], v[0:1], v[4:5]
.LBB8_1216:
	s_or_b32 exec_lo, exec_lo, s0
.LBB8_1217:
	s_delay_alu instid0(SALU_CYCLE_1) | instskip(SKIP_3) | instid1(VALU_DEP_1)
	s_or_b32 exec_lo, exec_lo, s12
	s_lshl_b32 s3, s3, 7
	s_cmp_lt_i32 s9, 11
	v_add_nc_u32_e32 v2, s3, v2
	v_ashrrev_i32_e32 v3, 31, v2
	s_delay_alu instid0(VALU_DEP_1)
	v_add_nc_u64_e32 v[4:5], s[6:7], v[2:3]
	s_cbranch_scc1 .LBB8_1224
; %bb.1218:
	s_cmp_gt_i32 s9, 25
	s_mov_b32 s12, 0
	s_cbranch_scc0 .LBB8_1226
; %bb.1219:
	s_cmp_gt_i32 s9, 28
	s_cbranch_scc0 .LBB8_1227
; %bb.1220:
	s_cmp_gt_i32 s9, 43
	s_cbranch_scc0 .LBB8_1228
; %bb.1221:
	s_cmp_gt_i32 s9, 45
	s_cbranch_scc0 .LBB8_1230
; %bb.1222:
	s_cmp_eq_u32 s9, 46
	s_mov_b32 s14, 0
	s_cbranch_scc0 .LBB8_1233
; %bb.1223:
	global_load_b32 v3, v[4:5], off
	s_mov_b32 s0, 0
	s_mov_b32 s13, -1
	s_wait_loadcnt 0x0
	v_lshlrev_b32_e32 v3, 16, v3
	s_delay_alu instid0(VALU_DEP_1)
	v_cvt_f64_f32_e32 v[6:7], v3
	s_branch .LBB8_1235
.LBB8_1224:
	s_mov_b32 s13, 0
                                        ; implicit-def: $vgpr6_vgpr7
	s_cbranch_execnz .LBB8_1300
.LBB8_1225:
	s_and_not1_b32 vcc_lo, exec_lo, s13
	s_cbranch_vccnz .LBB8_1722
	s_branch .LBB8_1347
.LBB8_1226:
	s_mov_b32 s13, 0
	s_mov_b32 s0, 0
                                        ; implicit-def: $vgpr6_vgpr7
	s_cbranch_execnz .LBB8_1264
	s_branch .LBB8_1296
.LBB8_1227:
	s_mov_b32 s14, -1
	s_mov_b32 s13, 0
	s_mov_b32 s0, 0
                                        ; implicit-def: $vgpr6_vgpr7
	s_branch .LBB8_1245
.LBB8_1228:
	s_mov_b32 s14, -1
	s_mov_b32 s13, 0
	s_mov_b32 s0, 0
                                        ; implicit-def: $vgpr6_vgpr7
	s_branch .LBB8_1240
.LBB8_1229:
	s_or_b32 s1, s11, exec_lo
	s_trap 2
	s_cbranch_execz .LBB8_1158
	s_branch .LBB8_1159
.LBB8_1230:
	s_mov_b32 s14, -1
	s_mov_b32 s13, 0
	s_mov_b32 s0, 0
	s_branch .LBB8_1234
.LBB8_1231:
	s_and_not1_saveexec_b32 s19, s19
	s_cbranch_execz .LBB8_1004
.LBB8_1232:
	v_add_f32_e64 v3, 0x42800000, |v2|
	s_and_not1_b32 s18, s18, exec_lo
	s_delay_alu instid0(VALU_DEP_1) | instskip(NEXT) | instid1(VALU_DEP_1)
	v_and_b32_e32 v3, 0xff, v3
	v_cmp_ne_u32_e32 vcc_lo, 0, v3
	s_and_b32 s20, vcc_lo, exec_lo
	s_delay_alu instid0(SALU_CYCLE_1)
	s_or_b32 s18, s18, s20
	s_or_b32 exec_lo, exec_lo, s19
	v_mov_b32_e32 v6, 0
	s_and_saveexec_b32 s19, s18
	s_cbranch_execnz .LBB8_1005
	s_branch .LBB8_1006
.LBB8_1233:
	s_mov_b32 s0, -1
	s_mov_b32 s13, 0
.LBB8_1234:
                                        ; implicit-def: $vgpr6_vgpr7
.LBB8_1235:
	s_and_b32 vcc_lo, exec_lo, s14
	s_cbranch_vccz .LBB8_1239
; %bb.1236:
	s_cmp_eq_u32 s9, 44
	s_cbranch_scc0 .LBB8_1238
; %bb.1237:
	global_load_u8 v3, v[4:5], off
	s_mov_b32 s0, 0
	s_mov_b32 s13, -1
	s_wait_loadcnt 0x0
	v_lshlrev_b32_e32 v6, 23, v3
	v_cmp_ne_u32_e32 vcc_lo, 0xff, v3
	s_delay_alu instid0(VALU_DEP_2) | instskip(NEXT) | instid1(VALU_DEP_1)
	v_cvt_f64_f32_e32 v[6:7], v6
	v_cndmask_b32_e32 v6, 0x20000000, v6, vcc_lo
	s_delay_alu instid0(VALU_DEP_2) | instskip(SKIP_1) | instid1(VALU_DEP_2)
	v_cndmask_b32_e32 v7, 0x7ff80000, v7, vcc_lo
	v_cmp_ne_u32_e32 vcc_lo, 0, v3
	v_cndmask_b32_e32 v7, 0x38000000, v7, vcc_lo
	s_delay_alu instid0(VALU_DEP_4)
	v_cndmask_b32_e32 v6, 0, v6, vcc_lo
	s_branch .LBB8_1239
.LBB8_1238:
	s_mov_b32 s0, -1
                                        ; implicit-def: $vgpr6_vgpr7
.LBB8_1239:
	s_mov_b32 s14, 0
.LBB8_1240:
	s_delay_alu instid0(SALU_CYCLE_1)
	s_and_b32 vcc_lo, exec_lo, s14
	s_cbranch_vccz .LBB8_1244
; %bb.1241:
	s_cmp_eq_u32 s9, 29
	s_cbranch_scc0 .LBB8_1243
; %bb.1242:
	global_load_b64 v[6:7], v[4:5], off
	s_mov_b32 s0, 0
	s_mov_b32 s13, -1
	s_mov_b32 s14, 0
	s_wait_loadcnt 0x0
	v_cvt_f64_u32_e32 v[8:9], v7
	v_cvt_f64_u32_e32 v[6:7], v6
	s_delay_alu instid0(VALU_DEP_2) | instskip(NEXT) | instid1(VALU_DEP_1)
	v_ldexp_f64 v[8:9], v[8:9], 32
	v_add_f64_e32 v[6:7], v[8:9], v[6:7]
	s_branch .LBB8_1245
.LBB8_1243:
	s_mov_b32 s0, -1
                                        ; implicit-def: $vgpr6_vgpr7
.LBB8_1244:
	s_mov_b32 s14, 0
.LBB8_1245:
	s_delay_alu instid0(SALU_CYCLE_1)
	s_and_b32 vcc_lo, exec_lo, s14
	s_cbranch_vccz .LBB8_1263
; %bb.1246:
	s_cmp_lt_i32 s9, 27
	s_cbranch_scc1 .LBB8_1249
; %bb.1247:
	s_cmp_gt_i32 s9, 27
	s_cbranch_scc0 .LBB8_1250
; %bb.1248:
	global_load_b32 v3, v[4:5], off
	s_mov_b32 s13, 0
	s_wait_loadcnt 0x0
	v_cvt_f64_u32_e32 v[6:7], v3
	s_branch .LBB8_1251
.LBB8_1249:
	s_mov_b32 s13, -1
                                        ; implicit-def: $vgpr6_vgpr7
	s_branch .LBB8_1254
.LBB8_1250:
	s_mov_b32 s13, -1
                                        ; implicit-def: $vgpr6_vgpr7
.LBB8_1251:
	s_delay_alu instid0(SALU_CYCLE_1)
	s_and_not1_b32 vcc_lo, exec_lo, s13
	s_cbranch_vccnz .LBB8_1253
; %bb.1252:
	global_load_u16 v3, v[4:5], off
	s_wait_loadcnt 0x0
	v_cvt_f64_u32_e32 v[6:7], v3
.LBB8_1253:
	s_mov_b32 s13, 0
.LBB8_1254:
	s_delay_alu instid0(SALU_CYCLE_1)
	s_and_not1_b32 vcc_lo, exec_lo, s13
	s_cbranch_vccnz .LBB8_1262
; %bb.1255:
	global_load_u8 v3, v[4:5], off
	s_mov_b32 s13, 0
	s_mov_b32 s14, exec_lo
	s_wait_loadcnt 0x0
	v_cmpx_lt_i16_e32 0x7f, v3
	s_xor_b32 s14, exec_lo, s14
	s_cbranch_execz .LBB8_1275
; %bb.1256:
	s_mov_b32 s13, -1
	s_mov_b32 s15, exec_lo
	v_cmpx_eq_u16_e32 0x80, v3
; %bb.1257:
	s_xor_b32 s13, exec_lo, -1
; %bb.1258:
	s_or_b32 exec_lo, exec_lo, s15
	s_delay_alu instid0(SALU_CYCLE_1)
	s_and_b32 s13, s13, exec_lo
	s_or_saveexec_b32 s14, s14
	v_mov_b64_e32 v[6:7], 0x7ff8000020000000
	s_xor_b32 exec_lo, exec_lo, s14
	s_cbranch_execnz .LBB8_1276
.LBB8_1259:
	s_or_b32 exec_lo, exec_lo, s14
	s_and_saveexec_b32 s14, s13
	s_cbranch_execz .LBB8_1261
.LBB8_1260:
	v_and_b32_e32 v6, 0xffff, v3
	s_delay_alu instid0(VALU_DEP_1) | instskip(SKIP_1) | instid1(VALU_DEP_2)
	v_and_b32_e32 v7, 7, v6
	v_bfe_u32 v10, v6, 3, 4
	v_clz_i32_u32_e32 v8, v7
	s_delay_alu instid0(VALU_DEP_2) | instskip(NEXT) | instid1(VALU_DEP_2)
	v_cmp_eq_u32_e32 vcc_lo, 0, v10
	v_min_u32_e32 v8, 32, v8
	s_delay_alu instid0(VALU_DEP_1) | instskip(NEXT) | instid1(VALU_DEP_1)
	v_subrev_nc_u32_e32 v9, 28, v8
	v_dual_lshlrev_b32 v6, v9, v6 :: v_dual_sub_nc_u32 v8, 29, v8
	s_delay_alu instid0(VALU_DEP_1) | instskip(NEXT) | instid1(VALU_DEP_1)
	v_dual_lshlrev_b32 v3, 24, v3 :: v_dual_bitop2_b32 v6, 7, v6 bitop3:0x40
	v_dual_cndmask_b32 v8, v10, v8, vcc_lo :: v_dual_cndmask_b32 v6, v7, v6, vcc_lo
	s_delay_alu instid0(VALU_DEP_2) | instskip(NEXT) | instid1(VALU_DEP_2)
	v_and_b32_e32 v3, 0x80000000, v3
	v_lshl_add_u32 v7, v8, 23, 0x3b800000
	s_delay_alu instid0(VALU_DEP_3) | instskip(NEXT) | instid1(VALU_DEP_1)
	v_lshlrev_b32_e32 v6, 20, v6
	v_or3_b32 v3, v3, v7, v6
	s_delay_alu instid0(VALU_DEP_1)
	v_cvt_f64_f32_e32 v[6:7], v3
.LBB8_1261:
	s_or_b32 exec_lo, exec_lo, s14
.LBB8_1262:
	s_mov_b32 s13, -1
.LBB8_1263:
	s_branch .LBB8_1296
.LBB8_1264:
	s_cmp_gt_i32 s9, 22
	s_cbranch_scc0 .LBB8_1274
; %bb.1265:
	s_cmp_lt_i32 s9, 24
	s_cbranch_scc1 .LBB8_1277
; %bb.1266:
	s_cmp_gt_i32 s9, 24
	s_cbranch_scc0 .LBB8_1278
; %bb.1267:
	global_load_u8 v3, v[4:5], off
	s_mov_b32 s13, exec_lo
	s_wait_loadcnt 0x0
	v_cmpx_lt_i16_e32 0x7f, v3
	s_xor_b32 s13, exec_lo, s13
	s_cbranch_execz .LBB8_1290
; %bb.1268:
	s_mov_b32 s12, -1
	s_mov_b32 s14, exec_lo
	v_cmpx_eq_u16_e32 0x80, v3
; %bb.1269:
	s_xor_b32 s12, exec_lo, -1
; %bb.1270:
	s_or_b32 exec_lo, exec_lo, s14
	s_delay_alu instid0(SALU_CYCLE_1)
	s_and_b32 s12, s12, exec_lo
	s_or_saveexec_b32 s13, s13
	v_mov_b64_e32 v[6:7], 0x7ff8000020000000
	s_xor_b32 exec_lo, exec_lo, s13
	s_cbranch_execnz .LBB8_1291
.LBB8_1271:
	s_or_b32 exec_lo, exec_lo, s13
	s_and_saveexec_b32 s13, s12
	s_cbranch_execz .LBB8_1273
.LBB8_1272:
	v_and_b32_e32 v6, 0xffff, v3
	s_delay_alu instid0(VALU_DEP_1) | instskip(SKIP_1) | instid1(VALU_DEP_2)
	v_and_b32_e32 v7, 3, v6
	v_bfe_u32 v10, v6, 2, 5
	v_clz_i32_u32_e32 v8, v7
	s_delay_alu instid0(VALU_DEP_2) | instskip(NEXT) | instid1(VALU_DEP_2)
	v_cmp_eq_u32_e32 vcc_lo, 0, v10
	v_min_u32_e32 v8, 32, v8
	s_delay_alu instid0(VALU_DEP_1) | instskip(NEXT) | instid1(VALU_DEP_1)
	v_subrev_nc_u32_e32 v9, 29, v8
	v_dual_lshlrev_b32 v6, v9, v6 :: v_dual_sub_nc_u32 v8, 30, v8
	s_delay_alu instid0(VALU_DEP_1) | instskip(NEXT) | instid1(VALU_DEP_1)
	v_dual_lshlrev_b32 v3, 24, v3 :: v_dual_bitop2_b32 v6, 3, v6 bitop3:0x40
	v_dual_cndmask_b32 v8, v10, v8, vcc_lo :: v_dual_cndmask_b32 v6, v7, v6, vcc_lo
	s_delay_alu instid0(VALU_DEP_2) | instskip(NEXT) | instid1(VALU_DEP_2)
	v_and_b32_e32 v3, 0x80000000, v3
	v_lshl_add_u32 v7, v8, 23, 0x37800000
	s_delay_alu instid0(VALU_DEP_3) | instskip(NEXT) | instid1(VALU_DEP_1)
	v_lshlrev_b32_e32 v6, 21, v6
	v_or3_b32 v3, v3, v7, v6
	s_delay_alu instid0(VALU_DEP_1)
	v_cvt_f64_f32_e32 v[6:7], v3
.LBB8_1273:
	s_or_b32 exec_lo, exec_lo, s13
	s_mov_b32 s12, 0
	s_branch .LBB8_1279
.LBB8_1274:
	s_mov_b32 s12, -1
                                        ; implicit-def: $vgpr6_vgpr7
	s_branch .LBB8_1285
.LBB8_1275:
	s_or_saveexec_b32 s14, s14
	v_mov_b64_e32 v[6:7], 0x7ff8000020000000
	s_xor_b32 exec_lo, exec_lo, s14
	s_cbranch_execz .LBB8_1259
.LBB8_1276:
	v_cmp_ne_u16_e32 vcc_lo, 0, v3
	v_mov_b64_e32 v[6:7], 0
	s_and_not1_b32 s13, s13, exec_lo
	s_and_b32 s15, vcc_lo, exec_lo
	s_delay_alu instid0(SALU_CYCLE_1)
	s_or_b32 s13, s13, s15
	s_or_b32 exec_lo, exec_lo, s14
	s_and_saveexec_b32 s14, s13
	s_cbranch_execnz .LBB8_1260
	s_branch .LBB8_1261
.LBB8_1277:
	s_mov_b32 s12, -1
                                        ; implicit-def: $vgpr6_vgpr7
	s_branch .LBB8_1282
.LBB8_1278:
	s_mov_b32 s12, -1
                                        ; implicit-def: $vgpr6_vgpr7
.LBB8_1279:
	s_delay_alu instid0(SALU_CYCLE_1)
	s_and_b32 vcc_lo, exec_lo, s12
	s_cbranch_vccz .LBB8_1281
; %bb.1280:
	global_load_u8 v3, v[4:5], off
	s_wait_loadcnt 0x0
	v_lshlrev_b32_e32 v3, 24, v3
	s_delay_alu instid0(VALU_DEP_1) | instskip(NEXT) | instid1(VALU_DEP_1)
	v_and_b32_e32 v6, 0x7f000000, v3
	v_clz_i32_u32_e32 v7, v6
	v_cmp_ne_u32_e32 vcc_lo, 0, v6
	v_add_nc_u32_e32 v9, 0x1000000, v6
	s_delay_alu instid0(VALU_DEP_3) | instskip(NEXT) | instid1(VALU_DEP_1)
	v_min_u32_e32 v7, 32, v7
	v_sub_nc_u32_e64 v7, v7, 4 clamp
	s_delay_alu instid0(VALU_DEP_1) | instskip(NEXT) | instid1(VALU_DEP_1)
	v_dual_lshlrev_b32 v8, v7, v6 :: v_dual_lshlrev_b32 v7, 23, v7
	v_lshrrev_b32_e32 v8, 4, v8
	s_delay_alu instid0(VALU_DEP_1) | instskip(NEXT) | instid1(VALU_DEP_1)
	v_dual_sub_nc_u32 v7, v8, v7 :: v_dual_ashrrev_i32 v8, 8, v9
	v_add_nc_u32_e32 v7, 0x3c000000, v7
	s_delay_alu instid0(VALU_DEP_1) | instskip(NEXT) | instid1(VALU_DEP_1)
	v_and_or_b32 v7, 0x7f800000, v8, v7
	v_cndmask_b32_e32 v6, 0, v7, vcc_lo
	s_delay_alu instid0(VALU_DEP_1) | instskip(NEXT) | instid1(VALU_DEP_1)
	v_and_or_b32 v3, 0x80000000, v3, v6
	v_cvt_f64_f32_e32 v[6:7], v3
.LBB8_1281:
	s_mov_b32 s12, 0
.LBB8_1282:
	s_delay_alu instid0(SALU_CYCLE_1)
	s_and_not1_b32 vcc_lo, exec_lo, s12
	s_cbranch_vccnz .LBB8_1284
; %bb.1283:
	global_load_u8 v3, v[4:5], off
	s_wait_loadcnt 0x0
	v_lshlrev_b32_e32 v6, 25, v3
	v_lshlrev_b16 v3, 8, v3
	s_delay_alu instid0(VALU_DEP_1) | instskip(SKIP_1) | instid1(VALU_DEP_2)
	v_and_or_b32 v8, 0x7f00, v3, 0.5
	v_bfe_i32 v3, v3, 0, 16
	v_dual_add_f32 v8, -0.5, v8 :: v_dual_lshrrev_b32 v7, 4, v6
	v_cmp_gt_u32_e32 vcc_lo, 0x8000000, v6
	s_delay_alu instid0(VALU_DEP_2) | instskip(NEXT) | instid1(VALU_DEP_1)
	v_or_b32_e32 v7, 0x70000000, v7
	v_mul_f32_e32 v7, 0x7800000, v7
	s_delay_alu instid0(VALU_DEP_1) | instskip(NEXT) | instid1(VALU_DEP_1)
	v_cndmask_b32_e32 v6, v7, v8, vcc_lo
	v_and_or_b32 v3, 0x80000000, v3, v6
	s_delay_alu instid0(VALU_DEP_1)
	v_cvt_f64_f32_e32 v[6:7], v3
.LBB8_1284:
	s_mov_b32 s12, 0
	s_mov_b32 s13, -1
.LBB8_1285:
	s_and_not1_b32 vcc_lo, exec_lo, s12
	s_mov_b32 s12, 0
	s_cbranch_vccnz .LBB8_1296
; %bb.1286:
	s_cmp_gt_i32 s9, 14
	s_cbranch_scc0 .LBB8_1289
; %bb.1287:
	s_cmp_eq_u32 s9, 15
	s_cbranch_scc0 .LBB8_1292
; %bb.1288:
	global_load_u16 v3, v[4:5], off
	s_mov_b32 s0, 0
	s_mov_b32 s13, -1
	s_wait_loadcnt 0x0
	v_lshlrev_b32_e32 v3, 16, v3
	s_delay_alu instid0(VALU_DEP_1)
	v_cvt_f64_f32_e32 v[6:7], v3
	s_branch .LBB8_1294
.LBB8_1289:
	s_mov_b32 s12, -1
	s_branch .LBB8_1293
.LBB8_1290:
	s_or_saveexec_b32 s13, s13
	v_mov_b64_e32 v[6:7], 0x7ff8000020000000
	s_xor_b32 exec_lo, exec_lo, s13
	s_cbranch_execz .LBB8_1271
.LBB8_1291:
	v_cmp_ne_u16_e32 vcc_lo, 0, v3
	v_mov_b64_e32 v[6:7], 0
	s_and_not1_b32 s12, s12, exec_lo
	s_and_b32 s14, vcc_lo, exec_lo
	s_delay_alu instid0(SALU_CYCLE_1)
	s_or_b32 s12, s12, s14
	s_or_b32 exec_lo, exec_lo, s13
	s_and_saveexec_b32 s13, s12
	s_cbranch_execnz .LBB8_1272
	s_branch .LBB8_1273
.LBB8_1292:
	s_mov_b32 s0, -1
.LBB8_1293:
                                        ; implicit-def: $vgpr6_vgpr7
.LBB8_1294:
	s_and_b32 vcc_lo, exec_lo, s12
	s_mov_b32 s12, 0
	s_cbranch_vccz .LBB8_1296
; %bb.1295:
	s_cmp_lg_u32 s9, 11
	s_mov_b32 s12, -1
	s_cselect_b32 s0, -1, 0
.LBB8_1296:
	s_delay_alu instid0(SALU_CYCLE_1)
	s_and_b32 vcc_lo, exec_lo, s0
	s_cbranch_vccnz .LBB8_1371
; %bb.1297:
	s_and_not1_b32 vcc_lo, exec_lo, s12
	s_cbranch_vccnz .LBB8_1299
.LBB8_1298:
	global_load_u8 v3, v[4:5], off
	v_mov_b32_e32 v6, 0
	s_mov_b32 s13, -1
	s_wait_loadcnt 0x0
	v_cmp_ne_u16_e32 vcc_lo, 0, v3
	v_cndmask_b32_e64 v7, 0, 0x3ff00000, vcc_lo
.LBB8_1299:
	s_branch .LBB8_1225
.LBB8_1300:
	s_cmp_lt_i32 s9, 5
	s_cbranch_scc1 .LBB8_1305
; %bb.1301:
	s_cmp_lt_i32 s9, 8
	s_cbranch_scc1 .LBB8_1306
; %bb.1302:
	;; [unrolled: 3-line block ×3, first 2 shown]
	s_cmp_gt_i32 s9, 9
	s_cbranch_scc0 .LBB8_1308
; %bb.1304:
	global_load_b64 v[6:7], v[4:5], off
	s_mov_b32 s0, 0
	s_branch .LBB8_1309
.LBB8_1305:
                                        ; implicit-def: $vgpr6_vgpr7
	s_branch .LBB8_1327
.LBB8_1306:
	s_mov_b32 s0, -1
                                        ; implicit-def: $vgpr6_vgpr7
	s_branch .LBB8_1315
.LBB8_1307:
	s_mov_b32 s0, -1
                                        ; implicit-def: $vgpr6_vgpr7
	s_branch .LBB8_1312
.LBB8_1308:
	s_mov_b32 s0, -1
                                        ; implicit-def: $vgpr6_vgpr7
.LBB8_1309:
	s_delay_alu instid0(SALU_CYCLE_1)
	s_and_not1_b32 vcc_lo, exec_lo, s0
	s_cbranch_vccnz .LBB8_1311
; %bb.1310:
	global_load_b32 v3, v[4:5], off
	s_wait_loadcnt 0x0
	v_cvt_f64_f32_e32 v[6:7], v3
.LBB8_1311:
	s_mov_b32 s0, 0
.LBB8_1312:
	s_delay_alu instid0(SALU_CYCLE_1)
	s_and_not1_b32 vcc_lo, exec_lo, s0
	s_cbranch_vccnz .LBB8_1314
; %bb.1313:
	global_load_b32 v3, v[4:5], off
	s_wait_loadcnt 0x0
	v_cvt_f32_f16_e32 v3, v3
	s_delay_alu instid0(VALU_DEP_1)
	v_cvt_f64_f32_e32 v[6:7], v3
.LBB8_1314:
	s_mov_b32 s0, 0
.LBB8_1315:
	s_delay_alu instid0(SALU_CYCLE_1)
	s_and_not1_b32 vcc_lo, exec_lo, s0
	s_cbranch_vccnz .LBB8_1326
; %bb.1316:
	s_cmp_lt_i32 s9, 6
	s_cbranch_scc1 .LBB8_1319
; %bb.1317:
	s_cmp_gt_i32 s9, 6
	s_cbranch_scc0 .LBB8_1320
; %bb.1318:
	s_wait_loadcnt 0x0
	global_load_b64 v[6:7], v[4:5], off
	s_mov_b32 s0, 0
	s_branch .LBB8_1321
.LBB8_1319:
	s_mov_b32 s0, -1
                                        ; implicit-def: $vgpr6_vgpr7
	s_branch .LBB8_1324
.LBB8_1320:
	s_mov_b32 s0, -1
                                        ; implicit-def: $vgpr6_vgpr7
.LBB8_1321:
	s_delay_alu instid0(SALU_CYCLE_1)
	s_and_not1_b32 vcc_lo, exec_lo, s0
	s_cbranch_vccnz .LBB8_1323
; %bb.1322:
	global_load_b32 v3, v[4:5], off
	s_wait_loadcnt 0x0
	v_cvt_f64_f32_e32 v[6:7], v3
.LBB8_1323:
	s_mov_b32 s0, 0
.LBB8_1324:
	s_delay_alu instid0(SALU_CYCLE_1)
	s_and_not1_b32 vcc_lo, exec_lo, s0
	s_cbranch_vccnz .LBB8_1326
; %bb.1325:
	global_load_u16 v3, v[4:5], off
	s_wait_loadcnt 0x0
	v_cvt_f32_f16_e32 v3, v3
	s_delay_alu instid0(VALU_DEP_1)
	v_cvt_f64_f32_e32 v[6:7], v3
.LBB8_1326:
	s_cbranch_execnz .LBB8_1346
.LBB8_1327:
	s_cmp_lt_i32 s9, 2
	s_cbranch_scc1 .LBB8_1331
; %bb.1328:
	s_cmp_lt_i32 s9, 3
	s_cbranch_scc1 .LBB8_1332
; %bb.1329:
	s_cmp_gt_i32 s9, 3
	s_cbranch_scc0 .LBB8_1333
; %bb.1330:
	s_wait_loadcnt 0x0
	global_load_b64 v[6:7], v[4:5], off
	s_mov_b32 s0, 0
	s_wait_loadcnt 0x0
	v_cvt_f64_i32_e32 v[8:9], v7
	v_cvt_f64_u32_e32 v[6:7], v6
	s_delay_alu instid0(VALU_DEP_2) | instskip(NEXT) | instid1(VALU_DEP_1)
	v_ldexp_f64 v[8:9], v[8:9], 32
	v_add_f64_e32 v[6:7], v[8:9], v[6:7]
	s_branch .LBB8_1334
.LBB8_1331:
	s_mov_b32 s0, -1
                                        ; implicit-def: $vgpr6_vgpr7
	s_branch .LBB8_1340
.LBB8_1332:
	s_mov_b32 s0, -1
                                        ; implicit-def: $vgpr6_vgpr7
	s_branch .LBB8_1337
.LBB8_1333:
	s_mov_b32 s0, -1
                                        ; implicit-def: $vgpr6_vgpr7
.LBB8_1334:
	s_delay_alu instid0(SALU_CYCLE_1)
	s_and_not1_b32 vcc_lo, exec_lo, s0
	s_cbranch_vccnz .LBB8_1336
; %bb.1335:
	global_load_b32 v3, v[4:5], off
	s_wait_loadcnt 0x0
	v_cvt_f64_i32_e32 v[6:7], v3
.LBB8_1336:
	s_mov_b32 s0, 0
.LBB8_1337:
	s_delay_alu instid0(SALU_CYCLE_1)
	s_and_not1_b32 vcc_lo, exec_lo, s0
	s_cbranch_vccnz .LBB8_1339
; %bb.1338:
	global_load_i16 v3, v[4:5], off
	s_wait_loadcnt 0x0
	v_cvt_f64_i32_e32 v[6:7], v3
.LBB8_1339:
	s_mov_b32 s0, 0
.LBB8_1340:
	s_delay_alu instid0(SALU_CYCLE_1)
	s_and_not1_b32 vcc_lo, exec_lo, s0
	s_cbranch_vccnz .LBB8_1346
; %bb.1341:
	s_cmp_gt_i32 s9, 0
	s_mov_b32 s0, 0
	s_cbranch_scc0 .LBB8_1343
; %bb.1342:
	global_load_i8 v3, v[4:5], off
	s_wait_loadcnt 0x0
	v_cvt_f64_i32_e32 v[6:7], v3
	s_branch .LBB8_1344
.LBB8_1343:
	s_mov_b32 s0, -1
                                        ; implicit-def: $vgpr6_vgpr7
.LBB8_1344:
	s_delay_alu instid0(SALU_CYCLE_1)
	s_and_not1_b32 vcc_lo, exec_lo, s0
	s_cbranch_vccnz .LBB8_1346
; %bb.1345:
	global_load_u8 v3, v[4:5], off
	s_wait_loadcnt 0x0
	v_cvt_f64_u32_e32 v[6:7], v3
.LBB8_1346:
.LBB8_1347:
	s_wait_loadcnt 0x0
	s_delay_alu instid0(VALU_DEP_1) | instskip(SKIP_2) | instid1(SALU_CYCLE_1)
	v_cmp_ge_f64_e64 s0, 0x40200000, |v[6:7]|
                                        ; implicit-def: $vgpr4_vgpr5
	s_wait_xcnt 0x0
	s_and_saveexec_b32 s12, s0
	s_xor_b32 s0, exec_lo, s12
	s_cbranch_execz .LBB8_1353
; %bb.1348:
	v_fma_f64 v[4:5], |v[6:7]|, 0.5, -2.0
	s_mov_b64 s[12:13], 0x3c499f2a0c3c4014
	s_delay_alu instid0(VALU_DEP_1) | instid1(SALU_CYCLE_1)
	v_fmaak_f64 v[8:9], s[12:13], v[4:5], 0xbc7857d0c38a0576
	s_mov_b64 s[12:13], 0x3ff71547652b82fe
	s_delay_alu instid0(SALU_CYCLE_1) | instskip(SKIP_1) | instid1(VALU_DEP_2)
	v_mul_f64_e64 v[12:13], |v[6:7]|, s[12:13]
	s_mov_b64 s[12:13], 0xbfe62e42fefa39ef
	v_fmaak_f64 v[10:11], v[4:5], v[8:9], 0xbc499f2a0c3c4014
	s_delay_alu instid0(VALU_DEP_1) | instskip(NEXT) | instid1(VALU_DEP_3)
	v_add_f64_e32 v[10:11], 0x3ca663e3e593bfac, v[10:11]
	v_rndne_f64_e32 v[12:13], v[12:13]
	s_delay_alu instid0(VALU_DEP_2) | instskip(NEXT) | instid1(VALU_DEP_2)
	v_fma_f64 v[8:9], v[4:5], v[10:11], -v[8:9]
	v_fma_f64 v[16:17], v[12:13], s[12:13], |v[6:7]|
	s_mov_b64 s[12:13], 0x3e5ade156a5dcb37
	v_cvt_i32_f64_e32 v3, v[12:13]
	s_delay_alu instid0(VALU_DEP_3) | instskip(NEXT) | instid1(VALU_DEP_1)
	v_add_f64_e32 v[8:9], 0xbcd3eaaa7e0d1573, v[8:9]
	v_fma_f64 v[10:11], v[4:5], v[8:9], -v[10:11]
	s_delay_alu instid0(VALU_DEP_1) | instskip(NEXT) | instid1(VALU_DEP_1)
	v_add_f64_e32 v[10:11], 0x3d011d7f0615290c, v[10:11]
	v_fma_f64 v[8:9], v[4:5], v[10:11], -v[8:9]
	s_delay_alu instid0(VALU_DEP_1) | instskip(NEXT) | instid1(VALU_DEP_1)
	;; [unrolled: 3-line block ×24, first 2 shown]
	v_add_f64_e32 v[8:9], 0xbfc694d10469192e, v[8:9]
	v_fma_f64 v[4:5], v[4:5], v[8:9], -v[10:11]
	v_fmamk_f64 v[8:9], v[12:13], 0xbc7abc9e3b39803f, v[16:17]
	s_delay_alu instid0(VALU_DEP_1) | instskip(SKIP_1) | instid1(VALU_DEP_1)
	v_fmaak_f64 v[16:17], s[12:13], v[8:9], 0x3e928af3fca7ab0c
	s_mov_b32 s12, exec_lo
	v_fmaak_f64 v[16:17], v[8:9], v[16:17], 0x3ec71dee623fde64
	s_delay_alu instid0(VALU_DEP_1) | instskip(NEXT) | instid1(VALU_DEP_1)
	v_fmaak_f64 v[16:17], v[8:9], v[16:17], 0x3efa01997c89e6b0
	v_fmaak_f64 v[16:17], v[8:9], v[16:17], 0x3f2a01a014761f6e
	v_add_f64_e32 v[4:5], 0x3fd02a63724a7ffa, v[4:5]
	s_delay_alu instid0(VALU_DEP_2) | instskip(NEXT) | instid1(VALU_DEP_2)
	v_fmaak_f64 v[16:17], v[8:9], v[16:17], 0x3f56c16c1852b7b0
	v_add_f64_e64 v[4:5], v[4:5], -v[10:11]
	s_delay_alu instid0(VALU_DEP_2) | instskip(NEXT) | instid1(VALU_DEP_1)
	v_fmaak_f64 v[10:11], v[8:9], v[16:17], 0x3f81111111122322
	v_fmaak_f64 v[10:11], v[8:9], v[10:11], 0x3fa55555555502a1
	s_delay_alu instid0(VALU_DEP_1) | instskip(NEXT) | instid1(VALU_DEP_1)
	v_fmaak_f64 v[10:11], v[8:9], v[10:11], 0x3fc5555555555511
	v_fmaak_f64 v[10:11], v[8:9], v[10:11], 0x3fe000000000000b
	s_delay_alu instid0(VALU_DEP_1) | instskip(SKIP_1) | instid1(VALU_DEP_2)
	v_fma_f64 v[10:11], v[8:9], v[10:11], 1.0
	v_mul_f64_e32 v[4:5], 0.5, v[4:5]
	v_fma_f64 v[10:11], v[8:9], v[10:11], 1.0
	s_delay_alu instid0(VALU_DEP_2)
	v_mul_f64_e64 v[8:9], |v[6:7]|, v[4:5]
                                        ; implicit-def: $vgpr4_vgpr5
	v_cmpx_ngt_f64_e32 0, v[6:7]
	s_xor_b32 s12, exec_lo, s12
	s_cbranch_execz .LBB8_1350
; %bb.1349:
	s_delay_alu instid0(VALU_DEP_3) | instskip(SKIP_1) | instid1(VALU_DEP_2)
	v_ldexp_f64 v[4:5], v[10:11], v3
	v_cmp_nlt_f64_e64 vcc_lo, 0x40900000, |v[6:7]|
                                        ; implicit-def: $vgpr10_vgpr11
                                        ; implicit-def: $vgpr3
                                        ; implicit-def: $vgpr6_vgpr7
	v_cndmask_b32_e32 v5, 0x7ff00000, v5, vcc_lo
	s_delay_alu instid0(VALU_DEP_3) | instskip(NEXT) | instid1(VALU_DEP_1)
	v_cndmask_b32_e32 v4, 0, v4, vcc_lo
	v_mul_f64_e32 v[4:5], v[4:5], v[8:9]
                                        ; implicit-def: $vgpr8_vgpr9
.LBB8_1350:
	s_and_not1_saveexec_b32 s12, s12
	s_cbranch_execz .LBB8_1352
; %bb.1351:
	s_delay_alu instid0(VALU_DEP_3) | instskip(SKIP_1) | instid1(VALU_DEP_2)
	v_ldexp_f64 v[4:5], -v[10:11], v3
	v_cmp_nlt_f64_e64 vcc_lo, 0x40900000, |v[6:7]|
	v_cndmask_b32_e32 v5, 0xfff00000, v5, vcc_lo
	s_delay_alu instid0(VALU_DEP_3) | instskip(NEXT) | instid1(VALU_DEP_1)
	v_cndmask_b32_e32 v4, 0, v4, vcc_lo
	v_mul_f64_e32 v[4:5], v[4:5], v[8:9]
.LBB8_1352:
	s_or_b32 exec_lo, exec_lo, s12
                                        ; implicit-def: $vgpr6_vgpr7
.LBB8_1353:
	s_and_not1_saveexec_b32 s12, s0
	s_cbranch_execz .LBB8_1359
; %bb.1354:
	v_and_b32_e32 v5, 0x7fffffff, v7
	v_mov_b32_e32 v4, v6
	s_mov_b64 s[14:15], 0x3c61556db352e8e6
	v_cmp_ngt_f64_e64 s0, 0, v[6:7]
	s_delay_alu instid0(VALU_DEP_2) | instskip(SKIP_1) | instid1(VALU_DEP_2)
	v_div_scale_f64 v[8:9], null, v[4:5], v[4:5], 0x40400000
	v_div_scale_f64 v[4:5], vcc_lo, 0x40400000, v[4:5], 0x40400000
	v_rcp_f64_e32 v[10:11], v[8:9]
	v_nop
	s_delay_alu instid0(TRANS32_DEP_1) | instskip(NEXT) | instid1(VALU_DEP_1)
	v_fma_f64 v[12:13], -v[8:9], v[10:11], 1.0
	v_fmac_f64_e32 v[10:11], v[10:11], v[12:13]
	s_delay_alu instid0(VALU_DEP_1) | instskip(NEXT) | instid1(VALU_DEP_1)
	v_fma_f64 v[12:13], -v[8:9], v[10:11], 1.0
	v_fmac_f64_e32 v[10:11], v[10:11], v[12:13]
	s_delay_alu instid0(VALU_DEP_1) | instskip(NEXT) | instid1(VALU_DEP_1)
	v_mul_f64_e32 v[12:13], v[4:5], v[10:11]
	v_fma_f64 v[4:5], -v[8:9], v[12:13], v[4:5]
	s_delay_alu instid0(VALU_DEP_1) | instskip(SKIP_1) | instid1(VALU_DEP_2)
	v_div_fmas_f64 v[4:5], v[4:5], v[10:11], v[12:13]
	v_cmp_nlt_f64_e64 vcc_lo, 0x40900000, |v[6:7]|
	v_div_fixup_f64 v[4:5], v[4:5], |v[6:7]|, 0x40400000
	s_delay_alu instid0(VALU_DEP_1) | instskip(NEXT) | instid1(VALU_DEP_1)
	v_add_f64_e32 v[4:5], -2.0, v[4:5]
	v_fmaak_f64 v[8:9], s[14:15], v[4:5], 0x3c545b8aea87b950
	s_mov_b64 s[14:15], 0x3ff71547652b82fe
	s_delay_alu instid0(SALU_CYCLE_1) | instskip(SKIP_1) | instid1(VALU_DEP_2)
	v_mul_f64_e64 v[12:13], |v[6:7]|, s[14:15]
	s_mov_b64 s[14:15], 0xbfe62e42fefa39ef
	v_fmaak_f64 v[10:11], v[4:5], v[8:9], 0xbc61556db352e8e6
	s_delay_alu instid0(VALU_DEP_1) | instskip(NEXT) | instid1(VALU_DEP_3)
	v_add_f64_e32 v[10:11], 0xbc8acea3b2532277, v[10:11]
	v_rndne_f64_e32 v[12:13], v[12:13]
	s_delay_alu instid0(VALU_DEP_2) | instskip(NEXT) | instid1(VALU_DEP_2)
	v_fma_f64 v[8:9], v[4:5], v[10:11], -v[8:9]
	v_fma_f64 v[16:17], v[12:13], s[14:15], |v[6:7]|
	s_mov_b64 s[14:15], 0x3e5ade156a5dcb37
	v_cvt_i32_f64_e32 v3, v[12:13]
	s_delay_alu instid0(VALU_DEP_3) | instskip(NEXT) | instid1(VALU_DEP_3)
	v_add_f64_e32 v[8:9], 0xbc82806c9c773320, v[8:9]
	v_fmamk_f64 v[16:17], v[12:13], 0xbc7abc9e3b39803f, v[16:17]
	s_delay_alu instid0(VALU_DEP_1) | instskip(NEXT) | instid1(VALU_DEP_3)
	v_fmaak_f64 v[18:19], s[14:15], v[16:17], 0x3e928af3fca7ab0c
	v_fma_f64 v[10:11], v[4:5], v[8:9], -v[10:11]
	s_delay_alu instid0(VALU_DEP_2) | instskip(NEXT) | instid1(VALU_DEP_1)
	v_fmaak_f64 v[18:19], v[16:17], v[18:19], 0x3ec71dee623fde64
	v_fmaak_f64 v[18:19], v[16:17], v[18:19], 0x3efa01997c89e6b0
	s_delay_alu instid0(VALU_DEP_1) | instskip(NEXT) | instid1(VALU_DEP_1)
	v_fmaak_f64 v[18:19], v[16:17], v[18:19], 0x3f2a01a014761f6e
	v_fmaak_f64 v[18:19], v[16:17], v[18:19], 0x3f56c16c1852b7b0
	s_delay_alu instid0(VALU_DEP_1) | instskip(SKIP_1) | instid1(VALU_DEP_2)
	v_fmaak_f64 v[18:19], v[16:17], v[18:19], 0x3f81111111122322
	v_add_f64_e32 v[10:11], 0x3cb55915fceb588a, v[10:11]
	v_fmaak_f64 v[18:19], v[16:17], v[18:19], 0x3fa55555555502a1
	s_delay_alu instid0(VALU_DEP_1) | instskip(NEXT) | instid1(VALU_DEP_1)
	v_fmaak_f64 v[18:19], v[16:17], v[18:19], 0x3fc5555555555511
	v_fmaak_f64 v[18:19], v[16:17], v[18:19], 0x3fe000000000000b
	s_delay_alu instid0(VALU_DEP_1) | instskip(SKIP_1) | instid1(VALU_DEP_1)
	v_fma_f64 v[18:19], v[16:17], v[18:19], 1.0
	v_fma_f64 v[8:9], v[4:5], v[10:11], -v[8:9]
	v_add_f64_e32 v[8:9], 0x3cb7d68e5f04a2d1, v[8:9]
	s_delay_alu instid0(VALU_DEP_1) | instskip(NEXT) | instid1(VALU_DEP_1)
	v_fma_f64 v[10:11], v[4:5], v[8:9], -v[10:11]
	v_add_f64_e32 v[10:11], 0xbce0efcd8bc4d22a, v[10:11]
	s_delay_alu instid0(VALU_DEP_1) | instskip(NEXT) | instid1(VALU_DEP_1)
	;; [unrolled: 3-line block ×18, first 2 shown]
	v_fma_f64 v[8:9], v[4:5], v[10:11], -v[8:9]
	v_add_f64_e32 v[8:9], 0xbf83fda053fcdb4c, v[8:9]
	s_delay_alu instid0(VALU_DEP_1) | instskip(SKIP_1) | instid1(VALU_DEP_2)
	v_fma_f64 v[4:5], v[4:5], v[8:9], -v[10:11]
	v_fma_f64 v[8:9], v[16:17], v[18:19], 1.0
	v_add_f64_e32 v[4:5], 0x3fe8ea18b55b1514, v[4:5]
	s_delay_alu instid0(VALU_DEP_2) | instskip(NEXT) | instid1(VALU_DEP_2)
	v_ldexp_f64 v[8:9], v[8:9], v3
	v_add_f64_e64 v[10:11], v[4:5], -v[10:11]
	s_delay_alu instid0(VALU_DEP_2) | instskip(NEXT) | instid1(VALU_DEP_3)
	v_cndmask_b32_e32 v9, 0x7ff00000, v9, vcc_lo
	v_cndmask_b32_e32 v8, 0, v8, vcc_lo
                                        ; implicit-def: $vgpr4_vgpr5
	s_and_saveexec_b32 s13, s0
	s_delay_alu instid0(SALU_CYCLE_1)
	s_xor_b32 s0, exec_lo, s13
	s_cbranch_execz .LBB8_1356
; %bb.1355:
	v_cmp_gt_f64_e64 s13, 0x10000000, |v[6:7]|
	s_delay_alu instid0(VALU_DEP_1) | instskip(NEXT) | instid1(VALU_DEP_1)
	v_cndmask_b32_e64 v3, 0, 0x100, s13
	v_ldexp_f64 v[4:5], |v[6:7]|, v3
	v_cndmask_b32_e64 v3, 0, 0xffffff80, s13
	s_delay_alu instid0(VALU_DEP_2) | instskip(SKIP_1) | instid1(TRANS32_DEP_1)
	v_rsq_f64_e32 v[6:7], v[4:5]
	v_cmp_class_f64_e64 vcc_lo, v[4:5], 0x260
	v_mul_f64_e32 v[12:13], v[4:5], v[6:7]
	v_mul_f64_e32 v[6:7], 0.5, v[6:7]
	s_delay_alu instid0(VALU_DEP_1) | instskip(NEXT) | instid1(VALU_DEP_1)
	v_fma_f64 v[16:17], -v[6:7], v[12:13], 0.5
	v_fmac_f64_e32 v[12:13], v[12:13], v[16:17]
	v_fmac_f64_e32 v[6:7], v[6:7], v[16:17]
	s_delay_alu instid0(VALU_DEP_2) | instskip(NEXT) | instid1(VALU_DEP_1)
	v_fma_f64 v[16:17], -v[12:13], v[12:13], v[4:5]
	v_fmac_f64_e32 v[12:13], v[16:17], v[6:7]
	s_delay_alu instid0(VALU_DEP_1) | instskip(NEXT) | instid1(VALU_DEP_1)
	v_fma_f64 v[16:17], -v[12:13], v[12:13], v[4:5]
	v_fmac_f64_e32 v[12:13], v[16:17], v[6:7]
	v_mul_f64_e32 v[6:7], 0.5, v[10:11]
	s_delay_alu instid0(VALU_DEP_2) | instskip(NEXT) | instid1(VALU_DEP_1)
	v_ldexp_f64 v[10:11], v[12:13], v3
	v_dual_mul_f64 v[6:7], v[8:9], v[6:7] :: v_dual_cndmask_b32 v5, v11, v5, vcc_lo
	s_delay_alu instid0(VALU_DEP_2) | instskip(NEXT) | instid1(VALU_DEP_1)
	v_cndmask_b32_e32 v4, v10, v4, vcc_lo
	v_div_scale_f64 v[8:9], null, v[4:5], v[4:5], v[6:7]
	s_delay_alu instid0(VALU_DEP_1) | instskip(SKIP_1) | instid1(TRANS32_DEP_1)
	v_rcp_f64_e32 v[10:11], v[8:9]
	v_nop
	v_fma_f64 v[12:13], -v[8:9], v[10:11], 1.0
	s_delay_alu instid0(VALU_DEP_1) | instskip(NEXT) | instid1(VALU_DEP_1)
	v_fmac_f64_e32 v[10:11], v[10:11], v[12:13]
	v_fma_f64 v[12:13], -v[8:9], v[10:11], 1.0
	s_delay_alu instid0(VALU_DEP_1) | instskip(SKIP_1) | instid1(VALU_DEP_1)
	v_fmac_f64_e32 v[10:11], v[10:11], v[12:13]
	v_div_scale_f64 v[12:13], vcc_lo, v[6:7], v[4:5], v[6:7]
	v_mul_f64_e32 v[16:17], v[12:13], v[10:11]
	s_delay_alu instid0(VALU_DEP_1) | instskip(NEXT) | instid1(VALU_DEP_1)
	v_fma_f64 v[8:9], -v[8:9], v[16:17], v[12:13]
	v_div_fmas_f64 v[8:9], v[8:9], v[10:11], v[16:17]
                                        ; implicit-def: $vgpr10_vgpr11
	s_delay_alu instid0(VALU_DEP_1)
	v_div_fixup_f64 v[4:5], v[8:9], v[4:5], v[6:7]
                                        ; implicit-def: $vgpr6_vgpr7
                                        ; implicit-def: $vgpr8_vgpr9
.LBB8_1356:
	s_and_not1_saveexec_b32 s0, s0
	s_cbranch_execz .LBB8_1358
; %bb.1357:
	v_cmp_gt_f64_e64 s13, 0x10000000, |v[6:7]|
	s_delay_alu instid0(VALU_DEP_1) | instskip(NEXT) | instid1(VALU_DEP_1)
	v_cndmask_b32_e64 v3, 0, 0x100, s13
	v_ldexp_f64 v[4:5], |v[6:7]|, v3
	v_cndmask_b32_e64 v3, 0, 0xffffff80, s13
	s_delay_alu instid0(VALU_DEP_2) | instskip(SKIP_1) | instid1(TRANS32_DEP_1)
	v_rsq_f64_e32 v[6:7], v[4:5]
	v_cmp_class_f64_e64 vcc_lo, v[4:5], 0x260
	v_mul_f64_e32 v[12:13], v[4:5], v[6:7]
	v_mul_f64_e32 v[6:7], 0.5, v[6:7]
	s_delay_alu instid0(VALU_DEP_1) | instskip(NEXT) | instid1(VALU_DEP_1)
	v_fma_f64 v[16:17], -v[6:7], v[12:13], 0.5
	v_fmac_f64_e32 v[12:13], v[12:13], v[16:17]
	v_fmac_f64_e32 v[6:7], v[6:7], v[16:17]
	s_delay_alu instid0(VALU_DEP_2) | instskip(NEXT) | instid1(VALU_DEP_1)
	v_fma_f64 v[16:17], -v[12:13], v[12:13], v[4:5]
	v_fmac_f64_e32 v[12:13], v[16:17], v[6:7]
	s_delay_alu instid0(VALU_DEP_1) | instskip(NEXT) | instid1(VALU_DEP_1)
	v_fma_f64 v[16:17], -v[12:13], v[12:13], v[4:5]
	v_fmac_f64_e32 v[12:13], v[16:17], v[6:7]
	v_mul_f64_e32 v[6:7], -0.5, v[10:11]
	s_delay_alu instid0(VALU_DEP_2) | instskip(NEXT) | instid1(VALU_DEP_1)
	v_ldexp_f64 v[10:11], v[12:13], v3
	v_dual_mul_f64 v[6:7], v[8:9], v[6:7] :: v_dual_cndmask_b32 v5, v11, v5, vcc_lo
	s_delay_alu instid0(VALU_DEP_2) | instskip(NEXT) | instid1(VALU_DEP_1)
	v_cndmask_b32_e32 v4, v10, v4, vcc_lo
	v_div_scale_f64 v[8:9], null, v[4:5], v[4:5], v[6:7]
	s_delay_alu instid0(VALU_DEP_1) | instskip(SKIP_1) | instid1(TRANS32_DEP_1)
	v_rcp_f64_e32 v[10:11], v[8:9]
	v_nop
	v_fma_f64 v[12:13], -v[8:9], v[10:11], 1.0
	s_delay_alu instid0(VALU_DEP_1) | instskip(NEXT) | instid1(VALU_DEP_1)
	v_fmac_f64_e32 v[10:11], v[10:11], v[12:13]
	v_fma_f64 v[12:13], -v[8:9], v[10:11], 1.0
	s_delay_alu instid0(VALU_DEP_1) | instskip(SKIP_1) | instid1(VALU_DEP_1)
	v_fmac_f64_e32 v[10:11], v[10:11], v[12:13]
	v_div_scale_f64 v[12:13], vcc_lo, v[6:7], v[4:5], v[6:7]
	v_mul_f64_e32 v[16:17], v[12:13], v[10:11]
	s_delay_alu instid0(VALU_DEP_1) | instskip(NEXT) | instid1(VALU_DEP_1)
	v_fma_f64 v[8:9], -v[8:9], v[16:17], v[12:13]
	v_div_fmas_f64 v[8:9], v[8:9], v[10:11], v[16:17]
	s_delay_alu instid0(VALU_DEP_1)
	v_div_fixup_f64 v[4:5], v[8:9], v[4:5], v[6:7]
.LBB8_1358:
	s_or_b32 exec_lo, exec_lo, s0
.LBB8_1359:
	s_delay_alu instid0(SALU_CYCLE_1) | instskip(SKIP_2) | instid1(VALU_DEP_1)
	s_or_b32 exec_lo, exec_lo, s12
	v_add_nc_u32_e32 v2, s3, v2
	s_cmp_lt_i32 s9, 11
	v_ashrrev_i32_e32 v3, 31, v2
	s_delay_alu instid0(VALU_DEP_1)
	v_add_nc_u64_e32 v[6:7], s[6:7], v[2:3]
	s_cbranch_scc1 .LBB8_1366
; %bb.1360:
	s_cmp_gt_i32 s9, 25
	s_mov_b32 s12, 0
	s_cbranch_scc0 .LBB8_1368
; %bb.1361:
	s_cmp_gt_i32 s9, 28
	s_cbranch_scc0 .LBB8_1369
; %bb.1362:
	s_cmp_gt_i32 s9, 43
	;; [unrolled: 3-line block ×3, first 2 shown]
	s_cbranch_scc0 .LBB8_1372
; %bb.1364:
	s_cmp_eq_u32 s9, 46
	s_mov_b32 s14, 0
	s_cbranch_scc0 .LBB8_1373
; %bb.1365:
	global_load_b32 v3, v[6:7], off
	s_mov_b32 s0, 0
	s_mov_b32 s13, -1
	s_wait_loadcnt 0x0
	v_lshlrev_b32_e32 v3, 16, v3
	s_delay_alu instid0(VALU_DEP_1)
	v_cvt_f64_f32_e32 v[10:11], v3
	s_branch .LBB8_1375
.LBB8_1366:
	s_mov_b32 s13, 0
                                        ; implicit-def: $vgpr10_vgpr11
	s_cbranch_execnz .LBB8_1441
.LBB8_1367:
	s_and_not1_b32 vcc_lo, exec_lo, s13
	s_cbranch_vccnz .LBB8_1722
	s_branch .LBB8_1489
.LBB8_1368:
	s_mov_b32 s14, -1
	s_mov_b32 s13, 0
	s_mov_b32 s0, 0
                                        ; implicit-def: $vgpr10_vgpr11
	s_branch .LBB8_1404
.LBB8_1369:
	s_mov_b32 s14, -1
	s_mov_b32 s13, 0
	s_mov_b32 s0, 0
                                        ; implicit-def: $vgpr10_vgpr11
	s_branch .LBB8_1385
.LBB8_1370:
	s_mov_b32 s14, -1
	s_mov_b32 s13, 0
	s_mov_b32 s0, 0
                                        ; implicit-def: $vgpr10_vgpr11
	s_branch .LBB8_1380
.LBB8_1371:
	s_or_b32 s1, s1, exec_lo
	s_trap 2
	s_cbranch_execz .LBB8_1298
	s_branch .LBB8_1299
.LBB8_1372:
	s_mov_b32 s14, -1
	s_mov_b32 s13, 0
	s_mov_b32 s0, 0
	s_branch .LBB8_1374
.LBB8_1373:
	s_mov_b32 s0, -1
	s_mov_b32 s13, 0
.LBB8_1374:
                                        ; implicit-def: $vgpr10_vgpr11
.LBB8_1375:
	s_and_b32 vcc_lo, exec_lo, s14
	s_cbranch_vccz .LBB8_1379
; %bb.1376:
	s_cmp_eq_u32 s9, 44
	s_cbranch_scc0 .LBB8_1378
; %bb.1377:
	global_load_u8 v3, v[6:7], off
	s_mov_b32 s0, 0
	s_mov_b32 s13, -1
	s_wait_loadcnt 0x0
	v_cmp_ne_u32_e32 vcc_lo, 0xff, v3
	v_lshlrev_b32_e32 v8, 23, v3
	s_delay_alu instid0(VALU_DEP_1) | instskip(NEXT) | instid1(VALU_DEP_1)
	v_cvt_f64_f32_e32 v[8:9], v8
	v_cndmask_b32_e32 v8, 0x20000000, v8, vcc_lo
	s_delay_alu instid0(VALU_DEP_2) | instskip(SKIP_1) | instid1(VALU_DEP_2)
	v_cndmask_b32_e32 v9, 0x7ff80000, v9, vcc_lo
	v_cmp_ne_u32_e32 vcc_lo, 0, v3
	v_cndmask_b32_e32 v11, 0x38000000, v9, vcc_lo
	s_delay_alu instid0(VALU_DEP_4)
	v_cndmask_b32_e32 v10, 0, v8, vcc_lo
	s_branch .LBB8_1379
.LBB8_1378:
	s_mov_b32 s0, -1
                                        ; implicit-def: $vgpr10_vgpr11
.LBB8_1379:
	s_mov_b32 s14, 0
.LBB8_1380:
	s_delay_alu instid0(SALU_CYCLE_1)
	s_and_b32 vcc_lo, exec_lo, s14
	s_cbranch_vccz .LBB8_1384
; %bb.1381:
	s_cmp_eq_u32 s9, 29
	s_cbranch_scc0 .LBB8_1383
; %bb.1382:
	global_load_b64 v[8:9], v[6:7], off
	s_mov_b32 s0, 0
	s_mov_b32 s13, -1
	s_mov_b32 s14, 0
	s_wait_loadcnt 0x0
	v_cvt_f64_u32_e32 v[10:11], v9
	v_cvt_f64_u32_e32 v[8:9], v8
	s_delay_alu instid0(VALU_DEP_2) | instskip(NEXT) | instid1(VALU_DEP_1)
	v_ldexp_f64 v[10:11], v[10:11], 32
	v_add_f64_e32 v[10:11], v[10:11], v[8:9]
	s_branch .LBB8_1385
.LBB8_1383:
	s_mov_b32 s0, -1
                                        ; implicit-def: $vgpr10_vgpr11
.LBB8_1384:
	s_mov_b32 s14, 0
.LBB8_1385:
	s_delay_alu instid0(SALU_CYCLE_1)
	s_and_b32 vcc_lo, exec_lo, s14
	s_cbranch_vccz .LBB8_1403
; %bb.1386:
	s_cmp_lt_i32 s9, 27
	s_cbranch_scc1 .LBB8_1389
; %bb.1387:
	s_cmp_gt_i32 s9, 27
	s_cbranch_scc0 .LBB8_1390
; %bb.1388:
	global_load_b32 v3, v[6:7], off
	s_mov_b32 s13, 0
	s_wait_loadcnt 0x0
	v_cvt_f64_u32_e32 v[10:11], v3
	s_branch .LBB8_1391
.LBB8_1389:
	s_mov_b32 s13, -1
                                        ; implicit-def: $vgpr10_vgpr11
	s_branch .LBB8_1394
.LBB8_1390:
	s_mov_b32 s13, -1
                                        ; implicit-def: $vgpr10_vgpr11
.LBB8_1391:
	s_delay_alu instid0(SALU_CYCLE_1)
	s_and_not1_b32 vcc_lo, exec_lo, s13
	s_cbranch_vccnz .LBB8_1393
; %bb.1392:
	global_load_u16 v3, v[6:7], off
	s_wait_loadcnt 0x0
	v_cvt_f64_u32_e32 v[10:11], v3
.LBB8_1393:
	s_mov_b32 s13, 0
.LBB8_1394:
	s_delay_alu instid0(SALU_CYCLE_1)
	s_and_not1_b32 vcc_lo, exec_lo, s13
	s_cbranch_vccnz .LBB8_1402
; %bb.1395:
	global_load_u8 v3, v[6:7], off
	s_mov_b32 s13, 0
	s_mov_b32 s14, exec_lo
	s_wait_loadcnt 0x0
	v_cmpx_lt_i16_e32 0x7f, v3
	s_xor_b32 s14, exec_lo, s14
	s_cbranch_execz .LBB8_1416
; %bb.1396:
	s_mov_b32 s13, -1
	s_mov_b32 s15, exec_lo
	v_cmpx_eq_u16_e32 0x80, v3
; %bb.1397:
	s_xor_b32 s13, exec_lo, -1
; %bb.1398:
	s_or_b32 exec_lo, exec_lo, s15
	s_delay_alu instid0(SALU_CYCLE_1)
	s_and_b32 s13, s13, exec_lo
	s_or_saveexec_b32 s14, s14
	v_mov_b64_e32 v[10:11], 0x7ff8000020000000
	s_xor_b32 exec_lo, exec_lo, s14
	s_cbranch_execnz .LBB8_1417
.LBB8_1399:
	s_or_b32 exec_lo, exec_lo, s14
	s_and_saveexec_b32 s14, s13
	s_cbranch_execz .LBB8_1401
.LBB8_1400:
	v_and_b32_e32 v8, 0xffff, v3
	s_delay_alu instid0(VALU_DEP_1) | instskip(SKIP_1) | instid1(VALU_DEP_2)
	v_and_b32_e32 v9, 7, v8
	v_bfe_u32 v12, v8, 3, 4
	v_clz_i32_u32_e32 v10, v9
	s_delay_alu instid0(VALU_DEP_2) | instskip(NEXT) | instid1(VALU_DEP_2)
	v_cmp_eq_u32_e32 vcc_lo, 0, v12
	v_min_u32_e32 v10, 32, v10
	s_delay_alu instid0(VALU_DEP_1) | instskip(NEXT) | instid1(VALU_DEP_1)
	v_subrev_nc_u32_e32 v11, 28, v10
	v_dual_lshlrev_b32 v8, v11, v8 :: v_dual_sub_nc_u32 v10, 29, v10
	s_delay_alu instid0(VALU_DEP_1) | instskip(NEXT) | instid1(VALU_DEP_1)
	v_dual_lshlrev_b32 v3, 24, v3 :: v_dual_bitop2_b32 v8, 7, v8 bitop3:0x40
	v_dual_cndmask_b32 v10, v12, v10, vcc_lo :: v_dual_cndmask_b32 v8, v9, v8, vcc_lo
	s_delay_alu instid0(VALU_DEP_2) | instskip(NEXT) | instid1(VALU_DEP_2)
	v_and_b32_e32 v3, 0x80000000, v3
	v_lshl_add_u32 v9, v10, 23, 0x3b800000
	s_delay_alu instid0(VALU_DEP_3) | instskip(NEXT) | instid1(VALU_DEP_1)
	v_lshlrev_b32_e32 v8, 20, v8
	v_or3_b32 v3, v3, v9, v8
	s_delay_alu instid0(VALU_DEP_1)
	v_cvt_f64_f32_e32 v[10:11], v3
.LBB8_1401:
	s_or_b32 exec_lo, exec_lo, s14
.LBB8_1402:
	s_mov_b32 s13, -1
.LBB8_1403:
	s_mov_b32 s14, 0
.LBB8_1404:
	s_delay_alu instid0(SALU_CYCLE_1)
	s_and_b32 vcc_lo, exec_lo, s14
	s_cbranch_vccz .LBB8_1437
; %bb.1405:
	s_cmp_gt_i32 s9, 22
	s_cbranch_scc0 .LBB8_1415
; %bb.1406:
	s_cmp_lt_i32 s9, 24
	s_cbranch_scc1 .LBB8_1418
; %bb.1407:
	s_cmp_gt_i32 s9, 24
	s_cbranch_scc0 .LBB8_1419
; %bb.1408:
	global_load_u8 v3, v[6:7], off
	s_mov_b32 s13, exec_lo
	s_wait_loadcnt 0x0
	v_cmpx_lt_i16_e32 0x7f, v3
	s_xor_b32 s13, exec_lo, s13
	s_cbranch_execz .LBB8_1431
; %bb.1409:
	s_mov_b32 s12, -1
	s_mov_b32 s14, exec_lo
	v_cmpx_eq_u16_e32 0x80, v3
; %bb.1410:
	s_xor_b32 s12, exec_lo, -1
; %bb.1411:
	s_or_b32 exec_lo, exec_lo, s14
	s_delay_alu instid0(SALU_CYCLE_1)
	s_and_b32 s12, s12, exec_lo
	s_or_saveexec_b32 s13, s13
	v_mov_b64_e32 v[10:11], 0x7ff8000020000000
	s_xor_b32 exec_lo, exec_lo, s13
	s_cbranch_execnz .LBB8_1432
.LBB8_1412:
	s_or_b32 exec_lo, exec_lo, s13
	s_and_saveexec_b32 s13, s12
	s_cbranch_execz .LBB8_1414
.LBB8_1413:
	v_and_b32_e32 v8, 0xffff, v3
	s_delay_alu instid0(VALU_DEP_1) | instskip(SKIP_1) | instid1(VALU_DEP_2)
	v_and_b32_e32 v9, 3, v8
	v_bfe_u32 v12, v8, 2, 5
	v_clz_i32_u32_e32 v10, v9
	s_delay_alu instid0(VALU_DEP_2) | instskip(NEXT) | instid1(VALU_DEP_2)
	v_cmp_eq_u32_e32 vcc_lo, 0, v12
	v_min_u32_e32 v10, 32, v10
	s_delay_alu instid0(VALU_DEP_1) | instskip(NEXT) | instid1(VALU_DEP_1)
	v_subrev_nc_u32_e32 v11, 29, v10
	v_dual_lshlrev_b32 v8, v11, v8 :: v_dual_sub_nc_u32 v10, 30, v10
	s_delay_alu instid0(VALU_DEP_1) | instskip(NEXT) | instid1(VALU_DEP_1)
	v_dual_lshlrev_b32 v3, 24, v3 :: v_dual_bitop2_b32 v8, 3, v8 bitop3:0x40
	v_dual_cndmask_b32 v10, v12, v10, vcc_lo :: v_dual_cndmask_b32 v8, v9, v8, vcc_lo
	s_delay_alu instid0(VALU_DEP_2) | instskip(NEXT) | instid1(VALU_DEP_2)
	v_and_b32_e32 v3, 0x80000000, v3
	v_lshl_add_u32 v9, v10, 23, 0x37800000
	s_delay_alu instid0(VALU_DEP_3) | instskip(NEXT) | instid1(VALU_DEP_1)
	v_lshlrev_b32_e32 v8, 21, v8
	v_or3_b32 v3, v3, v9, v8
	s_delay_alu instid0(VALU_DEP_1)
	v_cvt_f64_f32_e32 v[10:11], v3
.LBB8_1414:
	s_or_b32 exec_lo, exec_lo, s13
	s_mov_b32 s12, 0
	s_branch .LBB8_1420
.LBB8_1415:
	s_mov_b32 s12, -1
                                        ; implicit-def: $vgpr10_vgpr11
	s_branch .LBB8_1426
.LBB8_1416:
	s_or_saveexec_b32 s14, s14
	v_mov_b64_e32 v[10:11], 0x7ff8000020000000
	s_xor_b32 exec_lo, exec_lo, s14
	s_cbranch_execz .LBB8_1399
.LBB8_1417:
	v_cmp_ne_u16_e32 vcc_lo, 0, v3
	v_mov_b64_e32 v[10:11], 0
	s_and_not1_b32 s13, s13, exec_lo
	s_and_b32 s15, vcc_lo, exec_lo
	s_delay_alu instid0(SALU_CYCLE_1)
	s_or_b32 s13, s13, s15
	s_or_b32 exec_lo, exec_lo, s14
	s_and_saveexec_b32 s14, s13
	s_cbranch_execnz .LBB8_1400
	s_branch .LBB8_1401
.LBB8_1418:
	s_mov_b32 s12, -1
                                        ; implicit-def: $vgpr10_vgpr11
	s_branch .LBB8_1423
.LBB8_1419:
	s_mov_b32 s12, -1
                                        ; implicit-def: $vgpr10_vgpr11
.LBB8_1420:
	s_delay_alu instid0(SALU_CYCLE_1)
	s_and_b32 vcc_lo, exec_lo, s12
	s_cbranch_vccz .LBB8_1422
; %bb.1421:
	global_load_u8 v3, v[6:7], off
	s_wait_loadcnt 0x0
	v_lshlrev_b32_e32 v3, 24, v3
	s_delay_alu instid0(VALU_DEP_1) | instskip(NEXT) | instid1(VALU_DEP_1)
	v_and_b32_e32 v8, 0x7f000000, v3
	v_clz_i32_u32_e32 v9, v8
	v_cmp_ne_u32_e32 vcc_lo, 0, v8
	v_add_nc_u32_e32 v11, 0x1000000, v8
	s_delay_alu instid0(VALU_DEP_3) | instskip(NEXT) | instid1(VALU_DEP_1)
	v_min_u32_e32 v9, 32, v9
	v_sub_nc_u32_e64 v9, v9, 4 clamp
	s_delay_alu instid0(VALU_DEP_1) | instskip(NEXT) | instid1(VALU_DEP_1)
	v_dual_lshlrev_b32 v10, v9, v8 :: v_dual_lshlrev_b32 v9, 23, v9
	v_lshrrev_b32_e32 v10, 4, v10
	s_delay_alu instid0(VALU_DEP_1) | instskip(NEXT) | instid1(VALU_DEP_1)
	v_dual_sub_nc_u32 v9, v10, v9 :: v_dual_ashrrev_i32 v10, 8, v11
	v_add_nc_u32_e32 v9, 0x3c000000, v9
	s_delay_alu instid0(VALU_DEP_1) | instskip(NEXT) | instid1(VALU_DEP_1)
	v_and_or_b32 v9, 0x7f800000, v10, v9
	v_cndmask_b32_e32 v8, 0, v9, vcc_lo
	s_delay_alu instid0(VALU_DEP_1) | instskip(NEXT) | instid1(VALU_DEP_1)
	v_and_or_b32 v3, 0x80000000, v3, v8
	v_cvt_f64_f32_e32 v[10:11], v3
.LBB8_1422:
	s_mov_b32 s12, 0
.LBB8_1423:
	s_delay_alu instid0(SALU_CYCLE_1)
	s_and_not1_b32 vcc_lo, exec_lo, s12
	s_cbranch_vccnz .LBB8_1425
; %bb.1424:
	global_load_u8 v3, v[6:7], off
	s_wait_loadcnt 0x0
	v_lshlrev_b32_e32 v8, 25, v3
	v_lshlrev_b16 v3, 8, v3
	s_delay_alu instid0(VALU_DEP_1) | instskip(SKIP_1) | instid1(VALU_DEP_2)
	v_and_or_b32 v10, 0x7f00, v3, 0.5
	v_bfe_i32 v3, v3, 0, 16
	v_dual_add_f32 v10, -0.5, v10 :: v_dual_lshrrev_b32 v9, 4, v8
	v_cmp_gt_u32_e32 vcc_lo, 0x8000000, v8
	s_delay_alu instid0(VALU_DEP_2) | instskip(NEXT) | instid1(VALU_DEP_1)
	v_or_b32_e32 v9, 0x70000000, v9
	v_mul_f32_e32 v9, 0x7800000, v9
	s_delay_alu instid0(VALU_DEP_1) | instskip(NEXT) | instid1(VALU_DEP_1)
	v_cndmask_b32_e32 v8, v9, v10, vcc_lo
	v_and_or_b32 v3, 0x80000000, v3, v8
	s_delay_alu instid0(VALU_DEP_1)
	v_cvt_f64_f32_e32 v[10:11], v3
.LBB8_1425:
	s_mov_b32 s12, 0
	s_mov_b32 s13, -1
.LBB8_1426:
	s_and_not1_b32 vcc_lo, exec_lo, s12
	s_mov_b32 s12, 0
	s_cbranch_vccnz .LBB8_1437
; %bb.1427:
	s_cmp_gt_i32 s9, 14
	s_cbranch_scc0 .LBB8_1430
; %bb.1428:
	s_cmp_eq_u32 s9, 15
	s_cbranch_scc0 .LBB8_1433
; %bb.1429:
	global_load_u16 v3, v[6:7], off
	s_mov_b32 s0, 0
	s_mov_b32 s13, -1
	s_wait_loadcnt 0x0
	v_lshlrev_b32_e32 v3, 16, v3
	s_delay_alu instid0(VALU_DEP_1)
	v_cvt_f64_f32_e32 v[10:11], v3
	s_branch .LBB8_1435
.LBB8_1430:
	s_mov_b32 s12, -1
	s_branch .LBB8_1434
.LBB8_1431:
	s_or_saveexec_b32 s13, s13
	v_mov_b64_e32 v[10:11], 0x7ff8000020000000
	s_xor_b32 exec_lo, exec_lo, s13
	s_cbranch_execz .LBB8_1412
.LBB8_1432:
	v_cmp_ne_u16_e32 vcc_lo, 0, v3
	v_mov_b64_e32 v[10:11], 0
	s_and_not1_b32 s12, s12, exec_lo
	s_and_b32 s14, vcc_lo, exec_lo
	s_delay_alu instid0(SALU_CYCLE_1)
	s_or_b32 s12, s12, s14
	s_or_b32 exec_lo, exec_lo, s13
	s_and_saveexec_b32 s13, s12
	s_cbranch_execnz .LBB8_1413
	s_branch .LBB8_1414
.LBB8_1433:
	s_mov_b32 s0, -1
.LBB8_1434:
                                        ; implicit-def: $vgpr10_vgpr11
.LBB8_1435:
	s_and_b32 vcc_lo, exec_lo, s12
	s_mov_b32 s12, 0
	s_cbranch_vccz .LBB8_1437
; %bb.1436:
	s_cmp_lg_u32 s9, 11
	s_mov_b32 s12, -1
	s_cselect_b32 s0, -1, 0
.LBB8_1437:
	s_delay_alu instid0(SALU_CYCLE_1)
	s_and_b32 vcc_lo, exec_lo, s0
	s_cbranch_vccnz .LBB8_1512
; %bb.1438:
	s_and_not1_b32 vcc_lo, exec_lo, s12
	s_cbranch_vccnz .LBB8_1440
.LBB8_1439:
	global_load_u8 v3, v[6:7], off
	v_mov_b32_e32 v10, 0
	s_mov_b32 s13, -1
	s_wait_loadcnt 0x0
	v_cmp_ne_u16_e32 vcc_lo, 0, v3
	v_cndmask_b32_e64 v11, 0, 0x3ff00000, vcc_lo
.LBB8_1440:
	s_branch .LBB8_1367
.LBB8_1441:
	s_cmp_lt_i32 s9, 5
	s_cbranch_scc1 .LBB8_1446
; %bb.1442:
	s_cmp_lt_i32 s9, 8
	s_cbranch_scc1 .LBB8_1447
; %bb.1443:
	;; [unrolled: 3-line block ×3, first 2 shown]
	s_cmp_gt_i32 s9, 9
	s_cbranch_scc0 .LBB8_1449
; %bb.1445:
	global_load_b64 v[10:11], v[6:7], off
	s_mov_b32 s0, 0
	s_branch .LBB8_1450
.LBB8_1446:
	s_mov_b32 s0, -1
                                        ; implicit-def: $vgpr10_vgpr11
	s_branch .LBB8_1468
.LBB8_1447:
	s_mov_b32 s0, -1
                                        ; implicit-def: $vgpr10_vgpr11
	s_branch .LBB8_1456
.LBB8_1448:
	s_mov_b32 s0, -1
                                        ; implicit-def: $vgpr10_vgpr11
	s_branch .LBB8_1453
.LBB8_1449:
	s_mov_b32 s0, -1
                                        ; implicit-def: $vgpr10_vgpr11
.LBB8_1450:
	s_delay_alu instid0(SALU_CYCLE_1)
	s_and_not1_b32 vcc_lo, exec_lo, s0
	s_cbranch_vccnz .LBB8_1452
; %bb.1451:
	global_load_b32 v3, v[6:7], off
	s_wait_loadcnt 0x0
	v_cvt_f64_f32_e32 v[10:11], v3
.LBB8_1452:
	s_mov_b32 s0, 0
.LBB8_1453:
	s_delay_alu instid0(SALU_CYCLE_1)
	s_and_not1_b32 vcc_lo, exec_lo, s0
	s_cbranch_vccnz .LBB8_1455
; %bb.1454:
	global_load_b32 v3, v[6:7], off
	s_wait_loadcnt 0x0
	v_cvt_f32_f16_e32 v3, v3
	s_delay_alu instid0(VALU_DEP_1)
	v_cvt_f64_f32_e32 v[10:11], v3
.LBB8_1455:
	s_mov_b32 s0, 0
.LBB8_1456:
	s_delay_alu instid0(SALU_CYCLE_1)
	s_and_not1_b32 vcc_lo, exec_lo, s0
	s_cbranch_vccnz .LBB8_1467
; %bb.1457:
	s_cmp_lt_i32 s9, 6
	s_cbranch_scc1 .LBB8_1460
; %bb.1458:
	s_cmp_gt_i32 s9, 6
	s_cbranch_scc0 .LBB8_1461
; %bb.1459:
	s_wait_loadcnt 0x0
	global_load_b64 v[10:11], v[6:7], off
	s_mov_b32 s0, 0
	s_branch .LBB8_1462
.LBB8_1460:
	s_mov_b32 s0, -1
                                        ; implicit-def: $vgpr10_vgpr11
	s_branch .LBB8_1465
.LBB8_1461:
	s_mov_b32 s0, -1
                                        ; implicit-def: $vgpr10_vgpr11
.LBB8_1462:
	s_delay_alu instid0(SALU_CYCLE_1)
	s_and_not1_b32 vcc_lo, exec_lo, s0
	s_cbranch_vccnz .LBB8_1464
; %bb.1463:
	global_load_b32 v3, v[6:7], off
	s_wait_loadcnt 0x0
	v_cvt_f64_f32_e32 v[10:11], v3
.LBB8_1464:
	s_mov_b32 s0, 0
.LBB8_1465:
	s_delay_alu instid0(SALU_CYCLE_1)
	s_and_not1_b32 vcc_lo, exec_lo, s0
	s_cbranch_vccnz .LBB8_1467
; %bb.1466:
	global_load_u16 v3, v[6:7], off
	s_wait_loadcnt 0x0
	v_cvt_f32_f16_e32 v3, v3
	s_delay_alu instid0(VALU_DEP_1)
	v_cvt_f64_f32_e32 v[10:11], v3
.LBB8_1467:
	s_mov_b32 s0, 0
.LBB8_1468:
	s_delay_alu instid0(SALU_CYCLE_1)
	s_and_not1_b32 vcc_lo, exec_lo, s0
	s_cbranch_vccnz .LBB8_1488
; %bb.1469:
	s_cmp_lt_i32 s9, 2
	s_cbranch_scc1 .LBB8_1473
; %bb.1470:
	s_cmp_lt_i32 s9, 3
	s_cbranch_scc1 .LBB8_1474
; %bb.1471:
	s_cmp_gt_i32 s9, 3
	s_cbranch_scc0 .LBB8_1475
; %bb.1472:
	global_load_b64 v[8:9], v[6:7], off
	s_mov_b32 s0, 0
	s_wait_loadcnt 0x0
	v_cvt_f64_i32_e32 v[10:11], v9
	v_cvt_f64_u32_e32 v[8:9], v8
	s_delay_alu instid0(VALU_DEP_2) | instskip(NEXT) | instid1(VALU_DEP_1)
	v_ldexp_f64 v[10:11], v[10:11], 32
	v_add_f64_e32 v[10:11], v[10:11], v[8:9]
	s_branch .LBB8_1476
.LBB8_1473:
	s_mov_b32 s0, -1
                                        ; implicit-def: $vgpr10_vgpr11
	s_branch .LBB8_1482
.LBB8_1474:
	s_mov_b32 s0, -1
                                        ; implicit-def: $vgpr10_vgpr11
	s_branch .LBB8_1479
.LBB8_1475:
	s_mov_b32 s0, -1
                                        ; implicit-def: $vgpr10_vgpr11
.LBB8_1476:
	s_delay_alu instid0(SALU_CYCLE_1)
	s_and_not1_b32 vcc_lo, exec_lo, s0
	s_cbranch_vccnz .LBB8_1478
; %bb.1477:
	global_load_b32 v3, v[6:7], off
	s_wait_loadcnt 0x0
	v_cvt_f64_i32_e32 v[10:11], v3
.LBB8_1478:
	s_mov_b32 s0, 0
.LBB8_1479:
	s_delay_alu instid0(SALU_CYCLE_1)
	s_and_not1_b32 vcc_lo, exec_lo, s0
	s_cbranch_vccnz .LBB8_1481
; %bb.1480:
	global_load_i16 v3, v[6:7], off
	s_wait_loadcnt 0x0
	v_cvt_f64_i32_e32 v[10:11], v3
.LBB8_1481:
	s_mov_b32 s0, 0
.LBB8_1482:
	s_delay_alu instid0(SALU_CYCLE_1)
	s_and_not1_b32 vcc_lo, exec_lo, s0
	s_cbranch_vccnz .LBB8_1488
; %bb.1483:
	s_cmp_gt_i32 s9, 0
	s_mov_b32 s0, 0
	s_cbranch_scc0 .LBB8_1485
; %bb.1484:
	global_load_i8 v3, v[6:7], off
	s_wait_loadcnt 0x0
	v_cvt_f64_i32_e32 v[10:11], v3
	s_branch .LBB8_1486
.LBB8_1485:
	s_mov_b32 s0, -1
                                        ; implicit-def: $vgpr10_vgpr11
.LBB8_1486:
	s_delay_alu instid0(SALU_CYCLE_1)
	s_and_not1_b32 vcc_lo, exec_lo, s0
	s_cbranch_vccnz .LBB8_1488
; %bb.1487:
	global_load_u8 v3, v[6:7], off
	s_wait_loadcnt 0x0
	v_cvt_f64_u32_e32 v[10:11], v3
.LBB8_1488:
.LBB8_1489:
	s_wait_loadcnt 0x0
	s_delay_alu instid0(VALU_DEP_1) | instskip(SKIP_2) | instid1(SALU_CYCLE_1)
	v_cmp_ge_f64_e64 s0, 0x40200000, |v[10:11]|
                                        ; implicit-def: $vgpr8_vgpr9
	s_wait_xcnt 0x0
	s_and_saveexec_b32 s12, s0
	s_xor_b32 s0, exec_lo, s12
	s_cbranch_execz .LBB8_1495
; %bb.1490:
	v_fma_f64 v[6:7], |v[10:11]|, 0.5, -2.0
	s_mov_b64 s[12:13], 0x3c499f2a0c3c4014
	s_delay_alu instid0(VALU_DEP_1) | instid1(SALU_CYCLE_1)
	v_fmaak_f64 v[8:9], s[12:13], v[6:7], 0xbc7857d0c38a0576
	s_mov_b64 s[12:13], 0x3ff71547652b82fe
	s_delay_alu instid0(SALU_CYCLE_1) | instskip(SKIP_1) | instid1(VALU_DEP_2)
	v_mul_f64_e64 v[16:17], |v[10:11]|, s[12:13]
	s_mov_b64 s[12:13], 0xbfe62e42fefa39ef
	v_fmaak_f64 v[12:13], v[6:7], v[8:9], 0xbc499f2a0c3c4014
	s_delay_alu instid0(VALU_DEP_1) | instskip(NEXT) | instid1(VALU_DEP_3)
	v_add_f64_e32 v[12:13], 0x3ca663e3e593bfac, v[12:13]
	v_rndne_f64_e32 v[16:17], v[16:17]
	s_delay_alu instid0(VALU_DEP_2) | instskip(NEXT) | instid1(VALU_DEP_2)
	v_fma_f64 v[8:9], v[6:7], v[12:13], -v[8:9]
	v_fma_f64 v[18:19], v[16:17], s[12:13], |v[10:11]|
	s_mov_b64 s[12:13], 0x3e5ade156a5dcb37
	v_cvt_i32_f64_e32 v3, v[16:17]
	s_delay_alu instid0(VALU_DEP_3) | instskip(NEXT) | instid1(VALU_DEP_1)
	v_add_f64_e32 v[8:9], 0xbcd3eaaa7e0d1573, v[8:9]
	v_fma_f64 v[12:13], v[6:7], v[8:9], -v[12:13]
	s_delay_alu instid0(VALU_DEP_1) | instskip(NEXT) | instid1(VALU_DEP_1)
	v_add_f64_e32 v[12:13], 0x3d011d7f0615290c, v[12:13]
	v_fma_f64 v[8:9], v[6:7], v[12:13], -v[8:9]
	s_delay_alu instid0(VALU_DEP_1) | instskip(NEXT) | instid1(VALU_DEP_1)
	;; [unrolled: 3-line block ×24, first 2 shown]
	v_add_f64_e32 v[8:9], 0xbfc694d10469192e, v[8:9]
	v_fma_f64 v[6:7], v[6:7], v[8:9], -v[12:13]
	v_fmamk_f64 v[8:9], v[16:17], 0xbc7abc9e3b39803f, v[18:19]
	s_delay_alu instid0(VALU_DEP_1) | instskip(SKIP_1) | instid1(VALU_DEP_1)
	v_fmaak_f64 v[18:19], s[12:13], v[8:9], 0x3e928af3fca7ab0c
	s_mov_b32 s12, exec_lo
	v_fmaak_f64 v[18:19], v[8:9], v[18:19], 0x3ec71dee623fde64
	s_delay_alu instid0(VALU_DEP_1) | instskip(NEXT) | instid1(VALU_DEP_1)
	v_fmaak_f64 v[18:19], v[8:9], v[18:19], 0x3efa01997c89e6b0
	v_fmaak_f64 v[18:19], v[8:9], v[18:19], 0x3f2a01a014761f6e
	v_add_f64_e32 v[6:7], 0x3fd02a63724a7ffa, v[6:7]
	s_delay_alu instid0(VALU_DEP_2) | instskip(NEXT) | instid1(VALU_DEP_2)
	v_fmaak_f64 v[18:19], v[8:9], v[18:19], 0x3f56c16c1852b7b0
	v_add_f64_e64 v[6:7], v[6:7], -v[12:13]
	s_delay_alu instid0(VALU_DEP_2) | instskip(NEXT) | instid1(VALU_DEP_1)
	v_fmaak_f64 v[12:13], v[8:9], v[18:19], 0x3f81111111122322
	v_fmaak_f64 v[12:13], v[8:9], v[12:13], 0x3fa55555555502a1
	s_delay_alu instid0(VALU_DEP_1) | instskip(NEXT) | instid1(VALU_DEP_1)
	v_fmaak_f64 v[12:13], v[8:9], v[12:13], 0x3fc5555555555511
	v_fmaak_f64 v[12:13], v[8:9], v[12:13], 0x3fe000000000000b
	s_delay_alu instid0(VALU_DEP_1) | instskip(SKIP_1) | instid1(VALU_DEP_2)
	v_fma_f64 v[12:13], v[8:9], v[12:13], 1.0
	v_mul_f64_e32 v[6:7], 0.5, v[6:7]
	v_fma_f64 v[12:13], v[8:9], v[12:13], 1.0
                                        ; implicit-def: $vgpr8_vgpr9
	s_delay_alu instid0(VALU_DEP_2)
	v_mul_f64_e64 v[6:7], |v[10:11]|, v[6:7]
	v_cmpx_ngt_f64_e32 0, v[10:11]
	s_xor_b32 s12, exec_lo, s12
	s_cbranch_execz .LBB8_1492
; %bb.1491:
	s_delay_alu instid0(VALU_DEP_3) | instskip(SKIP_1) | instid1(VALU_DEP_2)
	v_ldexp_f64 v[8:9], v[12:13], v3
	v_cmp_nlt_f64_e64 vcc_lo, 0x40900000, |v[10:11]|
                                        ; implicit-def: $vgpr12_vgpr13
                                        ; implicit-def: $vgpr3
                                        ; implicit-def: $vgpr10_vgpr11
	v_cndmask_b32_e32 v9, 0x7ff00000, v9, vcc_lo
	s_delay_alu instid0(VALU_DEP_3) | instskip(NEXT) | instid1(VALU_DEP_1)
	v_cndmask_b32_e32 v8, 0, v8, vcc_lo
	v_mul_f64_e32 v[8:9], v[8:9], v[6:7]
                                        ; implicit-def: $vgpr6_vgpr7
.LBB8_1492:
	s_and_not1_saveexec_b32 s12, s12
	s_cbranch_execz .LBB8_1494
; %bb.1493:
	s_delay_alu instid0(VALU_DEP_3) | instskip(SKIP_1) | instid1(VALU_DEP_2)
	v_ldexp_f64 v[8:9], -v[12:13], v3
	v_cmp_nlt_f64_e64 vcc_lo, 0x40900000, |v[10:11]|
	v_cndmask_b32_e32 v9, 0xfff00000, v9, vcc_lo
	s_delay_alu instid0(VALU_DEP_3) | instskip(NEXT) | instid1(VALU_DEP_1)
	v_cndmask_b32_e32 v8, 0, v8, vcc_lo
	v_mul_f64_e32 v[8:9], v[8:9], v[6:7]
.LBB8_1494:
	s_or_b32 exec_lo, exec_lo, s12
                                        ; implicit-def: $vgpr10_vgpr11
.LBB8_1495:
	s_and_not1_saveexec_b32 s12, s0
	s_cbranch_execz .LBB8_1501
; %bb.1496:
	v_and_b32_e32 v7, 0x7fffffff, v11
	v_mov_b32_e32 v6, v10
	s_mov_b64 s[14:15], 0x3c61556db352e8e6
	v_cmp_ngt_f64_e64 s0, 0, v[10:11]
	s_delay_alu instid0(VALU_DEP_2) | instskip(SKIP_1) | instid1(VALU_DEP_2)
	v_div_scale_f64 v[8:9], null, v[6:7], v[6:7], 0x40400000
	v_div_scale_f64 v[6:7], vcc_lo, 0x40400000, v[6:7], 0x40400000
	v_rcp_f64_e32 v[12:13], v[8:9]
	v_nop
	s_delay_alu instid0(TRANS32_DEP_1) | instskip(NEXT) | instid1(VALU_DEP_1)
	v_fma_f64 v[16:17], -v[8:9], v[12:13], 1.0
	v_fmac_f64_e32 v[12:13], v[12:13], v[16:17]
	s_delay_alu instid0(VALU_DEP_1) | instskip(NEXT) | instid1(VALU_DEP_1)
	v_fma_f64 v[16:17], -v[8:9], v[12:13], 1.0
	v_fmac_f64_e32 v[12:13], v[12:13], v[16:17]
	s_delay_alu instid0(VALU_DEP_1) | instskip(NEXT) | instid1(VALU_DEP_1)
	v_mul_f64_e32 v[16:17], v[6:7], v[12:13]
	v_fma_f64 v[6:7], -v[8:9], v[16:17], v[6:7]
	s_delay_alu instid0(VALU_DEP_1) | instskip(SKIP_1) | instid1(VALU_DEP_2)
	v_div_fmas_f64 v[6:7], v[6:7], v[12:13], v[16:17]
	v_cmp_nlt_f64_e64 vcc_lo, 0x40900000, |v[10:11]|
	v_div_fixup_f64 v[6:7], v[6:7], |v[10:11]|, 0x40400000
	s_delay_alu instid0(VALU_DEP_1) | instskip(NEXT) | instid1(VALU_DEP_1)
	v_add_f64_e32 v[6:7], -2.0, v[6:7]
	v_fmaak_f64 v[8:9], s[14:15], v[6:7], 0x3c545b8aea87b950
	s_mov_b64 s[14:15], 0x3ff71547652b82fe
	s_delay_alu instid0(SALU_CYCLE_1) | instskip(SKIP_1) | instid1(VALU_DEP_2)
	v_mul_f64_e64 v[16:17], |v[10:11]|, s[14:15]
	s_mov_b64 s[14:15], 0xbfe62e42fefa39ef
	v_fmaak_f64 v[12:13], v[6:7], v[8:9], 0xbc61556db352e8e6
	s_delay_alu instid0(VALU_DEP_1) | instskip(NEXT) | instid1(VALU_DEP_3)
	v_add_f64_e32 v[12:13], 0xbc8acea3b2532277, v[12:13]
	v_rndne_f64_e32 v[16:17], v[16:17]
	s_delay_alu instid0(VALU_DEP_2) | instskip(NEXT) | instid1(VALU_DEP_2)
	v_fma_f64 v[8:9], v[6:7], v[12:13], -v[8:9]
	v_fma_f64 v[18:19], v[16:17], s[14:15], |v[10:11]|
	s_mov_b64 s[14:15], 0x3e5ade156a5dcb37
	v_cvt_i32_f64_e32 v3, v[16:17]
	s_delay_alu instid0(VALU_DEP_3) | instskip(NEXT) | instid1(VALU_DEP_3)
	v_add_f64_e32 v[8:9], 0xbc82806c9c773320, v[8:9]
	v_fmamk_f64 v[18:19], v[16:17], 0xbc7abc9e3b39803f, v[18:19]
	s_delay_alu instid0(VALU_DEP_1) | instskip(NEXT) | instid1(VALU_DEP_3)
	v_fmaak_f64 v[20:21], s[14:15], v[18:19], 0x3e928af3fca7ab0c
	v_fma_f64 v[12:13], v[6:7], v[8:9], -v[12:13]
	s_delay_alu instid0(VALU_DEP_2) | instskip(NEXT) | instid1(VALU_DEP_1)
	v_fmaak_f64 v[20:21], v[18:19], v[20:21], 0x3ec71dee623fde64
	v_fmaak_f64 v[20:21], v[18:19], v[20:21], 0x3efa01997c89e6b0
	s_delay_alu instid0(VALU_DEP_1) | instskip(NEXT) | instid1(VALU_DEP_1)
	v_fmaak_f64 v[20:21], v[18:19], v[20:21], 0x3f2a01a014761f6e
	v_fmaak_f64 v[20:21], v[18:19], v[20:21], 0x3f56c16c1852b7b0
	s_delay_alu instid0(VALU_DEP_1) | instskip(SKIP_1) | instid1(VALU_DEP_2)
	v_fmaak_f64 v[20:21], v[18:19], v[20:21], 0x3f81111111122322
	v_add_f64_e32 v[12:13], 0x3cb55915fceb588a, v[12:13]
	v_fmaak_f64 v[20:21], v[18:19], v[20:21], 0x3fa55555555502a1
	s_delay_alu instid0(VALU_DEP_1) | instskip(NEXT) | instid1(VALU_DEP_1)
	v_fmaak_f64 v[20:21], v[18:19], v[20:21], 0x3fc5555555555511
	v_fmaak_f64 v[20:21], v[18:19], v[20:21], 0x3fe000000000000b
	s_delay_alu instid0(VALU_DEP_1) | instskip(SKIP_1) | instid1(VALU_DEP_1)
	v_fma_f64 v[20:21], v[18:19], v[20:21], 1.0
	v_fma_f64 v[8:9], v[6:7], v[12:13], -v[8:9]
	v_add_f64_e32 v[8:9], 0x3cb7d68e5f04a2d1, v[8:9]
	s_delay_alu instid0(VALU_DEP_1) | instskip(NEXT) | instid1(VALU_DEP_1)
	v_fma_f64 v[12:13], v[6:7], v[8:9], -v[12:13]
	v_add_f64_e32 v[12:13], 0xbce0efcd8bc4d22a, v[12:13]
	s_delay_alu instid0(VALU_DEP_1) | instskip(NEXT) | instid1(VALU_DEP_1)
	;; [unrolled: 3-line block ×18, first 2 shown]
	v_fma_f64 v[8:9], v[6:7], v[12:13], -v[8:9]
	v_add_f64_e32 v[8:9], 0xbf83fda053fcdb4c, v[8:9]
	s_delay_alu instid0(VALU_DEP_1) | instskip(SKIP_1) | instid1(VALU_DEP_2)
	v_fma_f64 v[6:7], v[6:7], v[8:9], -v[12:13]
	v_fma_f64 v[8:9], v[18:19], v[20:21], 1.0
	v_add_f64_e32 v[6:7], 0x3fe8ea18b55b1514, v[6:7]
	s_delay_alu instid0(VALU_DEP_2) | instskip(NEXT) | instid1(VALU_DEP_2)
	v_ldexp_f64 v[8:9], v[8:9], v3
	v_add_f64_e64 v[12:13], v[6:7], -v[12:13]
	s_delay_alu instid0(VALU_DEP_2) | instskip(NEXT) | instid1(VALU_DEP_3)
	v_cndmask_b32_e32 v7, 0x7ff00000, v9, vcc_lo
	v_cndmask_b32_e32 v6, 0, v8, vcc_lo
                                        ; implicit-def: $vgpr8_vgpr9
	s_and_saveexec_b32 s13, s0
	s_delay_alu instid0(SALU_CYCLE_1)
	s_xor_b32 s0, exec_lo, s13
	s_cbranch_execz .LBB8_1498
; %bb.1497:
	v_cmp_gt_f64_e64 s13, 0x10000000, |v[10:11]|
	s_delay_alu instid0(VALU_DEP_1) | instskip(NEXT) | instid1(VALU_DEP_1)
	v_cndmask_b32_e64 v3, 0, 0x100, s13
	v_ldexp_f64 v[8:9], |v[10:11]|, v3
	v_cndmask_b32_e64 v3, 0, 0xffffff80, s13
	s_delay_alu instid0(VALU_DEP_2) | instskip(SKIP_1) | instid1(TRANS32_DEP_1)
	v_rsq_f64_e32 v[10:11], v[8:9]
	v_cmp_class_f64_e64 vcc_lo, v[8:9], 0x260
	v_mul_f64_e32 v[16:17], v[8:9], v[10:11]
	v_mul_f64_e32 v[10:11], 0.5, v[10:11]
	s_delay_alu instid0(VALU_DEP_1) | instskip(NEXT) | instid1(VALU_DEP_1)
	v_fma_f64 v[18:19], -v[10:11], v[16:17], 0.5
	v_fmac_f64_e32 v[16:17], v[16:17], v[18:19]
	v_fmac_f64_e32 v[10:11], v[10:11], v[18:19]
	s_delay_alu instid0(VALU_DEP_2) | instskip(NEXT) | instid1(VALU_DEP_1)
	v_fma_f64 v[18:19], -v[16:17], v[16:17], v[8:9]
	v_fmac_f64_e32 v[16:17], v[18:19], v[10:11]
	s_delay_alu instid0(VALU_DEP_1) | instskip(NEXT) | instid1(VALU_DEP_1)
	v_fma_f64 v[18:19], -v[16:17], v[16:17], v[8:9]
	v_fmac_f64_e32 v[16:17], v[18:19], v[10:11]
	v_mul_f64_e32 v[10:11], 0.5, v[12:13]
	s_delay_alu instid0(VALU_DEP_2) | instskip(NEXT) | instid1(VALU_DEP_1)
	v_ldexp_f64 v[12:13], v[16:17], v3
	v_dual_mul_f64 v[6:7], v[6:7], v[10:11] :: v_dual_cndmask_b32 v8, v12, v8, vcc_lo
	s_delay_alu instid0(VALU_DEP_2) | instskip(NEXT) | instid1(VALU_DEP_1)
	v_cndmask_b32_e32 v9, v13, v9, vcc_lo
	v_div_scale_f64 v[10:11], null, v[8:9], v[8:9], v[6:7]
	s_delay_alu instid0(VALU_DEP_1) | instskip(SKIP_1) | instid1(TRANS32_DEP_1)
	v_rcp_f64_e32 v[12:13], v[10:11]
	v_nop
	v_fma_f64 v[16:17], -v[10:11], v[12:13], 1.0
	s_delay_alu instid0(VALU_DEP_1) | instskip(NEXT) | instid1(VALU_DEP_1)
	v_fmac_f64_e32 v[12:13], v[12:13], v[16:17]
	v_fma_f64 v[16:17], -v[10:11], v[12:13], 1.0
	s_delay_alu instid0(VALU_DEP_1) | instskip(SKIP_1) | instid1(VALU_DEP_1)
	v_fmac_f64_e32 v[12:13], v[12:13], v[16:17]
	v_div_scale_f64 v[16:17], vcc_lo, v[6:7], v[8:9], v[6:7]
	v_mul_f64_e32 v[18:19], v[16:17], v[12:13]
	s_delay_alu instid0(VALU_DEP_1) | instskip(NEXT) | instid1(VALU_DEP_1)
	v_fma_f64 v[10:11], -v[10:11], v[18:19], v[16:17]
	v_div_fmas_f64 v[10:11], v[10:11], v[12:13], v[18:19]
                                        ; implicit-def: $vgpr12_vgpr13
	s_delay_alu instid0(VALU_DEP_1)
	v_div_fixup_f64 v[8:9], v[10:11], v[8:9], v[6:7]
                                        ; implicit-def: $vgpr10_vgpr11
                                        ; implicit-def: $vgpr6_vgpr7
.LBB8_1498:
	s_and_not1_saveexec_b32 s0, s0
	s_cbranch_execz .LBB8_1500
; %bb.1499:
	v_cmp_gt_f64_e64 s13, 0x10000000, |v[10:11]|
	s_delay_alu instid0(VALU_DEP_1) | instskip(NEXT) | instid1(VALU_DEP_1)
	v_cndmask_b32_e64 v3, 0, 0x100, s13
	v_ldexp_f64 v[8:9], |v[10:11]|, v3
	v_cndmask_b32_e64 v3, 0, 0xffffff80, s13
	s_delay_alu instid0(VALU_DEP_2) | instskip(SKIP_1) | instid1(TRANS32_DEP_1)
	v_rsq_f64_e32 v[10:11], v[8:9]
	v_cmp_class_f64_e64 vcc_lo, v[8:9], 0x260
	v_mul_f64_e32 v[16:17], v[8:9], v[10:11]
	v_mul_f64_e32 v[10:11], 0.5, v[10:11]
	s_delay_alu instid0(VALU_DEP_1) | instskip(NEXT) | instid1(VALU_DEP_1)
	v_fma_f64 v[18:19], -v[10:11], v[16:17], 0.5
	v_fmac_f64_e32 v[16:17], v[16:17], v[18:19]
	v_fmac_f64_e32 v[10:11], v[10:11], v[18:19]
	s_delay_alu instid0(VALU_DEP_2) | instskip(NEXT) | instid1(VALU_DEP_1)
	v_fma_f64 v[18:19], -v[16:17], v[16:17], v[8:9]
	v_fmac_f64_e32 v[16:17], v[18:19], v[10:11]
	s_delay_alu instid0(VALU_DEP_1) | instskip(NEXT) | instid1(VALU_DEP_1)
	v_fma_f64 v[18:19], -v[16:17], v[16:17], v[8:9]
	v_fmac_f64_e32 v[16:17], v[18:19], v[10:11]
	v_mul_f64_e32 v[10:11], -0.5, v[12:13]
	s_delay_alu instid0(VALU_DEP_2) | instskip(NEXT) | instid1(VALU_DEP_1)
	v_ldexp_f64 v[12:13], v[16:17], v3
	v_dual_mul_f64 v[6:7], v[6:7], v[10:11] :: v_dual_cndmask_b32 v8, v12, v8, vcc_lo
	s_delay_alu instid0(VALU_DEP_2) | instskip(NEXT) | instid1(VALU_DEP_1)
	v_cndmask_b32_e32 v9, v13, v9, vcc_lo
	v_div_scale_f64 v[10:11], null, v[8:9], v[8:9], v[6:7]
	s_delay_alu instid0(VALU_DEP_1) | instskip(SKIP_1) | instid1(TRANS32_DEP_1)
	v_rcp_f64_e32 v[12:13], v[10:11]
	v_nop
	v_fma_f64 v[16:17], -v[10:11], v[12:13], 1.0
	s_delay_alu instid0(VALU_DEP_1) | instskip(NEXT) | instid1(VALU_DEP_1)
	v_fmac_f64_e32 v[12:13], v[12:13], v[16:17]
	v_fma_f64 v[16:17], -v[10:11], v[12:13], 1.0
	s_delay_alu instid0(VALU_DEP_1) | instskip(SKIP_1) | instid1(VALU_DEP_1)
	v_fmac_f64_e32 v[12:13], v[12:13], v[16:17]
	v_div_scale_f64 v[16:17], vcc_lo, v[6:7], v[8:9], v[6:7]
	v_mul_f64_e32 v[18:19], v[16:17], v[12:13]
	s_delay_alu instid0(VALU_DEP_1) | instskip(NEXT) | instid1(VALU_DEP_1)
	v_fma_f64 v[10:11], -v[10:11], v[18:19], v[16:17]
	v_div_fmas_f64 v[10:11], v[10:11], v[12:13], v[18:19]
	s_delay_alu instid0(VALU_DEP_1)
	v_div_fixup_f64 v[8:9], v[10:11], v[8:9], v[6:7]
.LBB8_1500:
	s_or_b32 exec_lo, exec_lo, s0
.LBB8_1501:
	s_delay_alu instid0(SALU_CYCLE_1) | instskip(SKIP_2) | instid1(VALU_DEP_1)
	s_or_b32 exec_lo, exec_lo, s12
	v_add_nc_u32_e32 v2, s3, v2
	s_cmp_lt_i32 s9, 11
	v_ashrrev_i32_e32 v3, 31, v2
	s_delay_alu instid0(VALU_DEP_1)
	v_add_nc_u64_e32 v[2:3], s[6:7], v[2:3]
	s_cbranch_scc1 .LBB8_1508
; %bb.1502:
	s_cmp_gt_i32 s9, 25
	s_mov_b32 s3, 0
	s_cbranch_scc0 .LBB8_1509
; %bb.1503:
	s_cmp_gt_i32 s9, 28
	s_cbranch_scc0 .LBB8_1510
; %bb.1504:
	s_cmp_gt_i32 s9, 43
	;; [unrolled: 3-line block ×3, first 2 shown]
	s_cbranch_scc0 .LBB8_1513
; %bb.1506:
	s_cmp_eq_u32 s9, 46
	s_mov_b32 s7, 0
	s_cbranch_scc0 .LBB8_1514
; %bb.1507:
	global_load_b32 v6, v[2:3], off
	s_mov_b32 s0, 0
	s_mov_b32 s6, -1
	s_wait_loadcnt 0x0
	v_lshlrev_b32_e32 v6, 16, v6
	s_delay_alu instid0(VALU_DEP_1)
	v_cvt_f64_f32_e32 v[6:7], v6
	s_branch .LBB8_1516
.LBB8_1508:
	s_mov_b32 s0, -1
	s_mov_b32 s6, 0
                                        ; implicit-def: $vgpr6_vgpr7
	s_branch .LBB8_1582
.LBB8_1509:
	s_mov_b32 s7, -1
	s_mov_b32 s6, 0
	s_mov_b32 s0, 0
                                        ; implicit-def: $vgpr6_vgpr7
	s_branch .LBB8_1545
.LBB8_1510:
	s_mov_b32 s7, -1
	s_mov_b32 s6, 0
	s_mov_b32 s0, 0
                                        ; implicit-def: $vgpr6_vgpr7
	s_branch .LBB8_1526
.LBB8_1511:
	s_mov_b32 s7, -1
	s_mov_b32 s6, 0
	s_mov_b32 s0, 0
                                        ; implicit-def: $vgpr6_vgpr7
	s_branch .LBB8_1521
.LBB8_1512:
	s_or_b32 s1, s1, exec_lo
	s_trap 2
	s_cbranch_execz .LBB8_1439
	s_branch .LBB8_1440
.LBB8_1513:
	s_mov_b32 s7, -1
	s_mov_b32 s6, 0
	s_mov_b32 s0, 0
	s_branch .LBB8_1515
.LBB8_1514:
	s_mov_b32 s0, -1
	s_mov_b32 s6, 0
.LBB8_1515:
                                        ; implicit-def: $vgpr6_vgpr7
.LBB8_1516:
	s_and_b32 vcc_lo, exec_lo, s7
	s_cbranch_vccz .LBB8_1520
; %bb.1517:
	s_cmp_eq_u32 s9, 44
	s_cbranch_scc0 .LBB8_1519
; %bb.1518:
	global_load_u8 v10, v[2:3], off
	s_mov_b32 s0, 0
	s_mov_b32 s6, -1
	s_wait_loadcnt 0x0
	v_cmp_ne_u32_e32 vcc_lo, 0xff, v10
	v_lshlrev_b32_e32 v6, 23, v10
	s_delay_alu instid0(VALU_DEP_1) | instskip(NEXT) | instid1(VALU_DEP_1)
	v_cvt_f64_f32_e32 v[6:7], v6
	v_cndmask_b32_e32 v6, 0x20000000, v6, vcc_lo
	s_delay_alu instid0(VALU_DEP_2) | instskip(SKIP_1) | instid1(VALU_DEP_2)
	v_cndmask_b32_e32 v7, 0x7ff80000, v7, vcc_lo
	v_cmp_ne_u32_e32 vcc_lo, 0, v10
	v_cndmask_b32_e32 v7, 0x38000000, v7, vcc_lo
	s_delay_alu instid0(VALU_DEP_4)
	v_cndmask_b32_e32 v6, 0, v6, vcc_lo
	s_branch .LBB8_1520
.LBB8_1519:
	s_mov_b32 s0, -1
                                        ; implicit-def: $vgpr6_vgpr7
.LBB8_1520:
	s_mov_b32 s7, 0
.LBB8_1521:
	s_delay_alu instid0(SALU_CYCLE_1)
	s_and_b32 vcc_lo, exec_lo, s7
	s_cbranch_vccz .LBB8_1525
; %bb.1522:
	s_cmp_eq_u32 s9, 29
	s_cbranch_scc0 .LBB8_1524
; %bb.1523:
	global_load_b64 v[6:7], v[2:3], off
	s_mov_b32 s0, 0
	s_mov_b32 s6, -1
	s_mov_b32 s7, 0
	s_wait_loadcnt 0x0
	v_cvt_f64_u32_e32 v[10:11], v7
	v_cvt_f64_u32_e32 v[6:7], v6
	s_delay_alu instid0(VALU_DEP_2) | instskip(NEXT) | instid1(VALU_DEP_1)
	v_ldexp_f64 v[10:11], v[10:11], 32
	v_add_f64_e32 v[6:7], v[10:11], v[6:7]
	s_branch .LBB8_1526
.LBB8_1524:
	s_mov_b32 s0, -1
                                        ; implicit-def: $vgpr6_vgpr7
.LBB8_1525:
	s_mov_b32 s7, 0
.LBB8_1526:
	s_delay_alu instid0(SALU_CYCLE_1)
	s_and_b32 vcc_lo, exec_lo, s7
	s_cbranch_vccz .LBB8_1544
; %bb.1527:
	s_cmp_lt_i32 s9, 27
	s_cbranch_scc1 .LBB8_1530
; %bb.1528:
	s_cmp_gt_i32 s9, 27
	s_cbranch_scc0 .LBB8_1531
; %bb.1529:
	global_load_b32 v6, v[2:3], off
	s_mov_b32 s6, 0
	s_wait_loadcnt 0x0
	v_cvt_f64_u32_e32 v[6:7], v6
	s_branch .LBB8_1532
.LBB8_1530:
	s_mov_b32 s6, -1
                                        ; implicit-def: $vgpr6_vgpr7
	s_branch .LBB8_1535
.LBB8_1531:
	s_mov_b32 s6, -1
                                        ; implicit-def: $vgpr6_vgpr7
.LBB8_1532:
	s_delay_alu instid0(SALU_CYCLE_1)
	s_and_not1_b32 vcc_lo, exec_lo, s6
	s_cbranch_vccnz .LBB8_1534
; %bb.1533:
	global_load_u16 v6, v[2:3], off
	s_wait_loadcnt 0x0
	v_cvt_f64_u32_e32 v[6:7], v6
.LBB8_1534:
	s_mov_b32 s6, 0
.LBB8_1535:
	s_delay_alu instid0(SALU_CYCLE_1)
	s_and_not1_b32 vcc_lo, exec_lo, s6
	s_cbranch_vccnz .LBB8_1543
; %bb.1536:
	global_load_u8 v10, v[2:3], off
	s_mov_b32 s6, 0
	s_mov_b32 s7, exec_lo
	s_wait_loadcnt 0x0
	v_cmpx_lt_i16_e32 0x7f, v10
	s_xor_b32 s7, exec_lo, s7
	s_cbranch_execz .LBB8_1557
; %bb.1537:
	s_mov_b32 s6, -1
	s_mov_b32 s12, exec_lo
	v_cmpx_eq_u16_e32 0x80, v10
; %bb.1538:
	s_xor_b32 s6, exec_lo, -1
; %bb.1539:
	s_or_b32 exec_lo, exec_lo, s12
	s_delay_alu instid0(SALU_CYCLE_1)
	s_and_b32 s6, s6, exec_lo
	s_or_saveexec_b32 s7, s7
	v_mov_b64_e32 v[6:7], 0x7ff8000020000000
	s_xor_b32 exec_lo, exec_lo, s7
	s_cbranch_execnz .LBB8_1558
.LBB8_1540:
	s_or_b32 exec_lo, exec_lo, s7
	s_and_saveexec_b32 s7, s6
	s_cbranch_execz .LBB8_1542
.LBB8_1541:
	v_and_b32_e32 v6, 0xffff, v10
	s_delay_alu instid0(VALU_DEP_1) | instskip(SKIP_1) | instid1(VALU_DEP_2)
	v_and_b32_e32 v7, 7, v6
	v_bfe_u32 v13, v6, 3, 4
	v_clz_i32_u32_e32 v11, v7
	s_delay_alu instid0(VALU_DEP_2) | instskip(NEXT) | instid1(VALU_DEP_2)
	v_cmp_eq_u32_e32 vcc_lo, 0, v13
	v_min_u32_e32 v11, 32, v11
	s_delay_alu instid0(VALU_DEP_1) | instskip(NEXT) | instid1(VALU_DEP_1)
	v_subrev_nc_u32_e32 v12, 28, v11
	v_dual_lshlrev_b32 v6, v12, v6 :: v_dual_sub_nc_u32 v11, 29, v11
	s_delay_alu instid0(VALU_DEP_1) | instskip(NEXT) | instid1(VALU_DEP_2)
	v_and_b32_e32 v6, 7, v6
	v_dual_cndmask_b32 v11, v13, v11 :: v_dual_lshlrev_b32 v10, 24, v10
	s_delay_alu instid0(VALU_DEP_2) | instskip(NEXT) | instid1(VALU_DEP_2)
	v_cndmask_b32_e32 v6, v7, v6, vcc_lo
	v_and_b32_e32 v7, 0x80000000, v10
	s_delay_alu instid0(VALU_DEP_3) | instskip(NEXT) | instid1(VALU_DEP_3)
	v_lshl_add_u32 v10, v11, 23, 0x3b800000
	v_lshlrev_b32_e32 v6, 20, v6
	s_delay_alu instid0(VALU_DEP_1) | instskip(NEXT) | instid1(VALU_DEP_1)
	v_or3_b32 v6, v7, v10, v6
	v_cvt_f64_f32_e32 v[6:7], v6
.LBB8_1542:
	s_or_b32 exec_lo, exec_lo, s7
.LBB8_1543:
	s_mov_b32 s6, -1
.LBB8_1544:
	s_mov_b32 s7, 0
.LBB8_1545:
	s_delay_alu instid0(SALU_CYCLE_1)
	s_and_b32 vcc_lo, exec_lo, s7
	s_cbranch_vccz .LBB8_1578
; %bb.1546:
	s_cmp_gt_i32 s9, 22
	s_cbranch_scc0 .LBB8_1556
; %bb.1547:
	s_cmp_lt_i32 s9, 24
	s_cbranch_scc1 .LBB8_1559
; %bb.1548:
	s_cmp_gt_i32 s9, 24
	s_cbranch_scc0 .LBB8_1560
; %bb.1549:
	global_load_u8 v10, v[2:3], off
	s_mov_b32 s6, exec_lo
	s_wait_loadcnt 0x0
	v_cmpx_lt_i16_e32 0x7f, v10
	s_xor_b32 s6, exec_lo, s6
	s_cbranch_execz .LBB8_1572
; %bb.1550:
	s_mov_b32 s3, -1
	s_mov_b32 s7, exec_lo
	v_cmpx_eq_u16_e32 0x80, v10
; %bb.1551:
	s_xor_b32 s3, exec_lo, -1
; %bb.1552:
	s_or_b32 exec_lo, exec_lo, s7
	s_delay_alu instid0(SALU_CYCLE_1)
	s_and_b32 s3, s3, exec_lo
	s_or_saveexec_b32 s6, s6
	v_mov_b64_e32 v[6:7], 0x7ff8000020000000
	s_xor_b32 exec_lo, exec_lo, s6
	s_cbranch_execnz .LBB8_1573
.LBB8_1553:
	s_or_b32 exec_lo, exec_lo, s6
	s_and_saveexec_b32 s6, s3
	s_cbranch_execz .LBB8_1555
.LBB8_1554:
	v_and_b32_e32 v6, 0xffff, v10
	s_delay_alu instid0(VALU_DEP_1) | instskip(SKIP_1) | instid1(VALU_DEP_2)
	v_and_b32_e32 v7, 3, v6
	v_bfe_u32 v13, v6, 2, 5
	v_clz_i32_u32_e32 v11, v7
	s_delay_alu instid0(VALU_DEP_2) | instskip(NEXT) | instid1(VALU_DEP_2)
	v_cmp_eq_u32_e32 vcc_lo, 0, v13
	v_min_u32_e32 v11, 32, v11
	s_delay_alu instid0(VALU_DEP_1) | instskip(NEXT) | instid1(VALU_DEP_1)
	v_subrev_nc_u32_e32 v12, 29, v11
	v_dual_lshlrev_b32 v6, v12, v6 :: v_dual_sub_nc_u32 v11, 30, v11
	s_delay_alu instid0(VALU_DEP_1) | instskip(NEXT) | instid1(VALU_DEP_2)
	v_and_b32_e32 v6, 3, v6
	v_dual_cndmask_b32 v11, v13, v11 :: v_dual_lshlrev_b32 v10, 24, v10
	s_delay_alu instid0(VALU_DEP_2) | instskip(NEXT) | instid1(VALU_DEP_2)
	v_cndmask_b32_e32 v6, v7, v6, vcc_lo
	v_and_b32_e32 v7, 0x80000000, v10
	s_delay_alu instid0(VALU_DEP_3) | instskip(NEXT) | instid1(VALU_DEP_3)
	v_lshl_add_u32 v10, v11, 23, 0x37800000
	v_lshlrev_b32_e32 v6, 21, v6
	s_delay_alu instid0(VALU_DEP_1) | instskip(NEXT) | instid1(VALU_DEP_1)
	v_or3_b32 v6, v7, v10, v6
	v_cvt_f64_f32_e32 v[6:7], v6
.LBB8_1555:
	s_or_b32 exec_lo, exec_lo, s6
	s_mov_b32 s3, 0
	s_branch .LBB8_1561
.LBB8_1556:
	s_mov_b32 s3, -1
                                        ; implicit-def: $vgpr6_vgpr7
	s_branch .LBB8_1567
.LBB8_1557:
	s_or_saveexec_b32 s7, s7
	v_mov_b64_e32 v[6:7], 0x7ff8000020000000
	s_xor_b32 exec_lo, exec_lo, s7
	s_cbranch_execz .LBB8_1540
.LBB8_1558:
	v_cmp_ne_u16_e32 vcc_lo, 0, v10
	v_mov_b64_e32 v[6:7], 0
	s_and_not1_b32 s6, s6, exec_lo
	s_and_b32 s12, vcc_lo, exec_lo
	s_delay_alu instid0(SALU_CYCLE_1)
	s_or_b32 s6, s6, s12
	s_or_b32 exec_lo, exec_lo, s7
	s_and_saveexec_b32 s7, s6
	s_cbranch_execnz .LBB8_1541
	s_branch .LBB8_1542
.LBB8_1559:
	s_mov_b32 s3, -1
                                        ; implicit-def: $vgpr6_vgpr7
	s_branch .LBB8_1564
.LBB8_1560:
	s_mov_b32 s3, -1
                                        ; implicit-def: $vgpr6_vgpr7
.LBB8_1561:
	s_delay_alu instid0(SALU_CYCLE_1)
	s_and_b32 vcc_lo, exec_lo, s3
	s_cbranch_vccz .LBB8_1563
; %bb.1562:
	global_load_u8 v6, v[2:3], off
	s_wait_loadcnt 0x0
	v_lshlrev_b32_e32 v6, 24, v6
	s_delay_alu instid0(VALU_DEP_1) | instskip(NEXT) | instid1(VALU_DEP_1)
	v_and_b32_e32 v7, 0x7f000000, v6
	v_clz_i32_u32_e32 v10, v7
	v_cmp_ne_u32_e32 vcc_lo, 0, v7
	v_add_nc_u32_e32 v12, 0x1000000, v7
	s_delay_alu instid0(VALU_DEP_3) | instskip(NEXT) | instid1(VALU_DEP_1)
	v_min_u32_e32 v10, 32, v10
	v_sub_nc_u32_e64 v10, v10, 4 clamp
	s_delay_alu instid0(VALU_DEP_1) | instskip(NEXT) | instid1(VALU_DEP_1)
	v_dual_lshlrev_b32 v11, v10, v7 :: v_dual_lshlrev_b32 v10, 23, v10
	v_lshrrev_b32_e32 v11, 4, v11
	s_delay_alu instid0(VALU_DEP_1) | instskip(NEXT) | instid1(VALU_DEP_1)
	v_dual_sub_nc_u32 v10, v11, v10 :: v_dual_ashrrev_i32 v11, 8, v12
	v_add_nc_u32_e32 v10, 0x3c000000, v10
	s_delay_alu instid0(VALU_DEP_1) | instskip(NEXT) | instid1(VALU_DEP_1)
	v_and_or_b32 v10, 0x7f800000, v11, v10
	v_cndmask_b32_e32 v7, 0, v10, vcc_lo
	s_delay_alu instid0(VALU_DEP_1) | instskip(NEXT) | instid1(VALU_DEP_1)
	v_and_or_b32 v6, 0x80000000, v6, v7
	v_cvt_f64_f32_e32 v[6:7], v6
.LBB8_1563:
	s_mov_b32 s3, 0
.LBB8_1564:
	s_delay_alu instid0(SALU_CYCLE_1)
	s_and_not1_b32 vcc_lo, exec_lo, s3
	s_cbranch_vccnz .LBB8_1566
; %bb.1565:
	global_load_u8 v6, v[2:3], off
	s_wait_loadcnt 0x0
	v_lshlrev_b32_e32 v7, 25, v6
	v_lshlrev_b16 v6, 8, v6
	s_delay_alu instid0(VALU_DEP_1) | instskip(SKIP_1) | instid1(VALU_DEP_2)
	v_and_or_b32 v11, 0x7f00, v6, 0.5
	v_bfe_i32 v6, v6, 0, 16
	v_add_f32_e32 v11, -0.5, v11
	v_lshrrev_b32_e32 v10, 4, v7
	v_cmp_gt_u32_e32 vcc_lo, 0x8000000, v7
	s_delay_alu instid0(VALU_DEP_2) | instskip(NEXT) | instid1(VALU_DEP_1)
	v_or_b32_e32 v10, 0x70000000, v10
	v_mul_f32_e32 v10, 0x7800000, v10
	s_delay_alu instid0(VALU_DEP_1) | instskip(NEXT) | instid1(VALU_DEP_1)
	v_cndmask_b32_e32 v7, v10, v11, vcc_lo
	v_and_or_b32 v6, 0x80000000, v6, v7
	s_delay_alu instid0(VALU_DEP_1)
	v_cvt_f64_f32_e32 v[6:7], v6
.LBB8_1566:
	s_mov_b32 s3, 0
	s_mov_b32 s6, -1
.LBB8_1567:
	s_and_not1_b32 vcc_lo, exec_lo, s3
	s_mov_b32 s3, 0
	s_cbranch_vccnz .LBB8_1578
; %bb.1568:
	s_cmp_gt_i32 s9, 14
	s_cbranch_scc0 .LBB8_1571
; %bb.1569:
	s_cmp_eq_u32 s9, 15
	s_cbranch_scc0 .LBB8_1574
; %bb.1570:
	global_load_u16 v6, v[2:3], off
	s_mov_b32 s0, 0
	s_mov_b32 s6, -1
	s_wait_loadcnt 0x0
	v_lshlrev_b32_e32 v6, 16, v6
	s_delay_alu instid0(VALU_DEP_1)
	v_cvt_f64_f32_e32 v[6:7], v6
	s_branch .LBB8_1576
.LBB8_1571:
	s_mov_b32 s3, -1
	s_branch .LBB8_1575
.LBB8_1572:
	s_or_saveexec_b32 s6, s6
	v_mov_b64_e32 v[6:7], 0x7ff8000020000000
	s_xor_b32 exec_lo, exec_lo, s6
	s_cbranch_execz .LBB8_1553
.LBB8_1573:
	v_cmp_ne_u16_e32 vcc_lo, 0, v10
	v_mov_b64_e32 v[6:7], 0
	s_and_not1_b32 s3, s3, exec_lo
	s_and_b32 s7, vcc_lo, exec_lo
	s_delay_alu instid0(SALU_CYCLE_1)
	s_or_b32 s3, s3, s7
	s_or_b32 exec_lo, exec_lo, s6
	s_and_saveexec_b32 s6, s3
	s_cbranch_execnz .LBB8_1554
	s_branch .LBB8_1555
.LBB8_1574:
	s_mov_b32 s0, -1
.LBB8_1575:
                                        ; implicit-def: $vgpr6_vgpr7
.LBB8_1576:
	s_and_b32 vcc_lo, exec_lo, s3
	s_mov_b32 s3, 0
	s_cbranch_vccz .LBB8_1578
; %bb.1577:
	s_cmp_lg_u32 s9, 11
	s_mov_b32 s3, -1
	s_cselect_b32 s0, -1, 0
.LBB8_1578:
	s_delay_alu instid0(SALU_CYCLE_1)
	s_and_b32 vcc_lo, exec_lo, s0
	s_cbranch_vccnz .LBB8_2124
; %bb.1579:
	s_and_not1_b32 vcc_lo, exec_lo, s3
	s_cbranch_vccnz .LBB8_1581
.LBB8_1580:
	global_load_u8 v6, v[2:3], off
	s_mov_b32 s6, -1
	s_wait_loadcnt 0x0
	v_cmp_ne_u16_e32 vcc_lo, 0, v6
	v_mov_b32_e32 v6, 0
	v_cndmask_b32_e64 v7, 0, 0x3ff00000, vcc_lo
.LBB8_1581:
	s_mov_b32 s0, 0
.LBB8_1582:
	s_delay_alu instid0(SALU_CYCLE_1)
	s_and_b32 vcc_lo, exec_lo, s0
	s_cbranch_vccz .LBB8_1631
; %bb.1583:
	s_cmp_lt_i32 s9, 5
	s_cbranch_scc1 .LBB8_1588
; %bb.1584:
	s_cmp_lt_i32 s9, 8
	s_cbranch_scc1 .LBB8_1589
	;; [unrolled: 3-line block ×3, first 2 shown]
; %bb.1586:
	s_cmp_gt_i32 s9, 9
	s_cbranch_scc0 .LBB8_1591
; %bb.1587:
	global_load_b64 v[6:7], v[2:3], off
	s_mov_b32 s0, 0
	s_branch .LBB8_1592
.LBB8_1588:
	s_mov_b32 s0, -1
                                        ; implicit-def: $vgpr6_vgpr7
	s_branch .LBB8_1610
.LBB8_1589:
	s_mov_b32 s0, -1
                                        ; implicit-def: $vgpr6_vgpr7
	s_branch .LBB8_1598
.LBB8_1590:
	s_mov_b32 s0, -1
                                        ; implicit-def: $vgpr6_vgpr7
	s_branch .LBB8_1595
.LBB8_1591:
	s_mov_b32 s0, -1
                                        ; implicit-def: $vgpr6_vgpr7
.LBB8_1592:
	s_delay_alu instid0(SALU_CYCLE_1)
	s_and_not1_b32 vcc_lo, exec_lo, s0
	s_cbranch_vccnz .LBB8_1594
; %bb.1593:
	s_wait_loadcnt 0x0
	global_load_b32 v6, v[2:3], off
	s_wait_loadcnt 0x0
	v_cvt_f64_f32_e32 v[6:7], v6
.LBB8_1594:
	s_mov_b32 s0, 0
.LBB8_1595:
	s_delay_alu instid0(SALU_CYCLE_1)
	s_and_not1_b32 vcc_lo, exec_lo, s0
	s_cbranch_vccnz .LBB8_1597
; %bb.1596:
	s_wait_loadcnt 0x0
	global_load_b32 v6, v[2:3], off
	s_wait_loadcnt 0x0
	v_cvt_f32_f16_e32 v6, v6
	s_delay_alu instid0(VALU_DEP_1)
	v_cvt_f64_f32_e32 v[6:7], v6
.LBB8_1597:
	s_mov_b32 s0, 0
.LBB8_1598:
	s_delay_alu instid0(SALU_CYCLE_1)
	s_and_not1_b32 vcc_lo, exec_lo, s0
	s_cbranch_vccnz .LBB8_1609
; %bb.1599:
	s_cmp_lt_i32 s9, 6
	s_cbranch_scc1 .LBB8_1602
; %bb.1600:
	s_cmp_gt_i32 s9, 6
	s_cbranch_scc0 .LBB8_1603
; %bb.1601:
	s_wait_loadcnt 0x0
	global_load_b64 v[6:7], v[2:3], off
	s_mov_b32 s0, 0
	s_branch .LBB8_1604
.LBB8_1602:
	s_mov_b32 s0, -1
                                        ; implicit-def: $vgpr6_vgpr7
	s_branch .LBB8_1607
.LBB8_1603:
	s_mov_b32 s0, -1
                                        ; implicit-def: $vgpr6_vgpr7
.LBB8_1604:
	s_delay_alu instid0(SALU_CYCLE_1)
	s_and_not1_b32 vcc_lo, exec_lo, s0
	s_cbranch_vccnz .LBB8_1606
; %bb.1605:
	s_wait_loadcnt 0x0
	global_load_b32 v6, v[2:3], off
	s_wait_loadcnt 0x0
	v_cvt_f64_f32_e32 v[6:7], v6
.LBB8_1606:
	s_mov_b32 s0, 0
.LBB8_1607:
	s_delay_alu instid0(SALU_CYCLE_1)
	s_and_not1_b32 vcc_lo, exec_lo, s0
	s_cbranch_vccnz .LBB8_1609
; %bb.1608:
	s_wait_loadcnt 0x0
	global_load_u16 v6, v[2:3], off
	s_wait_loadcnt 0x0
	v_cvt_f32_f16_e32 v6, v6
	s_delay_alu instid0(VALU_DEP_1)
	v_cvt_f64_f32_e32 v[6:7], v6
.LBB8_1609:
	s_mov_b32 s0, 0
.LBB8_1610:
	s_delay_alu instid0(SALU_CYCLE_1)
	s_and_not1_b32 vcc_lo, exec_lo, s0
	s_cbranch_vccnz .LBB8_1630
; %bb.1611:
	s_cmp_lt_i32 s9, 2
	s_cbranch_scc1 .LBB8_1615
; %bb.1612:
	s_cmp_lt_i32 s9, 3
	s_cbranch_scc1 .LBB8_1616
; %bb.1613:
	s_cmp_gt_i32 s9, 3
	s_cbranch_scc0 .LBB8_1617
; %bb.1614:
	s_wait_loadcnt 0x0
	global_load_b64 v[6:7], v[2:3], off
	s_mov_b32 s0, 0
	s_wait_loadcnt 0x0
	v_cvt_f64_i32_e32 v[10:11], v7
	v_cvt_f64_u32_e32 v[6:7], v6
	s_delay_alu instid0(VALU_DEP_2) | instskip(NEXT) | instid1(VALU_DEP_1)
	v_ldexp_f64 v[10:11], v[10:11], 32
	v_add_f64_e32 v[6:7], v[10:11], v[6:7]
	s_branch .LBB8_1618
.LBB8_1615:
	s_mov_b32 s0, -1
                                        ; implicit-def: $vgpr6_vgpr7
	s_branch .LBB8_1624
.LBB8_1616:
	s_mov_b32 s0, -1
                                        ; implicit-def: $vgpr6_vgpr7
	s_branch .LBB8_1621
.LBB8_1617:
	s_mov_b32 s0, -1
                                        ; implicit-def: $vgpr6_vgpr7
.LBB8_1618:
	s_delay_alu instid0(SALU_CYCLE_1)
	s_and_not1_b32 vcc_lo, exec_lo, s0
	s_cbranch_vccnz .LBB8_1620
; %bb.1619:
	s_wait_loadcnt 0x0
	global_load_b32 v6, v[2:3], off
	s_wait_loadcnt 0x0
	v_cvt_f64_i32_e32 v[6:7], v6
.LBB8_1620:
	s_mov_b32 s0, 0
.LBB8_1621:
	s_delay_alu instid0(SALU_CYCLE_1)
	s_and_not1_b32 vcc_lo, exec_lo, s0
	s_cbranch_vccnz .LBB8_1623
; %bb.1622:
	s_wait_loadcnt 0x0
	global_load_i16 v6, v[2:3], off
	s_wait_loadcnt 0x0
	v_cvt_f64_i32_e32 v[6:7], v6
.LBB8_1623:
	s_mov_b32 s0, 0
.LBB8_1624:
	s_delay_alu instid0(SALU_CYCLE_1)
	s_and_not1_b32 vcc_lo, exec_lo, s0
	s_cbranch_vccnz .LBB8_1630
; %bb.1625:
	s_cmp_gt_i32 s9, 0
	s_mov_b32 s0, 0
	s_cbranch_scc0 .LBB8_1627
; %bb.1626:
	s_wait_loadcnt 0x0
	global_load_i8 v6, v[2:3], off
	s_wait_loadcnt 0x0
	v_cvt_f64_i32_e32 v[6:7], v6
	s_branch .LBB8_1628
.LBB8_1627:
	s_mov_b32 s0, -1
                                        ; implicit-def: $vgpr6_vgpr7
.LBB8_1628:
	s_delay_alu instid0(SALU_CYCLE_1)
	s_and_not1_b32 vcc_lo, exec_lo, s0
	s_cbranch_vccnz .LBB8_1630
; %bb.1629:
	global_load_u8 v2, v[2:3], off
	s_wait_loadcnt 0x0
	v_cvt_f64_u32_e32 v[6:7], v2
.LBB8_1630:
	s_mov_b32 s6, -1
.LBB8_1631:
	s_delay_alu instid0(SALU_CYCLE_1)
	s_and_not1_b32 vcc_lo, exec_lo, s6
	s_cbranch_vccnz .LBB8_1722
; %bb.1632:
	s_wait_loadcnt 0x0
	s_delay_alu instid0(VALU_DEP_1) | instskip(SKIP_2) | instid1(SALU_CYCLE_1)
	v_cmp_ge_f64_e64 s0, 0x40200000, |v[6:7]|
                                        ; implicit-def: $vgpr12_vgpr13
	s_wait_xcnt 0x0
	s_and_saveexec_b32 s3, s0
	s_xor_b32 s0, exec_lo, s3
	s_cbranch_execz .LBB8_1638
; %bb.1633:
	v_fma_f64 v[2:3], |v[6:7]|, 0.5, -2.0
	s_mov_b64 s[6:7], 0x3c499f2a0c3c4014
	s_mov_b32 s3, exec_lo
	s_delay_alu instid0(VALU_DEP_1) | instskip(SKIP_1) | instid1(SALU_CYCLE_1)
	v_fmaak_f64 v[10:11], s[6:7], v[2:3], 0xbc7857d0c38a0576
	s_mov_b64 s[6:7], 0x3ff71547652b82fe
	v_mul_f64_e64 v[16:17], |v[6:7]|, s[6:7]
	s_mov_b64 s[6:7], 0xbfe62e42fefa39ef
	s_delay_alu instid0(VALU_DEP_2) | instskip(NEXT) | instid1(VALU_DEP_1)
	v_fmaak_f64 v[12:13], v[2:3], v[10:11], 0xbc499f2a0c3c4014
	v_add_f64_e32 v[12:13], 0x3ca663e3e593bfac, v[12:13]
	s_delay_alu instid0(VALU_DEP_3) | instskip(NEXT) | instid1(VALU_DEP_2)
	v_rndne_f64_e32 v[16:17], v[16:17]
	v_fma_f64 v[10:11], v[2:3], v[12:13], -v[10:11]
	s_delay_alu instid0(VALU_DEP_2) | instskip(SKIP_2) | instid1(VALU_DEP_3)
	v_fma_f64 v[18:19], v[16:17], s[6:7], |v[6:7]|
	s_mov_b64 s[6:7], 0x3e5ade156a5dcb37
	v_cvt_i32_f64_e32 v15, v[16:17]
	v_add_f64_e32 v[10:11], 0xbcd3eaaa7e0d1573, v[10:11]
	s_delay_alu instid0(VALU_DEP_1) | instskip(NEXT) | instid1(VALU_DEP_1)
	v_fma_f64 v[12:13], v[2:3], v[10:11], -v[12:13]
	v_add_f64_e32 v[12:13], 0x3d011d7f0615290c, v[12:13]
	s_delay_alu instid0(VALU_DEP_1) | instskip(NEXT) | instid1(VALU_DEP_1)
	v_fma_f64 v[10:11], v[2:3], v[12:13], -v[10:11]
	;; [unrolled: 3-line block ×24, first 2 shown]
	v_add_f64_e32 v[10:11], 0xbfc694d10469192e, v[10:11]
	s_delay_alu instid0(VALU_DEP_1) | instskip(SKIP_1) | instid1(VALU_DEP_1)
	v_fma_f64 v[2:3], v[2:3], v[10:11], -v[12:13]
	v_fmamk_f64 v[10:11], v[16:17], 0xbc7abc9e3b39803f, v[18:19]
	v_fmaak_f64 v[18:19], s[6:7], v[10:11], 0x3e928af3fca7ab0c
	s_delay_alu instid0(VALU_DEP_1) | instskip(NEXT) | instid1(VALU_DEP_1)
	v_fmaak_f64 v[18:19], v[10:11], v[18:19], 0x3ec71dee623fde64
	v_fmaak_f64 v[18:19], v[10:11], v[18:19], 0x3efa01997c89e6b0
	s_delay_alu instid0(VALU_DEP_1) | instskip(SKIP_1) | instid1(VALU_DEP_2)
	v_fmaak_f64 v[18:19], v[10:11], v[18:19], 0x3f2a01a014761f6e
	v_add_f64_e32 v[2:3], 0x3fd02a63724a7ffa, v[2:3]
	v_fmaak_f64 v[18:19], v[10:11], v[18:19], 0x3f56c16c1852b7b0
	s_delay_alu instid0(VALU_DEP_2) | instskip(NEXT) | instid1(VALU_DEP_2)
	v_add_f64_e64 v[2:3], v[2:3], -v[12:13]
	v_fmaak_f64 v[12:13], v[10:11], v[18:19], 0x3f81111111122322
	s_delay_alu instid0(VALU_DEP_1) | instskip(NEXT) | instid1(VALU_DEP_1)
	v_fmaak_f64 v[12:13], v[10:11], v[12:13], 0x3fa55555555502a1
	v_fmaak_f64 v[12:13], v[10:11], v[12:13], 0x3fc5555555555511
	s_delay_alu instid0(VALU_DEP_1) | instskip(NEXT) | instid1(VALU_DEP_1)
	v_fmaak_f64 v[12:13], v[10:11], v[12:13], 0x3fe000000000000b
	v_fma_f64 v[12:13], v[10:11], v[12:13], 1.0
	v_mul_f64_e32 v[2:3], 0.5, v[2:3]
	s_delay_alu instid0(VALU_DEP_2) | instskip(NEXT) | instid1(VALU_DEP_2)
	v_fma_f64 v[10:11], v[10:11], v[12:13], 1.0
                                        ; implicit-def: $vgpr12_vgpr13
	v_mul_f64_e64 v[2:3], |v[6:7]|, v[2:3]
	v_cmpx_ngt_f64_e32 0, v[6:7]
	s_xor_b32 s3, exec_lo, s3
	s_cbranch_execz .LBB8_1635
; %bb.1634:
	s_delay_alu instid0(VALU_DEP_3) | instskip(SKIP_1) | instid1(VALU_DEP_2)
	v_ldexp_f64 v[10:11], v[10:11], v15
	v_cmp_nlt_f64_e64 vcc_lo, 0x40900000, |v[6:7]|
                                        ; implicit-def: $vgpr15
	v_cndmask_b32_e32 v7, 0x7ff00000, v11, vcc_lo
	s_delay_alu instid0(VALU_DEP_3) | instskip(NEXT) | instid1(VALU_DEP_1)
	v_cndmask_b32_e32 v6, 0, v10, vcc_lo
                                        ; implicit-def: $vgpr10_vgpr11
	v_mul_f64_e32 v[12:13], v[6:7], v[2:3]
                                        ; implicit-def: $vgpr6_vgpr7
                                        ; implicit-def: $vgpr2_vgpr3
.LBB8_1635:
	s_and_not1_saveexec_b32 s3, s3
	s_cbranch_execz .LBB8_1637
; %bb.1636:
	s_delay_alu instid0(VALU_DEP_3) | instskip(SKIP_1) | instid1(VALU_DEP_2)
	v_ldexp_f64 v[10:11], -v[10:11], v15
	v_cmp_nlt_f64_e64 vcc_lo, 0x40900000, |v[6:7]|
	v_cndmask_b32_e32 v7, 0xfff00000, v11, vcc_lo
	s_delay_alu instid0(VALU_DEP_3) | instskip(NEXT) | instid1(VALU_DEP_1)
	v_cndmask_b32_e32 v6, 0, v10, vcc_lo
	v_mul_f64_e32 v[12:13], v[6:7], v[2:3]
.LBB8_1637:
	s_or_b32 exec_lo, exec_lo, s3
                                        ; implicit-def: $vgpr6_vgpr7
.LBB8_1638:
	s_and_not1_saveexec_b32 s3, s0
	s_cbranch_execz .LBB8_1644
; %bb.1639:
	v_and_b32_e32 v3, 0x7fffffff, v7
	v_mov_b32_e32 v2, v6
	s_mov_b64 s[6:7], 0x3c61556db352e8e6
	v_cmp_ngt_f64_e64 s0, 0, v[6:7]
	s_delay_alu instid0(VALU_DEP_2) | instskip(SKIP_1) | instid1(VALU_DEP_2)
	v_div_scale_f64 v[10:11], null, v[2:3], v[2:3], 0x40400000
	v_div_scale_f64 v[2:3], vcc_lo, 0x40400000, v[2:3], 0x40400000
	v_rcp_f64_e32 v[12:13], v[10:11]
	v_nop
	s_delay_alu instid0(TRANS32_DEP_1) | instskip(NEXT) | instid1(VALU_DEP_1)
	v_fma_f64 v[16:17], -v[10:11], v[12:13], 1.0
	v_fmac_f64_e32 v[12:13], v[12:13], v[16:17]
	s_delay_alu instid0(VALU_DEP_1) | instskip(NEXT) | instid1(VALU_DEP_1)
	v_fma_f64 v[16:17], -v[10:11], v[12:13], 1.0
	v_fmac_f64_e32 v[12:13], v[12:13], v[16:17]
	s_delay_alu instid0(VALU_DEP_1) | instskip(NEXT) | instid1(VALU_DEP_1)
	v_mul_f64_e32 v[16:17], v[2:3], v[12:13]
	v_fma_f64 v[2:3], -v[10:11], v[16:17], v[2:3]
	s_delay_alu instid0(VALU_DEP_1) | instskip(SKIP_1) | instid1(VALU_DEP_2)
	v_div_fmas_f64 v[2:3], v[2:3], v[12:13], v[16:17]
	v_cmp_nlt_f64_e64 vcc_lo, 0x40900000, |v[6:7]|
	v_div_fixup_f64 v[2:3], v[2:3], |v[6:7]|, 0x40400000
	s_delay_alu instid0(VALU_DEP_1) | instskip(NEXT) | instid1(VALU_DEP_1)
	v_add_f64_e32 v[2:3], -2.0, v[2:3]
	v_fmaak_f64 v[10:11], s[6:7], v[2:3], 0x3c545b8aea87b950
	s_mov_b64 s[6:7], 0x3ff71547652b82fe
	s_delay_alu instid0(SALU_CYCLE_1) | instskip(SKIP_1) | instid1(VALU_DEP_2)
	v_mul_f64_e64 v[16:17], |v[6:7]|, s[6:7]
	s_mov_b64 s[6:7], 0xbfe62e42fefa39ef
	v_fmaak_f64 v[12:13], v[2:3], v[10:11], 0xbc61556db352e8e6
	s_delay_alu instid0(VALU_DEP_1) | instskip(NEXT) | instid1(VALU_DEP_3)
	v_add_f64_e32 v[12:13], 0xbc8acea3b2532277, v[12:13]
	v_rndne_f64_e32 v[16:17], v[16:17]
	s_delay_alu instid0(VALU_DEP_2) | instskip(NEXT) | instid1(VALU_DEP_2)
	v_fma_f64 v[10:11], v[2:3], v[12:13], -v[10:11]
	v_fma_f64 v[18:19], v[16:17], s[6:7], |v[6:7]|
	s_mov_b64 s[6:7], 0x3e5ade156a5dcb37
	v_cvt_i32_f64_e32 v15, v[16:17]
	s_delay_alu instid0(VALU_DEP_3) | instskip(NEXT) | instid1(VALU_DEP_3)
	v_add_f64_e32 v[10:11], 0xbc82806c9c773320, v[10:11]
	v_fmamk_f64 v[18:19], v[16:17], 0xbc7abc9e3b39803f, v[18:19]
	s_delay_alu instid0(VALU_DEP_1) | instskip(NEXT) | instid1(VALU_DEP_3)
	v_fmaak_f64 v[20:21], s[6:7], v[18:19], 0x3e928af3fca7ab0c
	v_fma_f64 v[12:13], v[2:3], v[10:11], -v[12:13]
	s_delay_alu instid0(VALU_DEP_2) | instskip(NEXT) | instid1(VALU_DEP_1)
	v_fmaak_f64 v[20:21], v[18:19], v[20:21], 0x3ec71dee623fde64
	v_fmaak_f64 v[20:21], v[18:19], v[20:21], 0x3efa01997c89e6b0
	s_delay_alu instid0(VALU_DEP_1) | instskip(NEXT) | instid1(VALU_DEP_1)
	v_fmaak_f64 v[20:21], v[18:19], v[20:21], 0x3f2a01a014761f6e
	v_fmaak_f64 v[20:21], v[18:19], v[20:21], 0x3f56c16c1852b7b0
	s_delay_alu instid0(VALU_DEP_1) | instskip(SKIP_1) | instid1(VALU_DEP_2)
	v_fmaak_f64 v[20:21], v[18:19], v[20:21], 0x3f81111111122322
	v_add_f64_e32 v[12:13], 0x3cb55915fceb588a, v[12:13]
	v_fmaak_f64 v[20:21], v[18:19], v[20:21], 0x3fa55555555502a1
	s_delay_alu instid0(VALU_DEP_1) | instskip(NEXT) | instid1(VALU_DEP_1)
	v_fmaak_f64 v[20:21], v[18:19], v[20:21], 0x3fc5555555555511
	v_fmaak_f64 v[20:21], v[18:19], v[20:21], 0x3fe000000000000b
	s_delay_alu instid0(VALU_DEP_1) | instskip(SKIP_1) | instid1(VALU_DEP_1)
	v_fma_f64 v[20:21], v[18:19], v[20:21], 1.0
	v_fma_f64 v[10:11], v[2:3], v[12:13], -v[10:11]
	v_add_f64_e32 v[10:11], 0x3cb7d68e5f04a2d1, v[10:11]
	s_delay_alu instid0(VALU_DEP_1) | instskip(NEXT) | instid1(VALU_DEP_1)
	v_fma_f64 v[12:13], v[2:3], v[10:11], -v[12:13]
	v_add_f64_e32 v[12:13], 0xbce0efcd8bc4d22a, v[12:13]
	s_delay_alu instid0(VALU_DEP_1) | instskip(NEXT) | instid1(VALU_DEP_1)
	;; [unrolled: 3-line block ×18, first 2 shown]
	v_fma_f64 v[10:11], v[2:3], v[12:13], -v[10:11]
	v_add_f64_e32 v[10:11], 0xbf83fda053fcdb4c, v[10:11]
	s_delay_alu instid0(VALU_DEP_1) | instskip(SKIP_1) | instid1(VALU_DEP_2)
	v_fma_f64 v[2:3], v[2:3], v[10:11], -v[12:13]
	v_fma_f64 v[10:11], v[18:19], v[20:21], 1.0
	v_add_f64_e32 v[2:3], 0x3fe8ea18b55b1514, v[2:3]
	s_delay_alu instid0(VALU_DEP_2) | instskip(NEXT) | instid1(VALU_DEP_2)
	v_ldexp_f64 v[16:17], v[10:11], v15
	v_add_f64_e64 v[10:11], v[2:3], -v[12:13]
	s_delay_alu instid0(VALU_DEP_2) | instskip(NEXT) | instid1(VALU_DEP_3)
	v_cndmask_b32_e32 v3, 0x7ff00000, v17, vcc_lo
	v_cndmask_b32_e32 v2, 0, v16, vcc_lo
                                        ; implicit-def: $vgpr12_vgpr13
	s_and_saveexec_b32 s6, s0
	s_delay_alu instid0(SALU_CYCLE_1)
	s_xor_b32 s0, exec_lo, s6
	s_cbranch_execz .LBB8_1641
; %bb.1640:
	v_cmp_gt_f64_e64 s6, 0x10000000, |v[6:7]|
	s_delay_alu instid0(VALU_DEP_4) | instskip(NEXT) | instid1(VALU_DEP_2)
	v_mul_f64_e32 v[10:11], 0.5, v[10:11]
	v_cndmask_b32_e64 v12, 0, 0x100, s6
	s_delay_alu instid0(VALU_DEP_2) | instskip(NEXT) | instid1(VALU_DEP_2)
	v_mul_f64_e32 v[2:3], v[2:3], v[10:11]
	v_ldexp_f64 v[6:7], |v[6:7]|, v12
	s_delay_alu instid0(VALU_DEP_1) | instskip(SKIP_1) | instid1(TRANS32_DEP_1)
	v_rsq_f64_e32 v[12:13], v[6:7]
	v_cmp_class_f64_e64 vcc_lo, v[6:7], 0x260
	v_mul_f64_e32 v[16:17], v[6:7], v[12:13]
	v_mul_f64_e32 v[12:13], 0.5, v[12:13]
	s_delay_alu instid0(VALU_DEP_1) | instskip(NEXT) | instid1(VALU_DEP_1)
	v_fma_f64 v[18:19], -v[12:13], v[16:17], 0.5
	v_fmac_f64_e32 v[16:17], v[16:17], v[18:19]
	v_fmac_f64_e32 v[12:13], v[12:13], v[18:19]
	s_delay_alu instid0(VALU_DEP_2) | instskip(NEXT) | instid1(VALU_DEP_1)
	v_fma_f64 v[18:19], -v[16:17], v[16:17], v[6:7]
	v_fmac_f64_e32 v[16:17], v[18:19], v[12:13]
	s_delay_alu instid0(VALU_DEP_1) | instskip(NEXT) | instid1(VALU_DEP_1)
	v_fma_f64 v[18:19], -v[16:17], v[16:17], v[6:7]
	v_fmac_f64_e32 v[16:17], v[18:19], v[12:13]
	v_cndmask_b32_e64 v12, 0, 0xffffff80, s6
	s_delay_alu instid0(VALU_DEP_1) | instskip(NEXT) | instid1(VALU_DEP_1)
	v_ldexp_f64 v[12:13], v[16:17], v12
	v_dual_cndmask_b32 v7, v13, v7 :: v_dual_cndmask_b32 v6, v12, v6
	s_delay_alu instid0(VALU_DEP_1) | instskip(NEXT) | instid1(VALU_DEP_1)
	v_div_scale_f64 v[10:11], null, v[6:7], v[6:7], v[2:3]
	v_rcp_f64_e32 v[12:13], v[10:11]
	v_nop
	s_delay_alu instid0(TRANS32_DEP_1) | instskip(NEXT) | instid1(VALU_DEP_1)
	v_fma_f64 v[16:17], -v[10:11], v[12:13], 1.0
	v_fmac_f64_e32 v[12:13], v[12:13], v[16:17]
	s_delay_alu instid0(VALU_DEP_1) | instskip(NEXT) | instid1(VALU_DEP_1)
	v_fma_f64 v[16:17], -v[10:11], v[12:13], 1.0
	v_fmac_f64_e32 v[12:13], v[12:13], v[16:17]
	v_div_scale_f64 v[16:17], vcc_lo, v[2:3], v[6:7], v[2:3]
	s_delay_alu instid0(VALU_DEP_1) | instskip(NEXT) | instid1(VALU_DEP_1)
	v_mul_f64_e32 v[18:19], v[16:17], v[12:13]
	v_fma_f64 v[10:11], -v[10:11], v[18:19], v[16:17]
	s_delay_alu instid0(VALU_DEP_1) | instskip(NEXT) | instid1(VALU_DEP_1)
	v_div_fmas_f64 v[10:11], v[10:11], v[12:13], v[18:19]
	v_div_fixup_f64 v[12:13], v[10:11], v[6:7], v[2:3]
                                        ; implicit-def: $vgpr6_vgpr7
                                        ; implicit-def: $vgpr10_vgpr11
                                        ; implicit-def: $vgpr2_vgpr3
.LBB8_1641:
	s_and_not1_saveexec_b32 s0, s0
	s_cbranch_execz .LBB8_1643
; %bb.1642:
	v_cmp_gt_f64_e64 s6, 0x10000000, |v[6:7]|
	s_delay_alu instid0(VALU_DEP_4) | instskip(NEXT) | instid1(VALU_DEP_2)
	v_mul_f64_e32 v[10:11], -0.5, v[10:11]
	v_cndmask_b32_e64 v12, 0, 0x100, s6
	s_delay_alu instid0(VALU_DEP_2) | instskip(NEXT) | instid1(VALU_DEP_2)
	v_mul_f64_e32 v[2:3], v[2:3], v[10:11]
	v_ldexp_f64 v[6:7], |v[6:7]|, v12
	s_delay_alu instid0(VALU_DEP_1) | instskip(SKIP_1) | instid1(TRANS32_DEP_1)
	v_rsq_f64_e32 v[12:13], v[6:7]
	v_cmp_class_f64_e64 vcc_lo, v[6:7], 0x260
	v_mul_f64_e32 v[16:17], v[6:7], v[12:13]
	v_mul_f64_e32 v[12:13], 0.5, v[12:13]
	s_delay_alu instid0(VALU_DEP_1) | instskip(NEXT) | instid1(VALU_DEP_1)
	v_fma_f64 v[18:19], -v[12:13], v[16:17], 0.5
	v_fmac_f64_e32 v[16:17], v[16:17], v[18:19]
	v_fmac_f64_e32 v[12:13], v[12:13], v[18:19]
	s_delay_alu instid0(VALU_DEP_2) | instskip(NEXT) | instid1(VALU_DEP_1)
	v_fma_f64 v[18:19], -v[16:17], v[16:17], v[6:7]
	v_fmac_f64_e32 v[16:17], v[18:19], v[12:13]
	s_delay_alu instid0(VALU_DEP_1) | instskip(NEXT) | instid1(VALU_DEP_1)
	v_fma_f64 v[18:19], -v[16:17], v[16:17], v[6:7]
	v_fmac_f64_e32 v[16:17], v[18:19], v[12:13]
	v_cndmask_b32_e64 v12, 0, 0xffffff80, s6
	s_delay_alu instid0(VALU_DEP_1) | instskip(NEXT) | instid1(VALU_DEP_1)
	v_ldexp_f64 v[12:13], v[16:17], v12
	v_dual_cndmask_b32 v7, v13, v7 :: v_dual_cndmask_b32 v6, v12, v6
	s_delay_alu instid0(VALU_DEP_1) | instskip(NEXT) | instid1(VALU_DEP_1)
	v_div_scale_f64 v[10:11], null, v[6:7], v[6:7], v[2:3]
	v_rcp_f64_e32 v[12:13], v[10:11]
	v_nop
	s_delay_alu instid0(TRANS32_DEP_1) | instskip(NEXT) | instid1(VALU_DEP_1)
	v_fma_f64 v[16:17], -v[10:11], v[12:13], 1.0
	v_fmac_f64_e32 v[12:13], v[12:13], v[16:17]
	s_delay_alu instid0(VALU_DEP_1) | instskip(NEXT) | instid1(VALU_DEP_1)
	v_fma_f64 v[16:17], -v[10:11], v[12:13], 1.0
	v_fmac_f64_e32 v[12:13], v[12:13], v[16:17]
	v_div_scale_f64 v[16:17], vcc_lo, v[2:3], v[6:7], v[2:3]
	s_delay_alu instid0(VALU_DEP_1) | instskip(NEXT) | instid1(VALU_DEP_1)
	v_mul_f64_e32 v[18:19], v[16:17], v[12:13]
	v_fma_f64 v[10:11], -v[10:11], v[18:19], v[16:17]
	s_delay_alu instid0(VALU_DEP_1) | instskip(NEXT) | instid1(VALU_DEP_1)
	v_div_fmas_f64 v[10:11], v[10:11], v[12:13], v[18:19]
	v_div_fixup_f64 v[12:13], v[10:11], v[6:7], v[2:3]
.LBB8_1643:
	s_or_b32 exec_lo, exec_lo, s0
.LBB8_1644:
	s_delay_alu instid0(SALU_CYCLE_1) | instskip(SKIP_2) | instid1(SALU_CYCLE_1)
	s_or_b32 exec_lo, exec_lo, s3
	v_mul_lo_u32 v6, s2, v14
	s_and_b32 s12, s8, 0xff
	s_cmp_lt_i32 s12, 11
	s_delay_alu instid0(VALU_DEP_1) | instskip(NEXT) | instid1(VALU_DEP_1)
	v_ashrrev_i32_e32 v7, 31, v6
	v_add_nc_u64_e32 v[10:11], s[4:5], v[6:7]
	s_cbranch_scc1 .LBB8_1767
; %bb.1645:
	s_and_b32 s3, 0xffff, s12
	s_mov_b32 s8, -1
	s_mov_b32 s6, 0
	s_cmp_gt_i32 s3, 25
	s_mov_b32 s7, 0
	s_mov_b32 s0, 0
	s_cbranch_scc0 .LBB8_1678
; %bb.1646:
	s_cmp_gt_i32 s3, 28
	s_cbranch_scc0 .LBB8_1661
; %bb.1647:
	s_cmp_gt_i32 s3, 43
	;; [unrolled: 3-line block ×3, first 2 shown]
	s_cbranch_scc0 .LBB8_1651
; %bb.1649:
	s_mov_b32 s0, -1
	s_mov_b32 s8, 0
	s_cmp_eq_u32 s3, 46
	s_cbranch_scc0 .LBB8_1651
; %bb.1650:
	v_cvt_f32_f64_e32 v2, v[0:1]
	s_mov_b32 s0, 0
	s_mov_b32 s7, -1
	s_delay_alu instid0(VALU_DEP_1) | instskip(SKIP_1) | instid1(VALU_DEP_2)
	v_bfe_u32 v3, v2, 16, 1
	v_cmp_o_f32_e32 vcc_lo, v2, v2
	v_add3_u32 v3, v2, v3, 0x7fff
	s_delay_alu instid0(VALU_DEP_1) | instskip(NEXT) | instid1(VALU_DEP_1)
	v_lshrrev_b32_e32 v3, 16, v3
	v_cndmask_b32_e32 v2, 0x7fc0, v3, vcc_lo
	global_store_b32 v[10:11], v2, off
.LBB8_1651:
	s_and_b32 vcc_lo, exec_lo, s8
	s_cbranch_vccz .LBB8_1656
; %bb.1652:
	s_cmp_eq_u32 s3, 44
	s_mov_b32 s0, -1
	s_cbranch_scc0 .LBB8_1656
; %bb.1653:
	s_wait_xcnt 0x0
	v_cvt_f32_f64_e32 v2, v[0:1]
	v_mov_b32_e32 v3, 0xff
	s_mov_b32 s7, exec_lo
	s_delay_alu instid0(VALU_DEP_2) | instskip(NEXT) | instid1(VALU_DEP_1)
	v_bfe_u32 v7, v2, 23, 8
	v_cmpx_ne_u32_e32 0xff, v7
	s_cbranch_execz .LBB8_1655
; %bb.1654:
	v_and_b32_e32 v3, 0x400000, v2
	v_and_or_b32 v7, 0x3fffff, v2, v7
	v_lshrrev_b32_e32 v2, 23, v2
	s_delay_alu instid0(VALU_DEP_3) | instskip(NEXT) | instid1(VALU_DEP_3)
	v_cmp_ne_u32_e32 vcc_lo, 0, v3
	v_cmp_ne_u32_e64 s0, 0, v7
	s_and_b32 s0, vcc_lo, s0
	s_delay_alu instid0(SALU_CYCLE_1) | instskip(NEXT) | instid1(VALU_DEP_1)
	v_cndmask_b32_e64 v3, 0, 1, s0
	v_add_nc_u32_e32 v3, v2, v3
.LBB8_1655:
	s_or_b32 exec_lo, exec_lo, s7
	s_mov_b32 s0, 0
	s_mov_b32 s7, -1
	global_store_b8 v[10:11], v3, off
.LBB8_1656:
	s_mov_b32 s8, 0
.LBB8_1657:
	s_delay_alu instid0(SALU_CYCLE_1)
	s_and_b32 vcc_lo, exec_lo, s8
	s_cbranch_vccz .LBB8_1660
; %bb.1658:
	s_cmp_eq_u32 s3, 29
	s_mov_b32 s0, -1
	s_cbranch_scc0 .LBB8_1660
; %bb.1659:
	s_wait_xcnt 0x0
	v_trunc_f64_e32 v[2:3], v[0:1]
	s_mov_b32 s0, 0
	s_mov_b32 s7, -1
	s_delay_alu instid0(VALU_DEP_1) | instskip(NEXT) | instid1(VALU_DEP_1)
	v_ldexp_f64 v[14:15], v[2:3], 0xffffffe0
	v_floor_f64_e32 v[14:15], v[14:15]
	s_delay_alu instid0(VALU_DEP_1) | instskip(SKIP_1) | instid1(VALU_DEP_2)
	v_fmamk_f64 v[2:3], v[14:15], 0xc1f00000, v[2:3]
	v_cvt_u32_f64_e32 v15, v[14:15]
	v_cvt_u32_f64_e32 v14, v[2:3]
	global_store_b64 v[10:11], v[14:15], off
.LBB8_1660:
	s_mov_b32 s8, 0
.LBB8_1661:
	s_delay_alu instid0(SALU_CYCLE_1)
	s_and_b32 vcc_lo, exec_lo, s8
	s_cbranch_vccz .LBB8_1677
; %bb.1662:
	s_cmp_lt_i32 s3, 27
	s_mov_b32 s7, -1
	s_cbranch_scc1 .LBB8_1668
; %bb.1663:
	s_wait_xcnt 0x0
	v_cvt_u32_f64_e32 v2, v[0:1]
	s_cmp_gt_i32 s3, 27
	s_cbranch_scc0 .LBB8_1665
; %bb.1664:
	s_mov_b32 s7, 0
	global_store_b32 v[10:11], v2, off
.LBB8_1665:
	s_and_not1_b32 vcc_lo, exec_lo, s7
	s_cbranch_vccnz .LBB8_1667
; %bb.1666:
	global_store_b16 v[10:11], v2, off
.LBB8_1667:
	s_mov_b32 s7, 0
.LBB8_1668:
	s_delay_alu instid0(SALU_CYCLE_1)
	s_and_not1_b32 vcc_lo, exec_lo, s7
	s_cbranch_vccnz .LBB8_1676
; %bb.1669:
	s_wait_xcnt 0x0
	v_cvt_f32_f64_e32 v2, v[0:1]
	v_mov_b32_e32 v7, 0x80
	s_mov_b32 s7, exec_lo
	s_delay_alu instid0(VALU_DEP_2) | instskip(NEXT) | instid1(VALU_DEP_1)
	v_and_b32_e32 v3, 0x7fffffff, v2
	v_cmpx_gt_u32_e32 0x43800000, v3
	s_cbranch_execz .LBB8_1675
; %bb.1670:
	v_cmp_lt_u32_e32 vcc_lo, 0x3bffffff, v3
	s_mov_b32 s8, 0
                                        ; implicit-def: $vgpr3
	s_and_saveexec_b32 s9, vcc_lo
	s_delay_alu instid0(SALU_CYCLE_1)
	s_xor_b32 s9, exec_lo, s9
	s_cbranch_execz .LBB8_2125
; %bb.1671:
	v_bfe_u32 v3, v2, 20, 1
	s_mov_b32 s8, exec_lo
	s_delay_alu instid0(VALU_DEP_1) | instskip(NEXT) | instid1(VALU_DEP_1)
	v_add3_u32 v3, v2, v3, 0x487ffff
	v_lshrrev_b32_e32 v3, 20, v3
	s_and_not1_saveexec_b32 s9, s9
	s_cbranch_execnz .LBB8_2126
.LBB8_1672:
	s_or_b32 exec_lo, exec_lo, s9
	v_mov_b32_e32 v7, 0
	s_and_saveexec_b32 s9, s8
.LBB8_1673:
	v_lshrrev_b32_e32 v2, 24, v2
	s_delay_alu instid0(VALU_DEP_1)
	v_and_or_b32 v7, 0x80, v2, v3
.LBB8_1674:
	s_or_b32 exec_lo, exec_lo, s9
.LBB8_1675:
	s_delay_alu instid0(SALU_CYCLE_1)
	s_or_b32 exec_lo, exec_lo, s7
	global_store_b8 v[10:11], v7, off
.LBB8_1676:
	s_mov_b32 s7, -1
.LBB8_1677:
	s_mov_b32 s8, 0
.LBB8_1678:
	s_delay_alu instid0(SALU_CYCLE_1)
	s_and_b32 vcc_lo, exec_lo, s8
	s_cbranch_vccz .LBB8_1718
; %bb.1679:
	s_cmp_gt_i32 s3, 22
	s_mov_b32 s6, -1
	s_cbranch_scc0 .LBB8_1711
; %bb.1680:
	s_cmp_lt_i32 s3, 24
	s_cbranch_scc1 .LBB8_1700
; %bb.1681:
	s_cmp_gt_i32 s3, 24
	s_cbranch_scc0 .LBB8_1689
; %bb.1682:
	s_wait_xcnt 0x0
	v_cvt_f32_f64_e32 v2, v[0:1]
	v_mov_b32_e32 v7, 0x80
	s_mov_b32 s6, exec_lo
	s_delay_alu instid0(VALU_DEP_2) | instskip(NEXT) | instid1(VALU_DEP_1)
	v_and_b32_e32 v3, 0x7fffffff, v2
	v_cmpx_gt_u32_e32 0x47800000, v3
	s_cbranch_execz .LBB8_1688
; %bb.1683:
	v_cmp_lt_u32_e32 vcc_lo, 0x37ffffff, v3
	s_mov_b32 s7, 0
                                        ; implicit-def: $vgpr3
	s_and_saveexec_b32 s8, vcc_lo
	s_delay_alu instid0(SALU_CYCLE_1)
	s_xor_b32 s8, exec_lo, s8
	s_cbranch_execz .LBB8_2128
; %bb.1684:
	v_bfe_u32 v3, v2, 21, 1
	s_mov_b32 s7, exec_lo
	s_delay_alu instid0(VALU_DEP_1) | instskip(NEXT) | instid1(VALU_DEP_1)
	v_add3_u32 v3, v2, v3, 0x88fffff
	v_lshrrev_b32_e32 v3, 21, v3
	s_and_not1_saveexec_b32 s8, s8
	s_cbranch_execnz .LBB8_2129
.LBB8_1685:
	s_or_b32 exec_lo, exec_lo, s8
	v_mov_b32_e32 v7, 0
	s_and_saveexec_b32 s8, s7
.LBB8_1686:
	v_lshrrev_b32_e32 v2, 24, v2
	s_delay_alu instid0(VALU_DEP_1)
	v_and_or_b32 v7, 0x80, v2, v3
.LBB8_1687:
	s_or_b32 exec_lo, exec_lo, s8
.LBB8_1688:
	s_delay_alu instid0(SALU_CYCLE_1)
	s_or_b32 exec_lo, exec_lo, s6
	s_mov_b32 s6, 0
	global_store_b8 v[10:11], v7, off
.LBB8_1689:
	s_and_b32 vcc_lo, exec_lo, s6
	s_cbranch_vccz .LBB8_1699
; %bb.1690:
	s_wait_xcnt 0x0
	v_cvt_f32_f64_e32 v2, v[0:1]
	s_mov_b32 s6, exec_lo
                                        ; implicit-def: $vgpr3
	s_delay_alu instid0(VALU_DEP_1) | instskip(NEXT) | instid1(VALU_DEP_1)
	v_and_b32_e32 v7, 0x7fffffff, v2
	v_cmpx_gt_u32_e32 0x43f00000, v7
	s_xor_b32 s6, exec_lo, s6
	s_cbranch_execz .LBB8_1696
; %bb.1691:
	s_mov_b32 s7, exec_lo
                                        ; implicit-def: $vgpr3
	v_cmpx_lt_u32_e32 0x3c7fffff, v7
	s_xor_b32 s7, exec_lo, s7
; %bb.1692:
	v_bfe_u32 v3, v2, 20, 1
	s_delay_alu instid0(VALU_DEP_1) | instskip(NEXT) | instid1(VALU_DEP_1)
	v_add3_u32 v3, v2, v3, 0x407ffff
	v_and_b32_e32 v7, 0xff00000, v3
	v_lshrrev_b32_e32 v3, 20, v3
	s_delay_alu instid0(VALU_DEP_2) | instskip(NEXT) | instid1(VALU_DEP_2)
	v_cmp_ne_u32_e32 vcc_lo, 0x7f00000, v7
	v_cndmask_b32_e32 v3, 0x7e, v3, vcc_lo
; %bb.1693:
	s_and_not1_saveexec_b32 s7, s7
; %bb.1694:
	v_add_f32_e64 v3, 0x46800000, |v2|
; %bb.1695:
	s_or_b32 exec_lo, exec_lo, s7
                                        ; implicit-def: $vgpr7
.LBB8_1696:
	s_and_not1_saveexec_b32 s6, s6
; %bb.1697:
	v_mov_b32_e32 v3, 0x7f
	v_cmp_lt_u32_e32 vcc_lo, 0x7f800000, v7
	s_delay_alu instid0(VALU_DEP_2)
	v_cndmask_b32_e32 v3, 0x7e, v3, vcc_lo
; %bb.1698:
	s_or_b32 exec_lo, exec_lo, s6
	v_lshrrev_b32_e32 v2, 24, v2
	s_delay_alu instid0(VALU_DEP_1)
	v_and_or_b32 v2, 0x80, v2, v3
	global_store_b8 v[10:11], v2, off
.LBB8_1699:
	s_mov_b32 s6, 0
.LBB8_1700:
	s_delay_alu instid0(SALU_CYCLE_1)
	s_and_not1_b32 vcc_lo, exec_lo, s6
	s_cbranch_vccnz .LBB8_1710
; %bb.1701:
	s_wait_xcnt 0x0
	v_cvt_f32_f64_e32 v2, v[0:1]
	s_mov_b32 s6, exec_lo
                                        ; implicit-def: $vgpr3
	s_delay_alu instid0(VALU_DEP_1) | instskip(NEXT) | instid1(VALU_DEP_1)
	v_and_b32_e32 v7, 0x7fffffff, v2
	v_cmpx_gt_u32_e32 0x47800000, v7
	s_xor_b32 s6, exec_lo, s6
	s_cbranch_execz .LBB8_1707
; %bb.1702:
	s_mov_b32 s7, exec_lo
                                        ; implicit-def: $vgpr3
	v_cmpx_lt_u32_e32 0x387fffff, v7
	s_xor_b32 s7, exec_lo, s7
; %bb.1703:
	v_bfe_u32 v3, v2, 21, 1
	s_delay_alu instid0(VALU_DEP_1) | instskip(NEXT) | instid1(VALU_DEP_1)
	v_add3_u32 v3, v2, v3, 0x80fffff
	v_lshrrev_b32_e32 v3, 21, v3
; %bb.1704:
	s_and_not1_saveexec_b32 s7, s7
; %bb.1705:
	v_add_f32_e64 v3, 0x43000000, |v2|
; %bb.1706:
	s_or_b32 exec_lo, exec_lo, s7
                                        ; implicit-def: $vgpr7
.LBB8_1707:
	s_and_not1_saveexec_b32 s6, s6
; %bb.1708:
	v_mov_b32_e32 v3, 0x7f
	v_cmp_lt_u32_e32 vcc_lo, 0x7f800000, v7
	s_delay_alu instid0(VALU_DEP_2)
	v_cndmask_b32_e32 v3, 0x7c, v3, vcc_lo
; %bb.1709:
	s_or_b32 exec_lo, exec_lo, s6
	v_lshrrev_b32_e32 v2, 24, v2
	s_delay_alu instid0(VALU_DEP_1)
	v_and_or_b32 v2, 0x80, v2, v3
	global_store_b8 v[10:11], v2, off
.LBB8_1710:
	s_mov_b32 s6, 0
	s_mov_b32 s7, -1
.LBB8_1711:
	s_and_not1_b32 vcc_lo, exec_lo, s6
	s_mov_b32 s6, 0
	s_cbranch_vccnz .LBB8_1718
; %bb.1712:
	s_cmp_gt_i32 s3, 14
	s_mov_b32 s6, -1
	s_cbranch_scc0 .LBB8_1716
; %bb.1713:
	s_cmp_eq_u32 s3, 15
	s_mov_b32 s0, -1
	s_cbranch_scc0 .LBB8_1715
; %bb.1714:
	s_wait_xcnt 0x0
	v_cvt_f32_f64_e32 v2, v[0:1]
	s_mov_b32 s0, 0
	s_mov_b32 s7, -1
	s_delay_alu instid0(VALU_DEP_1) | instskip(SKIP_1) | instid1(VALU_DEP_2)
	v_bfe_u32 v3, v2, 16, 1
	v_cmp_o_f32_e32 vcc_lo, v2, v2
	v_add3_u32 v3, v2, v3, 0x7fff
	s_delay_alu instid0(VALU_DEP_1) | instskip(NEXT) | instid1(VALU_DEP_1)
	v_lshrrev_b32_e32 v3, 16, v3
	v_cndmask_b32_e32 v2, 0x7fc0, v3, vcc_lo
	global_store_b16 v[10:11], v2, off
.LBB8_1715:
	s_mov_b32 s6, 0
.LBB8_1716:
	s_delay_alu instid0(SALU_CYCLE_1)
	s_and_b32 vcc_lo, exec_lo, s6
	s_mov_b32 s6, 0
	s_cbranch_vccz .LBB8_1718
; %bb.1717:
	s_cmp_lg_u32 s3, 11
	s_mov_b32 s6, -1
	s_cselect_b32 s0, -1, 0
.LBB8_1718:
	s_delay_alu instid0(SALU_CYCLE_1)
	s_and_b32 vcc_lo, exec_lo, s0
	s_cbranch_vccnz .LBB8_2127
; %bb.1719:
	s_and_not1_b32 vcc_lo, exec_lo, s6
	s_cbranch_vccnz .LBB8_1721
.LBB8_1720:
	v_cmp_neq_f64_e32 vcc_lo, 0, v[0:1]
	s_mov_b32 s7, -1
	s_wait_xcnt 0x0
	v_cndmask_b32_e64 v2, 0, 1, vcc_lo
	global_store_b8 v[10:11], v2, off
.LBB8_1721:
	s_mov_b32 s0, 0
	s_branch .LBB8_1768
.LBB8_1722:
	s_mov_b32 s0, 0
	s_mov_b32 s3, 0
                                        ; implicit-def: $sgpr12
                                        ; implicit-def: $vgpr0_vgpr1
                                        ; implicit-def: $vgpr12_vgpr13
.LBB8_1723:
	s_and_not1_b32 s2, s11, exec_lo
	s_and_b32 s4, s1, exec_lo
	s_and_b32 s0, s0, exec_lo
	;; [unrolled: 1-line block ×3, first 2 shown]
	s_or_b32 s11, s2, s4
.LBB8_1724:
	s_wait_xcnt 0x0
	s_or_b32 exec_lo, exec_lo, s10
	s_and_saveexec_b32 s2, s11
	s_cbranch_execz .LBB8_1727
; %bb.1725:
	; divergent unreachable
	s_or_b32 exec_lo, exec_lo, s2
	s_and_saveexec_b32 s2, s1
	s_delay_alu instid0(SALU_CYCLE_1)
	s_xor_b32 s1, exec_lo, s2
	s_cbranch_execnz .LBB8_1728
.LBB8_1726:
	s_or_b32 exec_lo, exec_lo, s1
	s_and_saveexec_b32 s1, s0
	s_cbranch_execnz .LBB8_1729
	s_branch .LBB8_1766
.LBB8_1727:
	s_or_b32 exec_lo, exec_lo, s2
	s_and_saveexec_b32 s2, s1
	s_delay_alu instid0(SALU_CYCLE_1)
	s_xor_b32 s1, exec_lo, s2
	s_cbranch_execz .LBB8_1726
.LBB8_1728:
	s_delay_alu instid0(VALU_DEP_4)
	v_cmp_neq_f64_e32 vcc_lo, 0, v[12:13]
	s_wait_loadcnt 0x0
	v_cndmask_b32_e64 v2, 0, 1, vcc_lo
	global_store_b8 v[0:1], v2, off
	s_wait_xcnt 0x0
	s_or_b32 exec_lo, exec_lo, s1
	s_and_saveexec_b32 s1, s0
	s_cbranch_execz .LBB8_1766
.LBB8_1729:
	s_sext_i32_i16 s1, s12
	s_mov_b32 s0, -1
	s_cmp_lt_i32 s1, 5
	s_cbranch_scc1 .LBB8_1750
; %bb.1730:
	s_cmp_lt_i32 s1, 8
	s_cbranch_scc1 .LBB8_1740
; %bb.1731:
	;; [unrolled: 3-line block ×3, first 2 shown]
	s_cmp_gt_i32 s1, 9
	s_cbranch_scc0 .LBB8_1734
; %bb.1733:
	v_mov_b32_e32 v14, 0
	s_mov_b32 s0, 0
	s_delay_alu instid0(VALU_DEP_1)
	v_mov_b32_e32 v15, v14
	global_store_b128 v[0:1], v[12:15], off
.LBB8_1734:
	s_and_not1_b32 vcc_lo, exec_lo, s0
	s_cbranch_vccnz .LBB8_1736
; %bb.1735:
	s_wait_loadcnt 0x0
	v_cvt_f32_f64_e32 v2, v[12:13]
	v_mov_b32_e32 v3, 0
	global_store_b64 v[0:1], v[2:3], off
.LBB8_1736:
	s_mov_b32 s0, 0
.LBB8_1737:
	s_delay_alu instid0(SALU_CYCLE_1)
	s_and_not1_b32 vcc_lo, exec_lo, s0
	s_cbranch_vccnz .LBB8_1739
; %bb.1738:
	s_wait_loadcnt 0x0
	v_and_or_b32 v2, 0x1ff, v13, v12
	v_lshrrev_b32_e32 v3, 8, v13
	v_bfe_u32 v4, v13, 20, 11
	s_delay_alu instid0(VALU_DEP_3) | instskip(NEXT) | instid1(VALU_DEP_2)
	v_cmp_ne_u32_e32 vcc_lo, 0, v2
	v_sub_nc_u32_e32 v5, 0x3f1, v4
	v_add_nc_u32_e32 v4, 0xfffffc10, v4
	v_cndmask_b32_e64 v2, 0, 1, vcc_lo
	s_delay_alu instid0(VALU_DEP_1) | instskip(NEXT) | instid1(VALU_DEP_4)
	v_and_or_b32 v2, 0xffe, v3, v2
	v_med3_i32 v3, v5, 0, 13
	s_delay_alu instid0(VALU_DEP_2) | instskip(NEXT) | instid1(VALU_DEP_1)
	v_or_b32_e32 v5, 0x1000, v2
	v_lshrrev_b32_e32 v6, v3, v5
	s_delay_alu instid0(VALU_DEP_1) | instskip(NEXT) | instid1(VALU_DEP_1)
	v_lshlrev_b32_e32 v3, v3, v6
	v_cmp_ne_u32_e32 vcc_lo, v3, v5
	v_lshl_or_b32 v5, v4, 12, v2
	v_cndmask_b32_e64 v3, 0, 1, vcc_lo
	v_cmp_gt_i32_e32 vcc_lo, 1, v4
	s_delay_alu instid0(VALU_DEP_2) | instskip(NEXT) | instid1(VALU_DEP_1)
	v_or_b32_e32 v3, v6, v3
	v_cndmask_b32_e32 v3, v5, v3, vcc_lo
	s_delay_alu instid0(VALU_DEP_1) | instskip(NEXT) | instid1(VALU_DEP_1)
	v_dual_lshrrev_b32 v3, 2, v3 :: v_dual_bitop2_b32 v5, 7, v3 bitop3:0x40
	v_cmp_lt_i32_e32 vcc_lo, 5, v5
	v_cndmask_b32_e64 v6, 0, 1, vcc_lo
	v_cmp_eq_u32_e32 vcc_lo, 3, v5
	v_cndmask_b32_e64 v5, 0, 1, vcc_lo
	v_cmp_ne_u32_e32 vcc_lo, 0, v2
	s_delay_alu instid0(VALU_DEP_2) | instskip(NEXT) | instid1(VALU_DEP_1)
	v_or_b32_e32 v5, v5, v6
	v_dual_mov_b32 v6, 0x7e00 :: v_dual_add_nc_u32 v3, v3, v5
	s_delay_alu instid0(VALU_DEP_1) | instskip(SKIP_2) | instid1(VALU_DEP_4)
	v_cndmask_b32_e32 v2, 0x7c00, v6, vcc_lo
	v_cmp_gt_i32_e32 vcc_lo, 31, v4
	v_lshrrev_b32_e32 v5, 16, v13
	v_cndmask_b32_e32 v3, 0x7c00, v3, vcc_lo
	v_cmp_eq_u32_e32 vcc_lo, 0x40f, v4
	s_delay_alu instid0(VALU_DEP_2) | instskip(NEXT) | instid1(VALU_DEP_4)
	v_cndmask_b32_e32 v2, v3, v2, vcc_lo
	v_and_b32_e32 v3, 0x8000, v5
	s_delay_alu instid0(VALU_DEP_1)
	v_bitop3_b32 v2, v3, 0xffff, v2 bitop3:0xc8
	global_store_b32 v[0:1], v2, off
.LBB8_1739:
	s_mov_b32 s0, 0
.LBB8_1740:
	s_delay_alu instid0(SALU_CYCLE_1)
	s_and_not1_b32 vcc_lo, exec_lo, s0
	s_cbranch_vccnz .LBB8_1749
; %bb.1741:
	s_sext_i32_i16 s1, s12
	s_mov_b32 s0, -1
	s_cmp_lt_i32 s1, 6
	s_cbranch_scc1 .LBB8_1747
; %bb.1742:
	s_cmp_gt_i32 s1, 6
	s_cbranch_scc0 .LBB8_1744
; %bb.1743:
	s_mov_b32 s0, 0
	global_store_b64 v[0:1], v[12:13], off
.LBB8_1744:
	s_and_not1_b32 vcc_lo, exec_lo, s0
	s_cbranch_vccnz .LBB8_1746
; %bb.1745:
	s_wait_loadcnt 0x0
	v_cvt_f32_f64_e32 v2, v[12:13]
	global_store_b32 v[0:1], v2, off
.LBB8_1746:
	s_mov_b32 s0, 0
.LBB8_1747:
	s_delay_alu instid0(SALU_CYCLE_1)
	s_and_not1_b32 vcc_lo, exec_lo, s0
	s_cbranch_vccnz .LBB8_1749
; %bb.1748:
	s_wait_loadcnt 0x0
	v_and_or_b32 v2, 0x1ff, v13, v12
	v_lshrrev_b32_e32 v3, 8, v13
	v_bfe_u32 v4, v13, 20, 11
	s_delay_alu instid0(VALU_DEP_3) | instskip(NEXT) | instid1(VALU_DEP_2)
	v_cmp_ne_u32_e32 vcc_lo, 0, v2
	v_sub_nc_u32_e32 v5, 0x3f1, v4
	v_add_nc_u32_e32 v4, 0xfffffc10, v4
	v_cndmask_b32_e64 v2, 0, 1, vcc_lo
	s_delay_alu instid0(VALU_DEP_1) | instskip(NEXT) | instid1(VALU_DEP_4)
	v_and_or_b32 v2, 0xffe, v3, v2
	v_med3_i32 v3, v5, 0, 13
	s_delay_alu instid0(VALU_DEP_2) | instskip(NEXT) | instid1(VALU_DEP_1)
	v_or_b32_e32 v5, 0x1000, v2
	v_lshrrev_b32_e32 v6, v3, v5
	s_delay_alu instid0(VALU_DEP_1) | instskip(NEXT) | instid1(VALU_DEP_1)
	v_lshlrev_b32_e32 v3, v3, v6
	v_cmp_ne_u32_e32 vcc_lo, v3, v5
	v_lshl_or_b32 v5, v4, 12, v2
	v_cndmask_b32_e64 v3, 0, 1, vcc_lo
	v_cmp_gt_i32_e32 vcc_lo, 1, v4
	s_delay_alu instid0(VALU_DEP_2) | instskip(NEXT) | instid1(VALU_DEP_1)
	v_or_b32_e32 v3, v6, v3
	v_cndmask_b32_e32 v3, v5, v3, vcc_lo
	s_delay_alu instid0(VALU_DEP_1) | instskip(NEXT) | instid1(VALU_DEP_1)
	v_dual_lshrrev_b32 v3, 2, v3 :: v_dual_bitop2_b32 v5, 7, v3 bitop3:0x40
	v_cmp_lt_i32_e32 vcc_lo, 5, v5
	v_cndmask_b32_e64 v6, 0, 1, vcc_lo
	v_cmp_eq_u32_e32 vcc_lo, 3, v5
	v_cndmask_b32_e64 v5, 0, 1, vcc_lo
	v_cmp_ne_u32_e32 vcc_lo, 0, v2
	s_delay_alu instid0(VALU_DEP_2) | instskip(NEXT) | instid1(VALU_DEP_1)
	v_or_b32_e32 v5, v5, v6
	v_dual_mov_b32 v6, 0x7e00 :: v_dual_add_nc_u32 v3, v3, v5
	s_delay_alu instid0(VALU_DEP_1) | instskip(SKIP_1) | instid1(VALU_DEP_3)
	v_cndmask_b32_e32 v2, 0x7c00, v6, vcc_lo
	v_cmp_gt_i32_e32 vcc_lo, 31, v4
	v_cndmask_b32_e32 v3, 0x7c00, v3, vcc_lo
	v_cmp_eq_u32_e32 vcc_lo, 0x40f, v4
	s_delay_alu instid0(VALU_DEP_2) | instskip(NEXT) | instid1(VALU_DEP_1)
	v_dual_cndmask_b32 v2, v3, v2 :: v_dual_lshrrev_b32 v3, 16, v13
	v_and_or_b32 v2, 0x8000, v3, v2
	global_store_b16 v[0:1], v2, off
.LBB8_1749:
	s_mov_b32 s0, 0
.LBB8_1750:
	s_delay_alu instid0(SALU_CYCLE_1)
	s_and_not1_b32 vcc_lo, exec_lo, s0
	s_cbranch_vccnz .LBB8_1766
; %bb.1751:
	s_sext_i32_i16 s1, s12
	s_mov_b32 s0, -1
	s_cmp_lt_i32 s1, 2
	s_cbranch_scc1 .LBB8_1761
; %bb.1752:
	s_cmp_lt_i32 s1, 3
	s_cbranch_scc1 .LBB8_1758
; %bb.1753:
	s_cmp_gt_i32 s1, 3
	s_cbranch_scc0 .LBB8_1755
; %bb.1754:
	s_wait_loadcnt 0x0
	v_trunc_f64_e32 v[2:3], v[12:13]
	s_mov_b32 s0, 0
	s_delay_alu instid0(VALU_DEP_1) | instskip(NEXT) | instid1(VALU_DEP_1)
	v_ldexp_f64 v[4:5], v[2:3], 0xffffffe0
	v_floor_f64_e32 v[4:5], v[4:5]
	s_delay_alu instid0(VALU_DEP_1) | instskip(SKIP_1) | instid1(VALU_DEP_2)
	v_fmamk_f64 v[2:3], v[4:5], 0xc1f00000, v[2:3]
	v_cvt_i32_f64_e32 v5, v[4:5]
	v_cvt_u32_f64_e32 v4, v[2:3]
	global_store_b64 v[0:1], v[4:5], off
.LBB8_1755:
	s_and_not1_b32 vcc_lo, exec_lo, s0
	s_cbranch_vccnz .LBB8_1757
; %bb.1756:
	s_wait_loadcnt 0x0
	v_cvt_i32_f64_e32 v2, v[12:13]
	global_store_b32 v[0:1], v2, off
.LBB8_1757:
	s_mov_b32 s0, 0
.LBB8_1758:
	s_delay_alu instid0(SALU_CYCLE_1)
	s_and_not1_b32 vcc_lo, exec_lo, s0
	s_cbranch_vccnz .LBB8_1760
; %bb.1759:
	s_wait_loadcnt 0x0
	v_cvt_i32_f64_e32 v2, v[12:13]
	global_store_b16 v[0:1], v2, off
.LBB8_1760:
	s_mov_b32 s0, 0
.LBB8_1761:
	s_delay_alu instid0(SALU_CYCLE_1)
	s_and_not1_b32 vcc_lo, exec_lo, s0
	s_cbranch_vccnz .LBB8_1766
; %bb.1762:
	s_sext_i32_i16 s0, s12
	s_delay_alu instid0(SALU_CYCLE_1)
	s_cmp_gt_i32 s0, 0
	s_mov_b32 s0, -1
	s_cbranch_scc0 .LBB8_1764
; %bb.1763:
	s_wait_loadcnt 0x0
	v_cvt_i32_f64_e32 v2, v[12:13]
	s_mov_b32 s0, 0
	global_store_b8 v[0:1], v2, off
.LBB8_1764:
	s_and_not1_b32 vcc_lo, exec_lo, s0
	s_cbranch_vccnz .LBB8_1766
; %bb.1765:
	s_wait_loadcnt 0x0
	v_trunc_f64_e32 v[2:3], v[12:13]
	s_delay_alu instid0(VALU_DEP_1) | instskip(NEXT) | instid1(VALU_DEP_1)
	v_ldexp_f64 v[4:5], v[2:3], 0xffffffe0
	v_floor_f64_e32 v[4:5], v[4:5]
	s_delay_alu instid0(VALU_DEP_1) | instskip(NEXT) | instid1(VALU_DEP_1)
	v_fmamk_f64 v[2:3], v[4:5], 0xc1f00000, v[2:3]
	v_cvt_u32_f64_e32 v2, v[2:3]
	global_store_b8 v[0:1], v2, off
	s_endpgm
.LBB8_1766:
	s_endpgm
.LBB8_1767:
	s_mov_b32 s0, -1
	s_mov_b32 s7, 0
.LBB8_1768:
	s_and_b32 vcc_lo, exec_lo, s0
	s_cbranch_vccz .LBB8_1807
; %bb.1769:
	s_and_b32 s0, 0xffff, s12
	s_mov_b32 s3, -1
	s_cmp_lt_i32 s0, 5
	s_cbranch_scc1 .LBB8_1790
; %bb.1770:
	s_cmp_lt_i32 s0, 8
	s_cbranch_scc1 .LBB8_1780
; %bb.1771:
	;; [unrolled: 3-line block ×3, first 2 shown]
	s_cmp_gt_i32 s0, 9
	s_cbranch_scc0 .LBB8_1774
; %bb.1773:
	s_wait_xcnt 0x0
	v_mov_b32_e32 v2, 0
	s_mov_b32 s3, 0
	s_delay_alu instid0(VALU_DEP_1)
	v_mov_b32_e32 v3, v2
	global_store_b128 v[10:11], v[0:3], off
.LBB8_1774:
	s_and_not1_b32 vcc_lo, exec_lo, s3
	s_cbranch_vccnz .LBB8_1776
; %bb.1775:
	s_wait_xcnt 0x0
	v_cvt_f32_f64_e32 v2, v[0:1]
	v_mov_b32_e32 v3, 0
	global_store_b64 v[10:11], v[2:3], off
.LBB8_1776:
	s_mov_b32 s3, 0
.LBB8_1777:
	s_delay_alu instid0(SALU_CYCLE_1)
	s_and_not1_b32 vcc_lo, exec_lo, s3
	s_cbranch_vccnz .LBB8_1779
; %bb.1778:
	s_wait_xcnt 0x0
	v_and_or_b32 v2, 0x1ff, v1, v0
	v_lshrrev_b32_e32 v3, 8, v1
	v_bfe_u32 v7, v1, 20, 11
	s_delay_alu instid0(VALU_DEP_3) | instskip(NEXT) | instid1(VALU_DEP_2)
	v_cmp_ne_u32_e32 vcc_lo, 0, v2
	v_sub_nc_u32_e32 v14, 0x3f1, v7
	v_add_nc_u32_e32 v7, 0xfffffc10, v7
	v_cndmask_b32_e64 v2, 0, 1, vcc_lo
	s_delay_alu instid0(VALU_DEP_1) | instskip(NEXT) | instid1(VALU_DEP_4)
	v_and_or_b32 v2, 0xffe, v3, v2
	v_med3_i32 v3, v14, 0, 13
	s_delay_alu instid0(VALU_DEP_2) | instskip(NEXT) | instid1(VALU_DEP_1)
	v_or_b32_e32 v14, 0x1000, v2
	v_lshrrev_b32_e32 v15, v3, v14
	s_delay_alu instid0(VALU_DEP_1) | instskip(NEXT) | instid1(VALU_DEP_1)
	v_lshlrev_b32_e32 v3, v3, v15
	v_cmp_ne_u32_e32 vcc_lo, v3, v14
	v_lshl_or_b32 v14, v7, 12, v2
	v_cndmask_b32_e64 v3, 0, 1, vcc_lo
	v_cmp_gt_i32_e32 vcc_lo, 1, v7
	s_delay_alu instid0(VALU_DEP_2) | instskip(NEXT) | instid1(VALU_DEP_1)
	v_or_b32_e32 v3, v15, v3
	v_cndmask_b32_e32 v3, v14, v3, vcc_lo
	s_delay_alu instid0(VALU_DEP_1) | instskip(NEXT) | instid1(VALU_DEP_1)
	v_dual_lshrrev_b32 v3, 2, v3 :: v_dual_bitop2_b32 v14, 7, v3 bitop3:0x40
	v_cmp_lt_i32_e32 vcc_lo, 5, v14
	v_cndmask_b32_e64 v15, 0, 1, vcc_lo
	v_cmp_eq_u32_e32 vcc_lo, 3, v14
	v_cndmask_b32_e64 v14, 0, 1, vcc_lo
	v_cmp_ne_u32_e32 vcc_lo, 0, v2
	s_delay_alu instid0(VALU_DEP_2) | instskip(SKIP_1) | instid1(VALU_DEP_1)
	v_or_b32_e32 v14, v14, v15
	v_mov_b32_e32 v15, 0x7e00
	v_dual_cndmask_b32 v2, 0x7c00, v15 :: v_dual_add_nc_u32 v3, v3, v14
	v_cmp_gt_i32_e32 vcc_lo, 31, v7
	s_delay_alu instid0(VALU_DEP_2) | instskip(SKIP_1) | instid1(VALU_DEP_2)
	v_dual_cndmask_b32 v3, 0x7c00, v3 :: v_dual_lshrrev_b32 v14, 16, v1
	v_cmp_eq_u32_e32 vcc_lo, 0x40f, v7
	v_cndmask_b32_e32 v2, v3, v2, vcc_lo
	s_delay_alu instid0(VALU_DEP_3) | instskip(NEXT) | instid1(VALU_DEP_1)
	v_and_b32_e32 v3, 0x8000, v14
	v_bitop3_b32 v2, v3, 0xffff, v2 bitop3:0xc8
	global_store_b32 v[10:11], v2, off
.LBB8_1779:
	s_mov_b32 s3, 0
.LBB8_1780:
	s_delay_alu instid0(SALU_CYCLE_1)
	s_and_not1_b32 vcc_lo, exec_lo, s3
	s_cbranch_vccnz .LBB8_1789
; %bb.1781:
	s_cmp_lt_i32 s0, 6
	s_mov_b32 s3, -1
	s_cbranch_scc1 .LBB8_1787
; %bb.1782:
	s_cmp_gt_i32 s0, 6
	s_cbranch_scc0 .LBB8_1784
; %bb.1783:
	s_mov_b32 s3, 0
	global_store_b64 v[10:11], v[0:1], off
.LBB8_1784:
	s_and_not1_b32 vcc_lo, exec_lo, s3
	s_cbranch_vccnz .LBB8_1786
; %bb.1785:
	s_wait_xcnt 0x0
	v_cvt_f32_f64_e32 v2, v[0:1]
	global_store_b32 v[10:11], v2, off
.LBB8_1786:
	s_mov_b32 s3, 0
.LBB8_1787:
	s_delay_alu instid0(SALU_CYCLE_1)
	s_and_not1_b32 vcc_lo, exec_lo, s3
	s_cbranch_vccnz .LBB8_1789
; %bb.1788:
	s_wait_xcnt 0x0
	v_and_or_b32 v2, 0x1ff, v1, v0
	v_lshrrev_b32_e32 v3, 8, v1
	v_bfe_u32 v7, v1, 20, 11
	s_delay_alu instid0(VALU_DEP_3) | instskip(NEXT) | instid1(VALU_DEP_2)
	v_cmp_ne_u32_e32 vcc_lo, 0, v2
	v_sub_nc_u32_e32 v14, 0x3f1, v7
	v_add_nc_u32_e32 v7, 0xfffffc10, v7
	v_cndmask_b32_e64 v2, 0, 1, vcc_lo
	s_delay_alu instid0(VALU_DEP_1) | instskip(NEXT) | instid1(VALU_DEP_4)
	v_and_or_b32 v2, 0xffe, v3, v2
	v_med3_i32 v3, v14, 0, 13
	s_delay_alu instid0(VALU_DEP_2) | instskip(NEXT) | instid1(VALU_DEP_1)
	v_or_b32_e32 v14, 0x1000, v2
	v_lshrrev_b32_e32 v15, v3, v14
	s_delay_alu instid0(VALU_DEP_1) | instskip(NEXT) | instid1(VALU_DEP_1)
	v_lshlrev_b32_e32 v3, v3, v15
	v_cmp_ne_u32_e32 vcc_lo, v3, v14
	v_lshl_or_b32 v14, v7, 12, v2
	v_cndmask_b32_e64 v3, 0, 1, vcc_lo
	v_cmp_gt_i32_e32 vcc_lo, 1, v7
	s_delay_alu instid0(VALU_DEP_2) | instskip(NEXT) | instid1(VALU_DEP_1)
	v_or_b32_e32 v3, v15, v3
	v_cndmask_b32_e32 v3, v14, v3, vcc_lo
	s_delay_alu instid0(VALU_DEP_1) | instskip(NEXT) | instid1(VALU_DEP_1)
	v_dual_lshrrev_b32 v3, 2, v3 :: v_dual_bitop2_b32 v14, 7, v3 bitop3:0x40
	v_cmp_lt_i32_e32 vcc_lo, 5, v14
	v_cndmask_b32_e64 v15, 0, 1, vcc_lo
	v_cmp_eq_u32_e32 vcc_lo, 3, v14
	v_cndmask_b32_e64 v14, 0, 1, vcc_lo
	v_cmp_ne_u32_e32 vcc_lo, 0, v2
	s_delay_alu instid0(VALU_DEP_2) | instskip(SKIP_1) | instid1(VALU_DEP_1)
	v_or_b32_e32 v14, v14, v15
	v_mov_b32_e32 v15, 0x7e00
	v_dual_cndmask_b32 v2, 0x7c00, v15 :: v_dual_add_nc_u32 v3, v3, v14
	v_cmp_gt_i32_e32 vcc_lo, 31, v7
	s_delay_alu instid0(VALU_DEP_2) | instskip(SKIP_1) | instid1(VALU_DEP_2)
	v_cndmask_b32_e32 v3, 0x7c00, v3, vcc_lo
	v_cmp_eq_u32_e32 vcc_lo, 0x40f, v7
	v_dual_cndmask_b32 v2, v3, v2 :: v_dual_lshrrev_b32 v3, 16, v1
	s_delay_alu instid0(VALU_DEP_1)
	v_and_or_b32 v2, 0x8000, v3, v2
	global_store_b16 v[10:11], v2, off
.LBB8_1789:
	s_mov_b32 s3, 0
.LBB8_1790:
	s_delay_alu instid0(SALU_CYCLE_1)
	s_and_not1_b32 vcc_lo, exec_lo, s3
	s_cbranch_vccnz .LBB8_1806
; %bb.1791:
	s_cmp_lt_i32 s0, 2
	s_mov_b32 s3, -1
	s_cbranch_scc1 .LBB8_1801
; %bb.1792:
	s_cmp_lt_i32 s0, 3
	s_cbranch_scc1 .LBB8_1798
; %bb.1793:
	s_cmp_gt_i32 s0, 3
	s_cbranch_scc0 .LBB8_1795
; %bb.1794:
	s_wait_xcnt 0x0
	v_trunc_f64_e32 v[2:3], v[0:1]
	s_mov_b32 s3, 0
	s_delay_alu instid0(VALU_DEP_1) | instskip(NEXT) | instid1(VALU_DEP_1)
	v_ldexp_f64 v[14:15], v[2:3], 0xffffffe0
	v_floor_f64_e32 v[14:15], v[14:15]
	s_delay_alu instid0(VALU_DEP_1) | instskip(SKIP_1) | instid1(VALU_DEP_2)
	v_fmamk_f64 v[2:3], v[14:15], 0xc1f00000, v[2:3]
	v_cvt_i32_f64_e32 v15, v[14:15]
	v_cvt_u32_f64_e32 v14, v[2:3]
	global_store_b64 v[10:11], v[14:15], off
.LBB8_1795:
	s_and_not1_b32 vcc_lo, exec_lo, s3
	s_cbranch_vccnz .LBB8_1797
; %bb.1796:
	s_wait_xcnt 0x0
	v_cvt_i32_f64_e32 v2, v[0:1]
	global_store_b32 v[10:11], v2, off
.LBB8_1797:
	s_mov_b32 s3, 0
.LBB8_1798:
	s_delay_alu instid0(SALU_CYCLE_1)
	s_and_not1_b32 vcc_lo, exec_lo, s3
	s_cbranch_vccnz .LBB8_1800
; %bb.1799:
	s_wait_xcnt 0x0
	v_cvt_i32_f64_e32 v2, v[0:1]
	global_store_b16 v[10:11], v2, off
.LBB8_1800:
	s_mov_b32 s3, 0
.LBB8_1801:
	s_delay_alu instid0(SALU_CYCLE_1)
	s_and_not1_b32 vcc_lo, exec_lo, s3
	s_cbranch_vccnz .LBB8_1806
; %bb.1802:
	s_cmp_gt_i32 s0, 0
	s_mov_b32 s0, -1
	s_cbranch_scc0 .LBB8_1804
; %bb.1803:
	s_wait_xcnt 0x0
	v_cvt_i32_f64_e32 v2, v[0:1]
	s_mov_b32 s0, 0
	global_store_b8 v[10:11], v2, off
.LBB8_1804:
	s_and_not1_b32 vcc_lo, exec_lo, s0
	s_cbranch_vccnz .LBB8_1806
; %bb.1805:
	s_wait_xcnt 0x0
	v_trunc_f64_e32 v[0:1], v[0:1]
	s_delay_alu instid0(VALU_DEP_1) | instskip(NEXT) | instid1(VALU_DEP_1)
	v_ldexp_f64 v[2:3], v[0:1], 0xffffffe0
	v_floor_f64_e32 v[2:3], v[2:3]
	s_delay_alu instid0(VALU_DEP_1) | instskip(NEXT) | instid1(VALU_DEP_1)
	v_fmamk_f64 v[0:1], v[2:3], 0xc1f00000, v[0:1]
	v_cvt_u32_f64_e32 v0, v[0:1]
	global_store_b8 v[10:11], v0, off
.LBB8_1806:
	s_mov_b32 s7, -1
.LBB8_1807:
	s_delay_alu instid0(SALU_CYCLE_1)
	s_and_not1_b32 vcc_lo, exec_lo, s7
	s_cbranch_vccnz .LBB8_2122
; %bb.1808:
	s_lshl_b32 s2, s2, 7
	s_cmp_lt_i32 s12, 11
	s_wait_xcnt 0x0
	v_add_nc_u32_e32 v0, s2, v6
	s_delay_alu instid0(VALU_DEP_1) | instskip(NEXT) | instid1(VALU_DEP_1)
	v_ashrrev_i32_e32 v1, 31, v0
	v_add_nc_u64_e32 v[2:3], s[4:5], v[0:1]
	s_cbranch_scc1 .LBB8_1886
; %bb.1809:
	s_and_b32 s3, 0xffff, s12
	s_mov_b32 s8, -1
	s_mov_b32 s6, 0
	s_cmp_gt_i32 s3, 25
	s_mov_b32 s7, 0
	s_mov_b32 s0, 0
	s_cbranch_scc0 .LBB8_1842
; %bb.1810:
	s_cmp_gt_i32 s3, 28
	s_cbranch_scc0 .LBB8_1825
; %bb.1811:
	s_cmp_gt_i32 s3, 43
	;; [unrolled: 3-line block ×3, first 2 shown]
	s_cbranch_scc0 .LBB8_1815
; %bb.1813:
	s_mov_b32 s0, -1
	s_mov_b32 s8, 0
	s_cmp_eq_u32 s3, 46
	s_cbranch_scc0 .LBB8_1815
; %bb.1814:
	v_cvt_f32_f64_e32 v1, v[4:5]
	s_mov_b32 s0, 0
	s_mov_b32 s7, -1
	s_delay_alu instid0(VALU_DEP_1) | instskip(SKIP_1) | instid1(VALU_DEP_2)
	v_bfe_u32 v6, v1, 16, 1
	v_cmp_o_f32_e32 vcc_lo, v1, v1
	v_add3_u32 v6, v1, v6, 0x7fff
	s_delay_alu instid0(VALU_DEP_1) | instskip(NEXT) | instid1(VALU_DEP_1)
	v_lshrrev_b32_e32 v6, 16, v6
	v_cndmask_b32_e32 v1, 0x7fc0, v6, vcc_lo
	global_store_b32 v[2:3], v1, off
.LBB8_1815:
	s_and_b32 vcc_lo, exec_lo, s8
	s_cbranch_vccz .LBB8_1820
; %bb.1816:
	s_cmp_eq_u32 s3, 44
	s_mov_b32 s0, -1
	s_cbranch_scc0 .LBB8_1820
; %bb.1817:
	s_wait_xcnt 0x0
	v_cvt_f32_f64_e32 v1, v[4:5]
	v_mov_b32_e32 v6, 0xff
	s_mov_b32 s7, exec_lo
	s_delay_alu instid0(VALU_DEP_2) | instskip(NEXT) | instid1(VALU_DEP_1)
	v_bfe_u32 v7, v1, 23, 8
	v_cmpx_ne_u32_e32 0xff, v7
	s_cbranch_execz .LBB8_1819
; %bb.1818:
	v_and_b32_e32 v6, 0x400000, v1
	v_and_or_b32 v7, 0x3fffff, v1, v7
	v_lshrrev_b32_e32 v1, 23, v1
	s_delay_alu instid0(VALU_DEP_3) | instskip(NEXT) | instid1(VALU_DEP_3)
	v_cmp_ne_u32_e32 vcc_lo, 0, v6
	v_cmp_ne_u32_e64 s0, 0, v7
	s_and_b32 s0, vcc_lo, s0
	s_delay_alu instid0(SALU_CYCLE_1) | instskip(NEXT) | instid1(VALU_DEP_1)
	v_cndmask_b32_e64 v6, 0, 1, s0
	v_add_nc_u32_e32 v6, v1, v6
.LBB8_1819:
	s_or_b32 exec_lo, exec_lo, s7
	s_mov_b32 s0, 0
	s_mov_b32 s7, -1
	global_store_b8 v[2:3], v6, off
.LBB8_1820:
	s_mov_b32 s8, 0
.LBB8_1821:
	s_delay_alu instid0(SALU_CYCLE_1)
	s_and_b32 vcc_lo, exec_lo, s8
	s_cbranch_vccz .LBB8_1824
; %bb.1822:
	s_cmp_eq_u32 s3, 29
	s_mov_b32 s0, -1
	s_cbranch_scc0 .LBB8_1824
; %bb.1823:
	s_wait_xcnt 0x0
	v_trunc_f64_e32 v[6:7], v[4:5]
	s_mov_b32 s0, 0
	s_mov_b32 s7, -1
	s_delay_alu instid0(VALU_DEP_1) | instskip(NEXT) | instid1(VALU_DEP_1)
	v_ldexp_f64 v[10:11], v[6:7], 0xffffffe0
	v_floor_f64_e32 v[10:11], v[10:11]
	s_delay_alu instid0(VALU_DEP_1) | instskip(SKIP_1) | instid1(VALU_DEP_2)
	v_fmamk_f64 v[6:7], v[10:11], 0xc1f00000, v[6:7]
	v_cvt_u32_f64_e32 v11, v[10:11]
	v_cvt_u32_f64_e32 v10, v[6:7]
	global_store_b64 v[2:3], v[10:11], off
.LBB8_1824:
	s_mov_b32 s8, 0
.LBB8_1825:
	s_delay_alu instid0(SALU_CYCLE_1)
	s_and_b32 vcc_lo, exec_lo, s8
	s_cbranch_vccz .LBB8_1841
; %bb.1826:
	s_cmp_lt_i32 s3, 27
	s_mov_b32 s7, -1
	s_cbranch_scc1 .LBB8_1832
; %bb.1827:
	s_wait_xcnt 0x0
	v_cvt_u32_f64_e32 v1, v[4:5]
	s_cmp_gt_i32 s3, 27
	s_cbranch_scc0 .LBB8_1829
; %bb.1828:
	s_mov_b32 s7, 0
	global_store_b32 v[2:3], v1, off
.LBB8_1829:
	s_and_not1_b32 vcc_lo, exec_lo, s7
	s_cbranch_vccnz .LBB8_1831
; %bb.1830:
	global_store_b16 v[2:3], v1, off
.LBB8_1831:
	s_mov_b32 s7, 0
.LBB8_1832:
	s_delay_alu instid0(SALU_CYCLE_1)
	s_and_not1_b32 vcc_lo, exec_lo, s7
	s_cbranch_vccnz .LBB8_1840
; %bb.1833:
	s_wait_xcnt 0x0
	v_cvt_f32_f64_e32 v1, v[4:5]
	v_mov_b32_e32 v7, 0x80
	s_mov_b32 s7, exec_lo
	s_delay_alu instid0(VALU_DEP_2) | instskip(NEXT) | instid1(VALU_DEP_1)
	v_and_b32_e32 v6, 0x7fffffff, v1
	v_cmpx_gt_u32_e32 0x43800000, v6
	s_cbranch_execz .LBB8_1839
; %bb.1834:
	v_cmp_lt_u32_e32 vcc_lo, 0x3bffffff, v6
	s_mov_b32 s8, 0
                                        ; implicit-def: $vgpr6
	s_and_saveexec_b32 s9, vcc_lo
	s_delay_alu instid0(SALU_CYCLE_1)
	s_xor_b32 s9, exec_lo, s9
	s_cbranch_execz .LBB8_2130
; %bb.1835:
	v_bfe_u32 v6, v1, 20, 1
	s_mov_b32 s8, exec_lo
	s_delay_alu instid0(VALU_DEP_1) | instskip(NEXT) | instid1(VALU_DEP_1)
	v_add3_u32 v6, v1, v6, 0x487ffff
	v_lshrrev_b32_e32 v6, 20, v6
	s_and_not1_saveexec_b32 s9, s9
	s_cbranch_execnz .LBB8_2131
.LBB8_1836:
	s_or_b32 exec_lo, exec_lo, s9
	v_mov_b32_e32 v7, 0
	s_and_saveexec_b32 s9, s8
.LBB8_1837:
	v_lshrrev_b32_e32 v1, 24, v1
	s_delay_alu instid0(VALU_DEP_1)
	v_and_or_b32 v7, 0x80, v1, v6
.LBB8_1838:
	s_or_b32 exec_lo, exec_lo, s9
.LBB8_1839:
	s_delay_alu instid0(SALU_CYCLE_1)
	s_or_b32 exec_lo, exec_lo, s7
	global_store_b8 v[2:3], v7, off
.LBB8_1840:
	s_mov_b32 s7, -1
.LBB8_1841:
	s_mov_b32 s8, 0
.LBB8_1842:
	s_delay_alu instid0(SALU_CYCLE_1)
	s_and_b32 vcc_lo, exec_lo, s8
	s_cbranch_vccz .LBB8_1882
; %bb.1843:
	s_cmp_gt_i32 s3, 22
	s_mov_b32 s6, -1
	s_cbranch_scc0 .LBB8_1875
; %bb.1844:
	s_cmp_lt_i32 s3, 24
	s_cbranch_scc1 .LBB8_1864
; %bb.1845:
	s_cmp_gt_i32 s3, 24
	s_cbranch_scc0 .LBB8_1853
; %bb.1846:
	s_wait_xcnt 0x0
	v_cvt_f32_f64_e32 v1, v[4:5]
	v_mov_b32_e32 v7, 0x80
	s_mov_b32 s6, exec_lo
	s_delay_alu instid0(VALU_DEP_2) | instskip(NEXT) | instid1(VALU_DEP_1)
	v_and_b32_e32 v6, 0x7fffffff, v1
	v_cmpx_gt_u32_e32 0x47800000, v6
	s_cbranch_execz .LBB8_1852
; %bb.1847:
	v_cmp_lt_u32_e32 vcc_lo, 0x37ffffff, v6
	s_mov_b32 s7, 0
                                        ; implicit-def: $vgpr6
	s_and_saveexec_b32 s8, vcc_lo
	s_delay_alu instid0(SALU_CYCLE_1)
	s_xor_b32 s8, exec_lo, s8
	s_cbranch_execz .LBB8_2133
; %bb.1848:
	v_bfe_u32 v6, v1, 21, 1
	s_mov_b32 s7, exec_lo
	s_delay_alu instid0(VALU_DEP_1) | instskip(NEXT) | instid1(VALU_DEP_1)
	v_add3_u32 v6, v1, v6, 0x88fffff
	v_lshrrev_b32_e32 v6, 21, v6
	s_and_not1_saveexec_b32 s8, s8
	s_cbranch_execnz .LBB8_2134
.LBB8_1849:
	s_or_b32 exec_lo, exec_lo, s8
	v_mov_b32_e32 v7, 0
	s_and_saveexec_b32 s8, s7
.LBB8_1850:
	v_lshrrev_b32_e32 v1, 24, v1
	s_delay_alu instid0(VALU_DEP_1)
	v_and_or_b32 v7, 0x80, v1, v6
.LBB8_1851:
	s_or_b32 exec_lo, exec_lo, s8
.LBB8_1852:
	s_delay_alu instid0(SALU_CYCLE_1)
	s_or_b32 exec_lo, exec_lo, s6
	s_mov_b32 s6, 0
	global_store_b8 v[2:3], v7, off
.LBB8_1853:
	s_and_b32 vcc_lo, exec_lo, s6
	s_cbranch_vccz .LBB8_1863
; %bb.1854:
	s_wait_xcnt 0x0
	v_cvt_f32_f64_e32 v1, v[4:5]
	s_mov_b32 s6, exec_lo
                                        ; implicit-def: $vgpr6
	s_delay_alu instid0(VALU_DEP_1) | instskip(NEXT) | instid1(VALU_DEP_1)
	v_and_b32_e32 v7, 0x7fffffff, v1
	v_cmpx_gt_u32_e32 0x43f00000, v7
	s_xor_b32 s6, exec_lo, s6
	s_cbranch_execz .LBB8_1860
; %bb.1855:
	s_mov_b32 s7, exec_lo
                                        ; implicit-def: $vgpr6
	v_cmpx_lt_u32_e32 0x3c7fffff, v7
	s_xor_b32 s7, exec_lo, s7
; %bb.1856:
	v_bfe_u32 v6, v1, 20, 1
	s_delay_alu instid0(VALU_DEP_1) | instskip(NEXT) | instid1(VALU_DEP_1)
	v_add3_u32 v6, v1, v6, 0x407ffff
	v_and_b32_e32 v7, 0xff00000, v6
	v_lshrrev_b32_e32 v6, 20, v6
	s_delay_alu instid0(VALU_DEP_2) | instskip(NEXT) | instid1(VALU_DEP_2)
	v_cmp_ne_u32_e32 vcc_lo, 0x7f00000, v7
	v_cndmask_b32_e32 v6, 0x7e, v6, vcc_lo
; %bb.1857:
	s_and_not1_saveexec_b32 s7, s7
; %bb.1858:
	v_add_f32_e64 v6, 0x46800000, |v1|
; %bb.1859:
	s_or_b32 exec_lo, exec_lo, s7
                                        ; implicit-def: $vgpr7
.LBB8_1860:
	s_and_not1_saveexec_b32 s6, s6
; %bb.1861:
	v_mov_b32_e32 v6, 0x7f
	v_cmp_lt_u32_e32 vcc_lo, 0x7f800000, v7
	s_delay_alu instid0(VALU_DEP_2)
	v_cndmask_b32_e32 v6, 0x7e, v6, vcc_lo
; %bb.1862:
	s_or_b32 exec_lo, exec_lo, s6
	v_lshrrev_b32_e32 v1, 24, v1
	s_delay_alu instid0(VALU_DEP_1)
	v_and_or_b32 v1, 0x80, v1, v6
	global_store_b8 v[2:3], v1, off
.LBB8_1863:
	s_mov_b32 s6, 0
.LBB8_1864:
	s_delay_alu instid0(SALU_CYCLE_1)
	s_and_not1_b32 vcc_lo, exec_lo, s6
	s_cbranch_vccnz .LBB8_1874
; %bb.1865:
	s_wait_xcnt 0x0
	v_cvt_f32_f64_e32 v1, v[4:5]
	s_mov_b32 s6, exec_lo
                                        ; implicit-def: $vgpr6
	s_delay_alu instid0(VALU_DEP_1) | instskip(NEXT) | instid1(VALU_DEP_1)
	v_and_b32_e32 v7, 0x7fffffff, v1
	v_cmpx_gt_u32_e32 0x47800000, v7
	s_xor_b32 s6, exec_lo, s6
	s_cbranch_execz .LBB8_1871
; %bb.1866:
	s_mov_b32 s7, exec_lo
                                        ; implicit-def: $vgpr6
	v_cmpx_lt_u32_e32 0x387fffff, v7
	s_xor_b32 s7, exec_lo, s7
; %bb.1867:
	v_bfe_u32 v6, v1, 21, 1
	s_delay_alu instid0(VALU_DEP_1) | instskip(NEXT) | instid1(VALU_DEP_1)
	v_add3_u32 v6, v1, v6, 0x80fffff
	v_lshrrev_b32_e32 v6, 21, v6
; %bb.1868:
	s_and_not1_saveexec_b32 s7, s7
; %bb.1869:
	v_add_f32_e64 v6, 0x43000000, |v1|
; %bb.1870:
	s_or_b32 exec_lo, exec_lo, s7
                                        ; implicit-def: $vgpr7
.LBB8_1871:
	s_and_not1_saveexec_b32 s6, s6
; %bb.1872:
	v_mov_b32_e32 v6, 0x7f
	v_cmp_lt_u32_e32 vcc_lo, 0x7f800000, v7
	s_delay_alu instid0(VALU_DEP_2)
	v_cndmask_b32_e32 v6, 0x7c, v6, vcc_lo
; %bb.1873:
	s_or_b32 exec_lo, exec_lo, s6
	v_lshrrev_b32_e32 v1, 24, v1
	s_delay_alu instid0(VALU_DEP_1)
	v_and_or_b32 v1, 0x80, v1, v6
	global_store_b8 v[2:3], v1, off
.LBB8_1874:
	s_mov_b32 s6, 0
	s_mov_b32 s7, -1
.LBB8_1875:
	s_and_not1_b32 vcc_lo, exec_lo, s6
	s_mov_b32 s6, 0
	s_cbranch_vccnz .LBB8_1882
; %bb.1876:
	s_cmp_gt_i32 s3, 14
	s_mov_b32 s6, -1
	s_cbranch_scc0 .LBB8_1880
; %bb.1877:
	s_cmp_eq_u32 s3, 15
	s_mov_b32 s0, -1
	s_cbranch_scc0 .LBB8_1879
; %bb.1878:
	s_wait_xcnt 0x0
	v_cvt_f32_f64_e32 v1, v[4:5]
	s_mov_b32 s0, 0
	s_mov_b32 s7, -1
	s_delay_alu instid0(VALU_DEP_1) | instskip(SKIP_1) | instid1(VALU_DEP_2)
	v_bfe_u32 v6, v1, 16, 1
	v_cmp_o_f32_e32 vcc_lo, v1, v1
	v_add3_u32 v6, v1, v6, 0x7fff
	s_delay_alu instid0(VALU_DEP_1) | instskip(NEXT) | instid1(VALU_DEP_1)
	v_lshrrev_b32_e32 v6, 16, v6
	v_cndmask_b32_e32 v1, 0x7fc0, v6, vcc_lo
	global_store_b16 v[2:3], v1, off
.LBB8_1879:
	s_mov_b32 s6, 0
.LBB8_1880:
	s_delay_alu instid0(SALU_CYCLE_1)
	s_and_b32 vcc_lo, exec_lo, s6
	s_mov_b32 s6, 0
	s_cbranch_vccz .LBB8_1882
; %bb.1881:
	s_cmp_lg_u32 s3, 11
	s_mov_b32 s6, -1
	s_cselect_b32 s0, -1, 0
.LBB8_1882:
	s_delay_alu instid0(SALU_CYCLE_1)
	s_and_b32 vcc_lo, exec_lo, s0
	s_cbranch_vccnz .LBB8_2132
; %bb.1883:
	s_and_not1_b32 vcc_lo, exec_lo, s6
	s_cbranch_vccnz .LBB8_1885
.LBB8_1884:
	v_cmp_neq_f64_e32 vcc_lo, 0, v[4:5]
	s_mov_b32 s7, -1
	s_wait_xcnt 0x0
	v_cndmask_b32_e64 v1, 0, 1, vcc_lo
	global_store_b8 v[2:3], v1, off
.LBB8_1885:
	s_mov_b32 s0, 0
	s_branch .LBB8_1887
.LBB8_1886:
	s_mov_b32 s0, -1
	s_mov_b32 s7, 0
.LBB8_1887:
	s_and_b32 vcc_lo, exec_lo, s0
	s_cbranch_vccz .LBB8_1926
; %bb.1888:
	s_and_b32 s0, 0xffff, s12
	s_mov_b32 s3, -1
	s_cmp_lt_i32 s0, 5
	s_cbranch_scc1 .LBB8_1909
; %bb.1889:
	s_cmp_lt_i32 s0, 8
	s_cbranch_scc1 .LBB8_1899
; %bb.1890:
	;; [unrolled: 3-line block ×3, first 2 shown]
	s_cmp_gt_i32 s0, 9
	s_cbranch_scc0 .LBB8_1893
; %bb.1892:
	s_wait_xcnt 0x0
	v_mov_b32_e32 v6, 0
	s_mov_b32 s3, 0
	s_delay_alu instid0(VALU_DEP_1)
	v_mov_b32_e32 v7, v6
	global_store_b128 v[2:3], v[4:7], off
.LBB8_1893:
	s_and_not1_b32 vcc_lo, exec_lo, s3
	s_cbranch_vccnz .LBB8_1895
; %bb.1894:
	s_wait_xcnt 0x0
	v_cvt_f32_f64_e32 v6, v[4:5]
	v_mov_b32_e32 v7, 0
	global_store_b64 v[2:3], v[6:7], off
.LBB8_1895:
	s_mov_b32 s3, 0
.LBB8_1896:
	s_delay_alu instid0(SALU_CYCLE_1)
	s_and_not1_b32 vcc_lo, exec_lo, s3
	s_cbranch_vccnz .LBB8_1898
; %bb.1897:
	s_wait_xcnt 0x0
	v_and_or_b32 v1, 0x1ff, v5, v4
	v_lshrrev_b32_e32 v6, 8, v5
	v_bfe_u32 v7, v5, 20, 11
	s_delay_alu instid0(VALU_DEP_3) | instskip(NEXT) | instid1(VALU_DEP_2)
	v_cmp_ne_u32_e32 vcc_lo, 0, v1
	v_sub_nc_u32_e32 v10, 0x3f1, v7
	v_cndmask_b32_e64 v1, 0, 1, vcc_lo
	s_delay_alu instid0(VALU_DEP_1) | instskip(NEXT) | instid1(VALU_DEP_3)
	v_and_or_b32 v1, 0xffe, v6, v1
	v_med3_i32 v6, v10, 0, 13
	s_delay_alu instid0(VALU_DEP_2) | instskip(NEXT) | instid1(VALU_DEP_1)
	v_or_b32_e32 v10, 0x1000, v1
	v_lshrrev_b32_e32 v11, v6, v10
	s_delay_alu instid0(VALU_DEP_1) | instskip(NEXT) | instid1(VALU_DEP_1)
	v_lshlrev_b32_e32 v6, v6, v11
	v_cmp_ne_u32_e32 vcc_lo, v6, v10
	v_cndmask_b32_e64 v6, 0, 1, vcc_lo
	s_delay_alu instid0(VALU_DEP_1) | instskip(SKIP_1) | instid1(VALU_DEP_1)
	v_or_b32_e32 v6, v11, v6
	v_add_nc_u32_e32 v7, 0xfffffc10, v7
	v_lshl_or_b32 v10, v7, 12, v1
	v_cmp_gt_i32_e32 vcc_lo, 1, v7
	s_delay_alu instid0(VALU_DEP_2) | instskip(NEXT) | instid1(VALU_DEP_1)
	v_cndmask_b32_e32 v6, v10, v6, vcc_lo
	v_dual_lshrrev_b32 v6, 2, v6 :: v_dual_bitop2_b32 v10, 7, v6 bitop3:0x40
	s_delay_alu instid0(VALU_DEP_1) | instskip(SKIP_4) | instid1(VALU_DEP_2)
	v_cmp_lt_i32_e32 vcc_lo, 5, v10
	v_cndmask_b32_e64 v11, 0, 1, vcc_lo
	v_cmp_eq_u32_e32 vcc_lo, 3, v10
	v_cndmask_b32_e64 v10, 0, 1, vcc_lo
	v_cmp_ne_u32_e32 vcc_lo, 0, v1
	v_or_b32_e32 v10, v10, v11
	s_delay_alu instid0(VALU_DEP_1) | instskip(NEXT) | instid1(VALU_DEP_1)
	v_dual_mov_b32 v11, 0x7e00 :: v_dual_add_nc_u32 v6, v6, v10
	v_cndmask_b32_e32 v1, 0x7c00, v11, vcc_lo
	v_cmp_gt_i32_e32 vcc_lo, 31, v7
	v_lshrrev_b32_e32 v10, 16, v5
	s_delay_alu instid0(VALU_DEP_4) | instskip(SKIP_1) | instid1(VALU_DEP_2)
	v_cndmask_b32_e32 v6, 0x7c00, v6, vcc_lo
	v_cmp_eq_u32_e32 vcc_lo, 0x40f, v7
	v_cndmask_b32_e32 v1, v6, v1, vcc_lo
	s_delay_alu instid0(VALU_DEP_4) | instskip(NEXT) | instid1(VALU_DEP_1)
	v_and_b32_e32 v6, 0x8000, v10
	v_bitop3_b32 v1, v6, 0xffff, v1 bitop3:0xc8
	global_store_b32 v[2:3], v1, off
.LBB8_1898:
	s_mov_b32 s3, 0
.LBB8_1899:
	s_delay_alu instid0(SALU_CYCLE_1)
	s_and_not1_b32 vcc_lo, exec_lo, s3
	s_cbranch_vccnz .LBB8_1908
; %bb.1900:
	s_cmp_lt_i32 s0, 6
	s_mov_b32 s3, -1
	s_cbranch_scc1 .LBB8_1906
; %bb.1901:
	s_cmp_gt_i32 s0, 6
	s_cbranch_scc0 .LBB8_1903
; %bb.1902:
	s_mov_b32 s3, 0
	global_store_b64 v[2:3], v[4:5], off
.LBB8_1903:
	s_and_not1_b32 vcc_lo, exec_lo, s3
	s_cbranch_vccnz .LBB8_1905
; %bb.1904:
	s_wait_xcnt 0x0
	v_cvt_f32_f64_e32 v1, v[4:5]
	global_store_b32 v[2:3], v1, off
.LBB8_1905:
	s_mov_b32 s3, 0
.LBB8_1906:
	s_delay_alu instid0(SALU_CYCLE_1)
	s_and_not1_b32 vcc_lo, exec_lo, s3
	s_cbranch_vccnz .LBB8_1908
; %bb.1907:
	s_wait_xcnt 0x0
	v_and_or_b32 v1, 0x1ff, v5, v4
	v_lshrrev_b32_e32 v6, 8, v5
	v_bfe_u32 v7, v5, 20, 11
	s_delay_alu instid0(VALU_DEP_3) | instskip(NEXT) | instid1(VALU_DEP_2)
	v_cmp_ne_u32_e32 vcc_lo, 0, v1
	v_sub_nc_u32_e32 v10, 0x3f1, v7
	v_cndmask_b32_e64 v1, 0, 1, vcc_lo
	s_delay_alu instid0(VALU_DEP_1) | instskip(NEXT) | instid1(VALU_DEP_3)
	v_and_or_b32 v1, 0xffe, v6, v1
	v_med3_i32 v6, v10, 0, 13
	s_delay_alu instid0(VALU_DEP_2) | instskip(NEXT) | instid1(VALU_DEP_1)
	v_or_b32_e32 v10, 0x1000, v1
	v_lshrrev_b32_e32 v11, v6, v10
	s_delay_alu instid0(VALU_DEP_1) | instskip(NEXT) | instid1(VALU_DEP_1)
	v_lshlrev_b32_e32 v6, v6, v11
	v_cmp_ne_u32_e32 vcc_lo, v6, v10
	v_cndmask_b32_e64 v6, 0, 1, vcc_lo
	s_delay_alu instid0(VALU_DEP_1) | instskip(SKIP_1) | instid1(VALU_DEP_1)
	v_or_b32_e32 v6, v11, v6
	v_add_nc_u32_e32 v7, 0xfffffc10, v7
	v_lshl_or_b32 v10, v7, 12, v1
	v_cmp_gt_i32_e32 vcc_lo, 1, v7
	s_delay_alu instid0(VALU_DEP_2) | instskip(NEXT) | instid1(VALU_DEP_1)
	v_cndmask_b32_e32 v6, v10, v6, vcc_lo
	v_dual_lshrrev_b32 v6, 2, v6 :: v_dual_bitop2_b32 v10, 7, v6 bitop3:0x40
	s_delay_alu instid0(VALU_DEP_1) | instskip(SKIP_4) | instid1(VALU_DEP_2)
	v_cmp_lt_i32_e32 vcc_lo, 5, v10
	v_cndmask_b32_e64 v11, 0, 1, vcc_lo
	v_cmp_eq_u32_e32 vcc_lo, 3, v10
	v_cndmask_b32_e64 v10, 0, 1, vcc_lo
	v_cmp_ne_u32_e32 vcc_lo, 0, v1
	v_or_b32_e32 v10, v10, v11
	s_delay_alu instid0(VALU_DEP_1) | instskip(NEXT) | instid1(VALU_DEP_1)
	v_dual_mov_b32 v11, 0x7e00 :: v_dual_add_nc_u32 v6, v6, v10
	v_cndmask_b32_e32 v1, 0x7c00, v11, vcc_lo
	v_cmp_gt_i32_e32 vcc_lo, 31, v7
	s_delay_alu instid0(VALU_DEP_3) | instskip(SKIP_1) | instid1(VALU_DEP_2)
	v_cndmask_b32_e32 v6, 0x7c00, v6, vcc_lo
	v_cmp_eq_u32_e32 vcc_lo, 0x40f, v7
	v_cndmask_b32_e32 v1, v6, v1, vcc_lo
	v_lshrrev_b32_e32 v6, 16, v5
	s_delay_alu instid0(VALU_DEP_1)
	v_and_or_b32 v1, 0x8000, v6, v1
	global_store_b16 v[2:3], v1, off
.LBB8_1908:
	s_mov_b32 s3, 0
.LBB8_1909:
	s_delay_alu instid0(SALU_CYCLE_1)
	s_and_not1_b32 vcc_lo, exec_lo, s3
	s_cbranch_vccnz .LBB8_1925
; %bb.1910:
	s_cmp_lt_i32 s0, 2
	s_mov_b32 s3, -1
	s_cbranch_scc1 .LBB8_1920
; %bb.1911:
	s_cmp_lt_i32 s0, 3
	s_cbranch_scc1 .LBB8_1917
; %bb.1912:
	s_cmp_gt_i32 s0, 3
	s_cbranch_scc0 .LBB8_1914
; %bb.1913:
	s_wait_xcnt 0x0
	v_trunc_f64_e32 v[6:7], v[4:5]
	s_mov_b32 s3, 0
	s_delay_alu instid0(VALU_DEP_1) | instskip(NEXT) | instid1(VALU_DEP_1)
	v_ldexp_f64 v[10:11], v[6:7], 0xffffffe0
	v_floor_f64_e32 v[10:11], v[10:11]
	s_delay_alu instid0(VALU_DEP_1) | instskip(SKIP_1) | instid1(VALU_DEP_2)
	v_fmamk_f64 v[6:7], v[10:11], 0xc1f00000, v[6:7]
	v_cvt_i32_f64_e32 v11, v[10:11]
	v_cvt_u32_f64_e32 v10, v[6:7]
	global_store_b64 v[2:3], v[10:11], off
.LBB8_1914:
	s_and_not1_b32 vcc_lo, exec_lo, s3
	s_cbranch_vccnz .LBB8_1916
; %bb.1915:
	s_wait_xcnt 0x0
	v_cvt_i32_f64_e32 v1, v[4:5]
	global_store_b32 v[2:3], v1, off
.LBB8_1916:
	s_mov_b32 s3, 0
.LBB8_1917:
	s_delay_alu instid0(SALU_CYCLE_1)
	s_and_not1_b32 vcc_lo, exec_lo, s3
	s_cbranch_vccnz .LBB8_1919
; %bb.1918:
	s_wait_xcnt 0x0
	v_cvt_i32_f64_e32 v1, v[4:5]
	global_store_b16 v[2:3], v1, off
.LBB8_1919:
	s_mov_b32 s3, 0
.LBB8_1920:
	s_delay_alu instid0(SALU_CYCLE_1)
	s_and_not1_b32 vcc_lo, exec_lo, s3
	s_cbranch_vccnz .LBB8_1925
; %bb.1921:
	s_cmp_gt_i32 s0, 0
	s_mov_b32 s0, -1
	s_cbranch_scc0 .LBB8_1923
; %bb.1922:
	s_wait_xcnt 0x0
	v_cvt_i32_f64_e32 v1, v[4:5]
	s_mov_b32 s0, 0
	global_store_b8 v[2:3], v1, off
.LBB8_1923:
	s_and_not1_b32 vcc_lo, exec_lo, s0
	s_cbranch_vccnz .LBB8_1925
; %bb.1924:
	s_wait_xcnt 0x0
	v_trunc_f64_e32 v[4:5], v[4:5]
	s_delay_alu instid0(VALU_DEP_1) | instskip(NEXT) | instid1(VALU_DEP_1)
	v_ldexp_f64 v[6:7], v[4:5], 0xffffffe0
	v_floor_f64_e32 v[6:7], v[6:7]
	s_delay_alu instid0(VALU_DEP_1) | instskip(NEXT) | instid1(VALU_DEP_1)
	v_fmamk_f64 v[4:5], v[6:7], 0xc1f00000, v[4:5]
	v_cvt_u32_f64_e32 v1, v[4:5]
	global_store_b8 v[2:3], v1, off
.LBB8_1925:
	s_mov_b32 s7, -1
.LBB8_1926:
	s_delay_alu instid0(SALU_CYCLE_1)
	s_and_not1_b32 vcc_lo, exec_lo, s7
	s_cbranch_vccnz .LBB8_2122
; %bb.1927:
	v_add_nc_u32_e32 v0, s2, v0
	s_cmp_lt_i32 s12, 11
	s_wait_xcnt 0x0
	s_delay_alu instid0(VALU_DEP_1) | instskip(NEXT) | instid1(VALU_DEP_1)
	v_ashrrev_i32_e32 v1, 31, v0
	v_add_nc_u64_e32 v[2:3], s[4:5], v[0:1]
	s_cbranch_scc1 .LBB8_2005
; %bb.1928:
	s_and_b32 s3, 0xffff, s12
	s_mov_b32 s8, -1
	s_mov_b32 s6, 0
	s_cmp_gt_i32 s3, 25
	s_mov_b32 s7, 0
	s_mov_b32 s0, 0
	s_cbranch_scc0 .LBB8_1961
; %bb.1929:
	s_cmp_gt_i32 s3, 28
	s_cbranch_scc0 .LBB8_1944
; %bb.1930:
	s_cmp_gt_i32 s3, 43
	;; [unrolled: 3-line block ×3, first 2 shown]
	s_cbranch_scc0 .LBB8_1934
; %bb.1932:
	s_mov_b32 s0, -1
	s_mov_b32 s8, 0
	s_cmp_eq_u32 s3, 46
	s_cbranch_scc0 .LBB8_1934
; %bb.1933:
	v_cvt_f32_f64_e32 v1, v[8:9]
	s_mov_b32 s0, 0
	s_mov_b32 s7, -1
	s_delay_alu instid0(VALU_DEP_1) | instskip(SKIP_1) | instid1(VALU_DEP_2)
	v_bfe_u32 v4, v1, 16, 1
	v_cmp_o_f32_e32 vcc_lo, v1, v1
	v_add3_u32 v4, v1, v4, 0x7fff
	s_delay_alu instid0(VALU_DEP_1) | instskip(NEXT) | instid1(VALU_DEP_1)
	v_lshrrev_b32_e32 v4, 16, v4
	v_cndmask_b32_e32 v1, 0x7fc0, v4, vcc_lo
	global_store_b32 v[2:3], v1, off
.LBB8_1934:
	s_and_b32 vcc_lo, exec_lo, s8
	s_cbranch_vccz .LBB8_1939
; %bb.1935:
	s_cmp_eq_u32 s3, 44
	s_mov_b32 s0, -1
	s_cbranch_scc0 .LBB8_1939
; %bb.1936:
	s_wait_xcnt 0x0
	v_cvt_f32_f64_e32 v1, v[8:9]
	v_mov_b32_e32 v4, 0xff
	s_mov_b32 s7, exec_lo
	s_delay_alu instid0(VALU_DEP_2) | instskip(NEXT) | instid1(VALU_DEP_1)
	v_bfe_u32 v5, v1, 23, 8
	v_cmpx_ne_u32_e32 0xff, v5
	s_cbranch_execz .LBB8_1938
; %bb.1937:
	v_and_b32_e32 v4, 0x400000, v1
	v_and_or_b32 v5, 0x3fffff, v1, v5
	v_lshrrev_b32_e32 v1, 23, v1
	s_delay_alu instid0(VALU_DEP_3) | instskip(NEXT) | instid1(VALU_DEP_3)
	v_cmp_ne_u32_e32 vcc_lo, 0, v4
	v_cmp_ne_u32_e64 s0, 0, v5
	s_and_b32 s0, vcc_lo, s0
	s_delay_alu instid0(SALU_CYCLE_1) | instskip(NEXT) | instid1(VALU_DEP_1)
	v_cndmask_b32_e64 v4, 0, 1, s0
	v_add_nc_u32_e32 v4, v1, v4
.LBB8_1938:
	s_or_b32 exec_lo, exec_lo, s7
	s_mov_b32 s0, 0
	s_mov_b32 s7, -1
	global_store_b8 v[2:3], v4, off
.LBB8_1939:
	s_mov_b32 s8, 0
.LBB8_1940:
	s_delay_alu instid0(SALU_CYCLE_1)
	s_and_b32 vcc_lo, exec_lo, s8
	s_cbranch_vccz .LBB8_1943
; %bb.1941:
	s_cmp_eq_u32 s3, 29
	s_mov_b32 s0, -1
	s_cbranch_scc0 .LBB8_1943
; %bb.1942:
	s_wait_xcnt 0x0
	v_trunc_f64_e32 v[4:5], v[8:9]
	s_mov_b32 s0, 0
	s_mov_b32 s7, -1
	s_delay_alu instid0(VALU_DEP_1) | instskip(NEXT) | instid1(VALU_DEP_1)
	v_ldexp_f64 v[6:7], v[4:5], 0xffffffe0
	v_floor_f64_e32 v[6:7], v[6:7]
	s_delay_alu instid0(VALU_DEP_1) | instskip(SKIP_1) | instid1(VALU_DEP_2)
	v_fmamk_f64 v[4:5], v[6:7], 0xc1f00000, v[4:5]
	v_cvt_u32_f64_e32 v7, v[6:7]
	v_cvt_u32_f64_e32 v6, v[4:5]
	global_store_b64 v[2:3], v[6:7], off
.LBB8_1943:
	s_mov_b32 s8, 0
.LBB8_1944:
	s_delay_alu instid0(SALU_CYCLE_1)
	s_and_b32 vcc_lo, exec_lo, s8
	s_cbranch_vccz .LBB8_1960
; %bb.1945:
	s_cmp_lt_i32 s3, 27
	s_mov_b32 s7, -1
	s_cbranch_scc1 .LBB8_1951
; %bb.1946:
	s_wait_xcnt 0x0
	v_cvt_u32_f64_e32 v1, v[8:9]
	s_cmp_gt_i32 s3, 27
	s_cbranch_scc0 .LBB8_1948
; %bb.1947:
	s_mov_b32 s7, 0
	global_store_b32 v[2:3], v1, off
.LBB8_1948:
	s_and_not1_b32 vcc_lo, exec_lo, s7
	s_cbranch_vccnz .LBB8_1950
; %bb.1949:
	global_store_b16 v[2:3], v1, off
.LBB8_1950:
	s_mov_b32 s7, 0
.LBB8_1951:
	s_delay_alu instid0(SALU_CYCLE_1)
	s_and_not1_b32 vcc_lo, exec_lo, s7
	s_cbranch_vccnz .LBB8_1959
; %bb.1952:
	s_wait_xcnt 0x0
	v_cvt_f32_f64_e32 v1, v[8:9]
	v_mov_b32_e32 v5, 0x80
	s_mov_b32 s7, exec_lo
	s_delay_alu instid0(VALU_DEP_2) | instskip(NEXT) | instid1(VALU_DEP_1)
	v_and_b32_e32 v4, 0x7fffffff, v1
	v_cmpx_gt_u32_e32 0x43800000, v4
	s_cbranch_execz .LBB8_1958
; %bb.1953:
	v_cmp_lt_u32_e32 vcc_lo, 0x3bffffff, v4
	s_mov_b32 s8, 0
                                        ; implicit-def: $vgpr4
	s_and_saveexec_b32 s9, vcc_lo
	s_delay_alu instid0(SALU_CYCLE_1)
	s_xor_b32 s9, exec_lo, s9
	s_cbranch_execz .LBB8_2135
; %bb.1954:
	v_bfe_u32 v4, v1, 20, 1
	s_mov_b32 s8, exec_lo
	s_delay_alu instid0(VALU_DEP_1) | instskip(NEXT) | instid1(VALU_DEP_1)
	v_add3_u32 v4, v1, v4, 0x487ffff
	v_lshrrev_b32_e32 v4, 20, v4
	s_and_not1_saveexec_b32 s9, s9
	s_cbranch_execnz .LBB8_2136
.LBB8_1955:
	s_or_b32 exec_lo, exec_lo, s9
	v_mov_b32_e32 v5, 0
	s_and_saveexec_b32 s9, s8
.LBB8_1956:
	v_lshrrev_b32_e32 v1, 24, v1
	s_delay_alu instid0(VALU_DEP_1)
	v_and_or_b32 v5, 0x80, v1, v4
.LBB8_1957:
	s_or_b32 exec_lo, exec_lo, s9
.LBB8_1958:
	s_delay_alu instid0(SALU_CYCLE_1)
	s_or_b32 exec_lo, exec_lo, s7
	global_store_b8 v[2:3], v5, off
.LBB8_1959:
	s_mov_b32 s7, -1
.LBB8_1960:
	s_mov_b32 s8, 0
.LBB8_1961:
	s_delay_alu instid0(SALU_CYCLE_1)
	s_and_b32 vcc_lo, exec_lo, s8
	s_cbranch_vccz .LBB8_2001
; %bb.1962:
	s_cmp_gt_i32 s3, 22
	s_mov_b32 s6, -1
	s_cbranch_scc0 .LBB8_1994
; %bb.1963:
	s_cmp_lt_i32 s3, 24
	s_cbranch_scc1 .LBB8_1983
; %bb.1964:
	s_cmp_gt_i32 s3, 24
	s_cbranch_scc0 .LBB8_1972
; %bb.1965:
	s_wait_xcnt 0x0
	v_cvt_f32_f64_e32 v1, v[8:9]
	v_mov_b32_e32 v5, 0x80
	s_mov_b32 s6, exec_lo
	s_delay_alu instid0(VALU_DEP_2) | instskip(NEXT) | instid1(VALU_DEP_1)
	v_and_b32_e32 v4, 0x7fffffff, v1
	v_cmpx_gt_u32_e32 0x47800000, v4
	s_cbranch_execz .LBB8_1971
; %bb.1966:
	v_cmp_lt_u32_e32 vcc_lo, 0x37ffffff, v4
	s_mov_b32 s7, 0
                                        ; implicit-def: $vgpr4
	s_and_saveexec_b32 s8, vcc_lo
	s_delay_alu instid0(SALU_CYCLE_1)
	s_xor_b32 s8, exec_lo, s8
	s_cbranch_execz .LBB8_2138
; %bb.1967:
	v_bfe_u32 v4, v1, 21, 1
	s_mov_b32 s7, exec_lo
	s_delay_alu instid0(VALU_DEP_1) | instskip(NEXT) | instid1(VALU_DEP_1)
	v_add3_u32 v4, v1, v4, 0x88fffff
	v_lshrrev_b32_e32 v4, 21, v4
	s_and_not1_saveexec_b32 s8, s8
	s_cbranch_execnz .LBB8_2139
.LBB8_1968:
	s_or_b32 exec_lo, exec_lo, s8
	v_mov_b32_e32 v5, 0
	s_and_saveexec_b32 s8, s7
.LBB8_1969:
	v_lshrrev_b32_e32 v1, 24, v1
	s_delay_alu instid0(VALU_DEP_1)
	v_and_or_b32 v5, 0x80, v1, v4
.LBB8_1970:
	s_or_b32 exec_lo, exec_lo, s8
.LBB8_1971:
	s_delay_alu instid0(SALU_CYCLE_1)
	s_or_b32 exec_lo, exec_lo, s6
	s_mov_b32 s6, 0
	global_store_b8 v[2:3], v5, off
.LBB8_1972:
	s_and_b32 vcc_lo, exec_lo, s6
	s_cbranch_vccz .LBB8_1982
; %bb.1973:
	s_wait_xcnt 0x0
	v_cvt_f32_f64_e32 v1, v[8:9]
	s_mov_b32 s6, exec_lo
                                        ; implicit-def: $vgpr4
	s_delay_alu instid0(VALU_DEP_1) | instskip(NEXT) | instid1(VALU_DEP_1)
	v_and_b32_e32 v5, 0x7fffffff, v1
	v_cmpx_gt_u32_e32 0x43f00000, v5
	s_xor_b32 s6, exec_lo, s6
	s_cbranch_execz .LBB8_1979
; %bb.1974:
	s_mov_b32 s7, exec_lo
                                        ; implicit-def: $vgpr4
	v_cmpx_lt_u32_e32 0x3c7fffff, v5
	s_xor_b32 s7, exec_lo, s7
; %bb.1975:
	v_bfe_u32 v4, v1, 20, 1
	s_delay_alu instid0(VALU_DEP_1) | instskip(NEXT) | instid1(VALU_DEP_1)
	v_add3_u32 v4, v1, v4, 0x407ffff
	v_and_b32_e32 v5, 0xff00000, v4
	v_lshrrev_b32_e32 v4, 20, v4
	s_delay_alu instid0(VALU_DEP_2) | instskip(NEXT) | instid1(VALU_DEP_2)
	v_cmp_ne_u32_e32 vcc_lo, 0x7f00000, v5
	v_cndmask_b32_e32 v4, 0x7e, v4, vcc_lo
; %bb.1976:
	s_and_not1_saveexec_b32 s7, s7
; %bb.1977:
	v_add_f32_e64 v4, 0x46800000, |v1|
; %bb.1978:
	s_or_b32 exec_lo, exec_lo, s7
                                        ; implicit-def: $vgpr5
.LBB8_1979:
	s_and_not1_saveexec_b32 s6, s6
; %bb.1980:
	v_mov_b32_e32 v4, 0x7f
	v_cmp_lt_u32_e32 vcc_lo, 0x7f800000, v5
	s_delay_alu instid0(VALU_DEP_2)
	v_cndmask_b32_e32 v4, 0x7e, v4, vcc_lo
; %bb.1981:
	s_or_b32 exec_lo, exec_lo, s6
	v_lshrrev_b32_e32 v1, 24, v1
	s_delay_alu instid0(VALU_DEP_1)
	v_and_or_b32 v1, 0x80, v1, v4
	global_store_b8 v[2:3], v1, off
.LBB8_1982:
	s_mov_b32 s6, 0
.LBB8_1983:
	s_delay_alu instid0(SALU_CYCLE_1)
	s_and_not1_b32 vcc_lo, exec_lo, s6
	s_cbranch_vccnz .LBB8_1993
; %bb.1984:
	s_wait_xcnt 0x0
	v_cvt_f32_f64_e32 v1, v[8:9]
	s_mov_b32 s6, exec_lo
                                        ; implicit-def: $vgpr4
	s_delay_alu instid0(VALU_DEP_1) | instskip(NEXT) | instid1(VALU_DEP_1)
	v_and_b32_e32 v5, 0x7fffffff, v1
	v_cmpx_gt_u32_e32 0x47800000, v5
	s_xor_b32 s6, exec_lo, s6
	s_cbranch_execz .LBB8_1990
; %bb.1985:
	s_mov_b32 s7, exec_lo
                                        ; implicit-def: $vgpr4
	v_cmpx_lt_u32_e32 0x387fffff, v5
	s_xor_b32 s7, exec_lo, s7
; %bb.1986:
	v_bfe_u32 v4, v1, 21, 1
	s_delay_alu instid0(VALU_DEP_1) | instskip(NEXT) | instid1(VALU_DEP_1)
	v_add3_u32 v4, v1, v4, 0x80fffff
	v_lshrrev_b32_e32 v4, 21, v4
; %bb.1987:
	s_and_not1_saveexec_b32 s7, s7
; %bb.1988:
	v_add_f32_e64 v4, 0x43000000, |v1|
; %bb.1989:
	s_or_b32 exec_lo, exec_lo, s7
                                        ; implicit-def: $vgpr5
.LBB8_1990:
	s_and_not1_saveexec_b32 s6, s6
; %bb.1991:
	v_mov_b32_e32 v4, 0x7f
	v_cmp_lt_u32_e32 vcc_lo, 0x7f800000, v5
	s_delay_alu instid0(VALU_DEP_2)
	v_cndmask_b32_e32 v4, 0x7c, v4, vcc_lo
; %bb.1992:
	s_or_b32 exec_lo, exec_lo, s6
	v_lshrrev_b32_e32 v1, 24, v1
	s_delay_alu instid0(VALU_DEP_1)
	v_and_or_b32 v1, 0x80, v1, v4
	global_store_b8 v[2:3], v1, off
.LBB8_1993:
	s_mov_b32 s6, 0
	s_mov_b32 s7, -1
.LBB8_1994:
	s_and_not1_b32 vcc_lo, exec_lo, s6
	s_mov_b32 s6, 0
	s_cbranch_vccnz .LBB8_2001
; %bb.1995:
	s_cmp_gt_i32 s3, 14
	s_mov_b32 s6, -1
	s_cbranch_scc0 .LBB8_1999
; %bb.1996:
	s_cmp_eq_u32 s3, 15
	s_mov_b32 s0, -1
	s_cbranch_scc0 .LBB8_1998
; %bb.1997:
	s_wait_xcnt 0x0
	v_cvt_f32_f64_e32 v1, v[8:9]
	s_mov_b32 s0, 0
	s_mov_b32 s7, -1
	s_delay_alu instid0(VALU_DEP_1) | instskip(SKIP_1) | instid1(VALU_DEP_2)
	v_bfe_u32 v4, v1, 16, 1
	v_cmp_o_f32_e32 vcc_lo, v1, v1
	v_add3_u32 v4, v1, v4, 0x7fff
	s_delay_alu instid0(VALU_DEP_1) | instskip(NEXT) | instid1(VALU_DEP_1)
	v_lshrrev_b32_e32 v4, 16, v4
	v_cndmask_b32_e32 v1, 0x7fc0, v4, vcc_lo
	global_store_b16 v[2:3], v1, off
.LBB8_1998:
	s_mov_b32 s6, 0
.LBB8_1999:
	s_delay_alu instid0(SALU_CYCLE_1)
	s_and_b32 vcc_lo, exec_lo, s6
	s_mov_b32 s6, 0
	s_cbranch_vccz .LBB8_2001
; %bb.2000:
	s_cmp_lg_u32 s3, 11
	s_mov_b32 s6, -1
	s_cselect_b32 s0, -1, 0
.LBB8_2001:
	s_delay_alu instid0(SALU_CYCLE_1)
	s_and_b32 vcc_lo, exec_lo, s0
	s_cbranch_vccnz .LBB8_2137
; %bb.2002:
	s_and_not1_b32 vcc_lo, exec_lo, s6
	s_cbranch_vccnz .LBB8_2004
.LBB8_2003:
	v_cmp_neq_f64_e32 vcc_lo, 0, v[8:9]
	s_mov_b32 s7, -1
	s_wait_xcnt 0x0
	v_cndmask_b32_e64 v1, 0, 1, vcc_lo
	global_store_b8 v[2:3], v1, off
.LBB8_2004:
	s_mov_b32 s0, 0
	s_branch .LBB8_2006
.LBB8_2005:
	s_mov_b32 s0, -1
	s_mov_b32 s7, 0
.LBB8_2006:
	s_and_b32 vcc_lo, exec_lo, s0
	s_cbranch_vccz .LBB8_2045
; %bb.2007:
	s_and_b32 s0, 0xffff, s12
	s_mov_b32 s3, -1
	s_cmp_lt_i32 s0, 5
	s_cbranch_scc1 .LBB8_2028
; %bb.2008:
	s_cmp_lt_i32 s0, 8
	s_cbranch_scc1 .LBB8_2018
; %bb.2009:
	;; [unrolled: 3-line block ×3, first 2 shown]
	s_cmp_gt_i32 s0, 9
	s_cbranch_scc0 .LBB8_2012
; %bb.2011:
	v_mov_b32_e32 v10, 0
	s_mov_b32 s3, 0
	s_delay_alu instid0(VALU_DEP_1)
	v_mov_b32_e32 v11, v10
	global_store_b128 v[2:3], v[8:11], off
.LBB8_2012:
	s_and_not1_b32 vcc_lo, exec_lo, s3
	s_cbranch_vccnz .LBB8_2014
; %bb.2013:
	s_wait_xcnt 0x0
	v_cvt_f32_f64_e32 v4, v[8:9]
	v_mov_b32_e32 v5, 0
	global_store_b64 v[2:3], v[4:5], off
.LBB8_2014:
	s_mov_b32 s3, 0
.LBB8_2015:
	s_delay_alu instid0(SALU_CYCLE_1)
	s_and_not1_b32 vcc_lo, exec_lo, s3
	s_cbranch_vccnz .LBB8_2017
; %bb.2016:
	s_wait_xcnt 0x0
	v_and_or_b32 v1, 0x1ff, v9, v8
	v_lshrrev_b32_e32 v4, 8, v9
	v_bfe_u32 v5, v9, 20, 11
	s_delay_alu instid0(VALU_DEP_3) | instskip(NEXT) | instid1(VALU_DEP_2)
	v_cmp_ne_u32_e32 vcc_lo, 0, v1
	v_sub_nc_u32_e32 v6, 0x3f1, v5
	v_add_nc_u32_e32 v5, 0xfffffc10, v5
	v_cndmask_b32_e64 v1, 0, 1, vcc_lo
	s_delay_alu instid0(VALU_DEP_1) | instskip(NEXT) | instid1(VALU_DEP_4)
	v_and_or_b32 v1, 0xffe, v4, v1
	v_med3_i32 v4, v6, 0, 13
	s_delay_alu instid0(VALU_DEP_2) | instskip(NEXT) | instid1(VALU_DEP_1)
	v_or_b32_e32 v6, 0x1000, v1
	v_lshrrev_b32_e32 v7, v4, v6
	s_delay_alu instid0(VALU_DEP_1) | instskip(NEXT) | instid1(VALU_DEP_1)
	v_lshlrev_b32_e32 v4, v4, v7
	v_cmp_ne_u32_e32 vcc_lo, v4, v6
	v_lshl_or_b32 v6, v5, 12, v1
	v_cndmask_b32_e64 v4, 0, 1, vcc_lo
	v_cmp_gt_i32_e32 vcc_lo, 1, v5
	s_delay_alu instid0(VALU_DEP_2) | instskip(NEXT) | instid1(VALU_DEP_1)
	v_or_b32_e32 v4, v7, v4
	v_cndmask_b32_e32 v4, v6, v4, vcc_lo
	s_delay_alu instid0(VALU_DEP_1) | instskip(NEXT) | instid1(VALU_DEP_1)
	v_dual_lshrrev_b32 v4, 2, v4 :: v_dual_bitop2_b32 v6, 7, v4 bitop3:0x40
	v_cmp_lt_i32_e32 vcc_lo, 5, v6
	v_cndmask_b32_e64 v7, 0, 1, vcc_lo
	v_cmp_eq_u32_e32 vcc_lo, 3, v6
	v_cndmask_b32_e64 v6, 0, 1, vcc_lo
	v_cmp_ne_u32_e32 vcc_lo, 0, v1
	s_delay_alu instid0(VALU_DEP_2) | instskip(NEXT) | instid1(VALU_DEP_1)
	v_or_b32_e32 v6, v6, v7
	v_dual_mov_b32 v7, 0x7e00 :: v_dual_add_nc_u32 v4, v4, v6
	s_delay_alu instid0(VALU_DEP_1) | instskip(SKIP_2) | instid1(VALU_DEP_4)
	v_cndmask_b32_e32 v1, 0x7c00, v7, vcc_lo
	v_cmp_gt_i32_e32 vcc_lo, 31, v5
	v_lshrrev_b32_e32 v6, 16, v9
	v_cndmask_b32_e32 v4, 0x7c00, v4, vcc_lo
	v_cmp_eq_u32_e32 vcc_lo, 0x40f, v5
	s_delay_alu instid0(VALU_DEP_2) | instskip(NEXT) | instid1(VALU_DEP_4)
	v_cndmask_b32_e32 v1, v4, v1, vcc_lo
	v_and_b32_e32 v4, 0x8000, v6
	s_delay_alu instid0(VALU_DEP_1)
	v_bitop3_b32 v1, v4, 0xffff, v1 bitop3:0xc8
	global_store_b32 v[2:3], v1, off
.LBB8_2017:
	s_mov_b32 s3, 0
.LBB8_2018:
	s_delay_alu instid0(SALU_CYCLE_1)
	s_and_not1_b32 vcc_lo, exec_lo, s3
	s_cbranch_vccnz .LBB8_2027
; %bb.2019:
	s_cmp_lt_i32 s0, 6
	s_mov_b32 s3, -1
	s_cbranch_scc1 .LBB8_2025
; %bb.2020:
	s_cmp_gt_i32 s0, 6
	s_cbranch_scc0 .LBB8_2022
; %bb.2021:
	s_mov_b32 s3, 0
	global_store_b64 v[2:3], v[8:9], off
.LBB8_2022:
	s_and_not1_b32 vcc_lo, exec_lo, s3
	s_cbranch_vccnz .LBB8_2024
; %bb.2023:
	s_wait_xcnt 0x0
	v_cvt_f32_f64_e32 v1, v[8:9]
	global_store_b32 v[2:3], v1, off
.LBB8_2024:
	s_mov_b32 s3, 0
.LBB8_2025:
	s_delay_alu instid0(SALU_CYCLE_1)
	s_and_not1_b32 vcc_lo, exec_lo, s3
	s_cbranch_vccnz .LBB8_2027
; %bb.2026:
	s_wait_xcnt 0x0
	v_and_or_b32 v1, 0x1ff, v9, v8
	v_lshrrev_b32_e32 v4, 8, v9
	v_bfe_u32 v5, v9, 20, 11
	s_delay_alu instid0(VALU_DEP_3) | instskip(NEXT) | instid1(VALU_DEP_2)
	v_cmp_ne_u32_e32 vcc_lo, 0, v1
	v_sub_nc_u32_e32 v6, 0x3f1, v5
	v_add_nc_u32_e32 v5, 0xfffffc10, v5
	v_cndmask_b32_e64 v1, 0, 1, vcc_lo
	s_delay_alu instid0(VALU_DEP_1) | instskip(NEXT) | instid1(VALU_DEP_4)
	v_and_or_b32 v1, 0xffe, v4, v1
	v_med3_i32 v4, v6, 0, 13
	s_delay_alu instid0(VALU_DEP_2) | instskip(NEXT) | instid1(VALU_DEP_1)
	v_or_b32_e32 v6, 0x1000, v1
	v_lshrrev_b32_e32 v7, v4, v6
	s_delay_alu instid0(VALU_DEP_1) | instskip(NEXT) | instid1(VALU_DEP_1)
	v_lshlrev_b32_e32 v4, v4, v7
	v_cmp_ne_u32_e32 vcc_lo, v4, v6
	v_lshl_or_b32 v6, v5, 12, v1
	v_cndmask_b32_e64 v4, 0, 1, vcc_lo
	v_cmp_gt_i32_e32 vcc_lo, 1, v5
	s_delay_alu instid0(VALU_DEP_2) | instskip(NEXT) | instid1(VALU_DEP_1)
	v_or_b32_e32 v4, v7, v4
	v_cndmask_b32_e32 v4, v6, v4, vcc_lo
	s_delay_alu instid0(VALU_DEP_1) | instskip(NEXT) | instid1(VALU_DEP_1)
	v_dual_lshrrev_b32 v4, 2, v4 :: v_dual_bitop2_b32 v6, 7, v4 bitop3:0x40
	v_cmp_lt_i32_e32 vcc_lo, 5, v6
	v_cndmask_b32_e64 v7, 0, 1, vcc_lo
	v_cmp_eq_u32_e32 vcc_lo, 3, v6
	v_cndmask_b32_e64 v6, 0, 1, vcc_lo
	v_cmp_ne_u32_e32 vcc_lo, 0, v1
	s_delay_alu instid0(VALU_DEP_2) | instskip(NEXT) | instid1(VALU_DEP_1)
	v_or_b32_e32 v6, v6, v7
	v_dual_mov_b32 v7, 0x7e00 :: v_dual_add_nc_u32 v4, v4, v6
	s_delay_alu instid0(VALU_DEP_1) | instskip(SKIP_1) | instid1(VALU_DEP_3)
	v_cndmask_b32_e32 v1, 0x7c00, v7, vcc_lo
	v_cmp_gt_i32_e32 vcc_lo, 31, v5
	v_cndmask_b32_e32 v4, 0x7c00, v4, vcc_lo
	v_cmp_eq_u32_e32 vcc_lo, 0x40f, v5
	s_delay_alu instid0(VALU_DEP_2) | instskip(SKIP_1) | instid1(VALU_DEP_1)
	v_cndmask_b32_e32 v1, v4, v1, vcc_lo
	v_lshrrev_b32_e32 v4, 16, v9
	v_and_or_b32 v1, 0x8000, v4, v1
	global_store_b16 v[2:3], v1, off
.LBB8_2027:
	s_mov_b32 s3, 0
.LBB8_2028:
	s_delay_alu instid0(SALU_CYCLE_1)
	s_and_not1_b32 vcc_lo, exec_lo, s3
	s_cbranch_vccnz .LBB8_2044
; %bb.2029:
	s_cmp_lt_i32 s0, 2
	s_mov_b32 s3, -1
	s_cbranch_scc1 .LBB8_2039
; %bb.2030:
	s_cmp_lt_i32 s0, 3
	s_cbranch_scc1 .LBB8_2036
; %bb.2031:
	s_cmp_gt_i32 s0, 3
	s_cbranch_scc0 .LBB8_2033
; %bb.2032:
	s_wait_xcnt 0x0
	v_trunc_f64_e32 v[4:5], v[8:9]
	s_mov_b32 s3, 0
	s_delay_alu instid0(VALU_DEP_1) | instskip(NEXT) | instid1(VALU_DEP_1)
	v_ldexp_f64 v[6:7], v[4:5], 0xffffffe0
	v_floor_f64_e32 v[6:7], v[6:7]
	s_delay_alu instid0(VALU_DEP_1) | instskip(SKIP_1) | instid1(VALU_DEP_2)
	v_fmamk_f64 v[4:5], v[6:7], 0xc1f00000, v[4:5]
	v_cvt_i32_f64_e32 v7, v[6:7]
	v_cvt_u32_f64_e32 v6, v[4:5]
	global_store_b64 v[2:3], v[6:7], off
.LBB8_2033:
	s_and_not1_b32 vcc_lo, exec_lo, s3
	s_cbranch_vccnz .LBB8_2035
; %bb.2034:
	s_wait_xcnt 0x0
	v_cvt_i32_f64_e32 v1, v[8:9]
	global_store_b32 v[2:3], v1, off
.LBB8_2035:
	s_mov_b32 s3, 0
.LBB8_2036:
	s_delay_alu instid0(SALU_CYCLE_1)
	s_and_not1_b32 vcc_lo, exec_lo, s3
	s_cbranch_vccnz .LBB8_2038
; %bb.2037:
	s_wait_xcnt 0x0
	v_cvt_i32_f64_e32 v1, v[8:9]
	global_store_b16 v[2:3], v1, off
.LBB8_2038:
	s_mov_b32 s3, 0
.LBB8_2039:
	s_delay_alu instid0(SALU_CYCLE_1)
	s_and_not1_b32 vcc_lo, exec_lo, s3
	s_cbranch_vccnz .LBB8_2044
; %bb.2040:
	s_cmp_gt_i32 s0, 0
	s_mov_b32 s0, -1
	s_cbranch_scc0 .LBB8_2042
; %bb.2041:
	s_wait_xcnt 0x0
	v_cvt_i32_f64_e32 v1, v[8:9]
	s_mov_b32 s0, 0
	global_store_b8 v[2:3], v1, off
.LBB8_2042:
	s_and_not1_b32 vcc_lo, exec_lo, s0
	s_cbranch_vccnz .LBB8_2044
; %bb.2043:
	s_wait_xcnt 0x0
	v_trunc_f64_e32 v[4:5], v[8:9]
	s_delay_alu instid0(VALU_DEP_1) | instskip(NEXT) | instid1(VALU_DEP_1)
	v_ldexp_f64 v[6:7], v[4:5], 0xffffffe0
	v_floor_f64_e32 v[6:7], v[6:7]
	s_delay_alu instid0(VALU_DEP_1) | instskip(NEXT) | instid1(VALU_DEP_1)
	v_fmamk_f64 v[4:5], v[6:7], 0xc1f00000, v[4:5]
	v_cvt_u32_f64_e32 v1, v[4:5]
	global_store_b8 v[2:3], v1, off
.LBB8_2044:
	s_mov_b32 s7, -1
.LBB8_2045:
	s_delay_alu instid0(SALU_CYCLE_1)
	s_and_not1_b32 vcc_lo, exec_lo, s7
	s_cbranch_vccnz .LBB8_2122
; %bb.2046:
	v_add_nc_u32_e32 v0, s2, v0
	s_cmp_lt_i32 s12, 11
	s_wait_xcnt 0x0
	s_delay_alu instid0(VALU_DEP_1) | instskip(NEXT) | instid1(VALU_DEP_1)
	v_ashrrev_i32_e32 v1, 31, v0
	v_add_nc_u64_e32 v[0:1], s[4:5], v[0:1]
	s_cbranch_scc1 .LBB8_2123
; %bb.2047:
	s_and_b32 s2, 0xffff, s12
	s_mov_b32 s4, -1
	s_mov_b32 s3, 0
	s_cmp_gt_i32 s2, 25
	s_mov_b32 s0, 0
	s_cbranch_scc0 .LBB8_2080
; %bb.2048:
	s_cmp_gt_i32 s2, 28
	s_cbranch_scc0 .LBB8_2064
; %bb.2049:
	s_cmp_gt_i32 s2, 43
	;; [unrolled: 3-line block ×3, first 2 shown]
	s_cbranch_scc0 .LBB8_2054
; %bb.2051:
	s_cmp_eq_u32 s2, 46
	s_mov_b32 s0, -1
	s_cbranch_scc0 .LBB8_2053
; %bb.2052:
	v_cvt_f32_f64_e32 v2, v[12:13]
	s_mov_b32 s0, 0
	s_delay_alu instid0(VALU_DEP_1) | instskip(SKIP_1) | instid1(VALU_DEP_2)
	v_bfe_u32 v3, v2, 16, 1
	v_cmp_o_f32_e32 vcc_lo, v2, v2
	v_add3_u32 v3, v2, v3, 0x7fff
	s_delay_alu instid0(VALU_DEP_1) | instskip(NEXT) | instid1(VALU_DEP_1)
	v_lshrrev_b32_e32 v3, 16, v3
	v_cndmask_b32_e32 v2, 0x7fc0, v3, vcc_lo
	global_store_b32 v[0:1], v2, off
.LBB8_2053:
	s_mov_b32 s4, 0
.LBB8_2054:
	s_delay_alu instid0(SALU_CYCLE_1)
	s_and_b32 vcc_lo, exec_lo, s4
	s_cbranch_vccz .LBB8_2059
; %bb.2055:
	s_cmp_eq_u32 s2, 44
	s_mov_b32 s0, -1
	s_cbranch_scc0 .LBB8_2059
; %bb.2056:
	s_wait_xcnt 0x0
	v_cvt_f32_f64_e32 v2, v[12:13]
	v_mov_b32_e32 v3, 0xff
	s_mov_b32 s4, exec_lo
	s_delay_alu instid0(VALU_DEP_2) | instskip(NEXT) | instid1(VALU_DEP_1)
	v_bfe_u32 v4, v2, 23, 8
	v_cmpx_ne_u32_e32 0xff, v4
	s_cbranch_execz .LBB8_2058
; %bb.2057:
	v_and_b32_e32 v3, 0x400000, v2
	v_and_or_b32 v4, 0x3fffff, v2, v4
	v_lshrrev_b32_e32 v2, 23, v2
	s_delay_alu instid0(VALU_DEP_3) | instskip(NEXT) | instid1(VALU_DEP_3)
	v_cmp_ne_u32_e32 vcc_lo, 0, v3
	v_cmp_ne_u32_e64 s0, 0, v4
	s_and_b32 s0, vcc_lo, s0
	s_delay_alu instid0(SALU_CYCLE_1) | instskip(NEXT) | instid1(VALU_DEP_1)
	v_cndmask_b32_e64 v3, 0, 1, s0
	v_add_nc_u32_e32 v3, v2, v3
.LBB8_2058:
	s_or_b32 exec_lo, exec_lo, s4
	s_mov_b32 s0, 0
	global_store_b8 v[0:1], v3, off
.LBB8_2059:
	s_mov_b32 s4, 0
.LBB8_2060:
	s_delay_alu instid0(SALU_CYCLE_1)
	s_and_b32 vcc_lo, exec_lo, s4
	s_cbranch_vccz .LBB8_2063
; %bb.2061:
	s_cmp_eq_u32 s2, 29
	s_mov_b32 s0, -1
	s_cbranch_scc0 .LBB8_2063
; %bb.2062:
	s_wait_xcnt 0x0
	v_trunc_f64_e32 v[2:3], v[12:13]
	s_mov_b32 s0, 0
	s_delay_alu instid0(VALU_DEP_1) | instskip(NEXT) | instid1(VALU_DEP_1)
	v_ldexp_f64 v[4:5], v[2:3], 0xffffffe0
	v_floor_f64_e32 v[4:5], v[4:5]
	s_delay_alu instid0(VALU_DEP_1) | instskip(SKIP_1) | instid1(VALU_DEP_2)
	v_fmamk_f64 v[2:3], v[4:5], 0xc1f00000, v[2:3]
	v_cvt_u32_f64_e32 v5, v[4:5]
	v_cvt_u32_f64_e32 v4, v[2:3]
	global_store_b64 v[0:1], v[4:5], off
.LBB8_2063:
	s_mov_b32 s4, 0
.LBB8_2064:
	s_delay_alu instid0(SALU_CYCLE_1)
	s_and_b32 vcc_lo, exec_lo, s4
	s_cbranch_vccz .LBB8_2079
; %bb.2065:
	s_cmp_lt_i32 s2, 27
	s_mov_b32 s4, -1
	s_cbranch_scc1 .LBB8_2071
; %bb.2066:
	s_wait_xcnt 0x0
	v_cvt_u32_f64_e32 v2, v[12:13]
	s_cmp_gt_i32 s2, 27
	s_cbranch_scc0 .LBB8_2068
; %bb.2067:
	s_mov_b32 s4, 0
	global_store_b32 v[0:1], v2, off
.LBB8_2068:
	s_and_not1_b32 vcc_lo, exec_lo, s4
	s_cbranch_vccnz .LBB8_2070
; %bb.2069:
	global_store_b16 v[0:1], v2, off
.LBB8_2070:
	s_mov_b32 s4, 0
.LBB8_2071:
	s_delay_alu instid0(SALU_CYCLE_1)
	s_and_not1_b32 vcc_lo, exec_lo, s4
	s_cbranch_vccnz .LBB8_2079
; %bb.2072:
	s_wait_xcnt 0x0
	v_cvt_f32_f64_e32 v2, v[12:13]
	v_mov_b32_e32 v4, 0x80
	s_mov_b32 s4, exec_lo
	s_delay_alu instid0(VALU_DEP_2) | instskip(NEXT) | instid1(VALU_DEP_1)
	v_and_b32_e32 v3, 0x7fffffff, v2
	v_cmpx_gt_u32_e32 0x43800000, v3
	s_cbranch_execz .LBB8_2078
; %bb.2073:
	v_cmp_lt_u32_e32 vcc_lo, 0x3bffffff, v3
	s_mov_b32 s5, 0
                                        ; implicit-def: $vgpr3
	s_and_saveexec_b32 s6, vcc_lo
	s_delay_alu instid0(SALU_CYCLE_1)
	s_xor_b32 s6, exec_lo, s6
	s_cbranch_execz .LBB8_2140
; %bb.2074:
	v_bfe_u32 v3, v2, 20, 1
	s_mov_b32 s5, exec_lo
	s_delay_alu instid0(VALU_DEP_1) | instskip(NEXT) | instid1(VALU_DEP_1)
	v_add3_u32 v3, v2, v3, 0x487ffff
	v_lshrrev_b32_e32 v3, 20, v3
	s_and_not1_saveexec_b32 s6, s6
	s_cbranch_execnz .LBB8_2141
.LBB8_2075:
	s_or_b32 exec_lo, exec_lo, s6
	v_mov_b32_e32 v4, 0
	s_and_saveexec_b32 s6, s5
.LBB8_2076:
	v_lshrrev_b32_e32 v2, 24, v2
	s_delay_alu instid0(VALU_DEP_1)
	v_and_or_b32 v4, 0x80, v2, v3
.LBB8_2077:
	s_or_b32 exec_lo, exec_lo, s6
.LBB8_2078:
	s_delay_alu instid0(SALU_CYCLE_1)
	s_or_b32 exec_lo, exec_lo, s4
	global_store_b8 v[0:1], v4, off
.LBB8_2079:
	s_mov_b32 s4, 0
.LBB8_2080:
	s_delay_alu instid0(SALU_CYCLE_1)
	s_and_b32 vcc_lo, exec_lo, s4
	s_cbranch_vccz .LBB8_2120
; %bb.2081:
	s_cmp_gt_i32 s2, 22
	s_mov_b32 s3, -1
	s_cbranch_scc0 .LBB8_2113
; %bb.2082:
	s_cmp_lt_i32 s2, 24
	s_cbranch_scc1 .LBB8_2102
; %bb.2083:
	s_cmp_gt_i32 s2, 24
	s_cbranch_scc0 .LBB8_2091
; %bb.2084:
	s_wait_xcnt 0x0
	v_cvt_f32_f64_e32 v2, v[12:13]
	v_mov_b32_e32 v4, 0x80
	s_mov_b32 s3, exec_lo
	s_delay_alu instid0(VALU_DEP_2) | instskip(NEXT) | instid1(VALU_DEP_1)
	v_and_b32_e32 v3, 0x7fffffff, v2
	v_cmpx_gt_u32_e32 0x47800000, v3
	s_cbranch_execz .LBB8_2090
; %bb.2085:
	v_cmp_lt_u32_e32 vcc_lo, 0x37ffffff, v3
	s_mov_b32 s4, 0
                                        ; implicit-def: $vgpr3
	s_and_saveexec_b32 s5, vcc_lo
	s_delay_alu instid0(SALU_CYCLE_1)
	s_xor_b32 s5, exec_lo, s5
	s_cbranch_execz .LBB8_2143
; %bb.2086:
	v_bfe_u32 v3, v2, 21, 1
	s_mov_b32 s4, exec_lo
	s_delay_alu instid0(VALU_DEP_1) | instskip(NEXT) | instid1(VALU_DEP_1)
	v_add3_u32 v3, v2, v3, 0x88fffff
	v_lshrrev_b32_e32 v3, 21, v3
	s_and_not1_saveexec_b32 s5, s5
	s_cbranch_execnz .LBB8_2144
.LBB8_2087:
	s_or_b32 exec_lo, exec_lo, s5
	v_mov_b32_e32 v4, 0
	s_and_saveexec_b32 s5, s4
.LBB8_2088:
	v_lshrrev_b32_e32 v2, 24, v2
	s_delay_alu instid0(VALU_DEP_1)
	v_and_or_b32 v4, 0x80, v2, v3
.LBB8_2089:
	s_or_b32 exec_lo, exec_lo, s5
.LBB8_2090:
	s_delay_alu instid0(SALU_CYCLE_1)
	s_or_b32 exec_lo, exec_lo, s3
	s_mov_b32 s3, 0
	global_store_b8 v[0:1], v4, off
.LBB8_2091:
	s_and_b32 vcc_lo, exec_lo, s3
	s_cbranch_vccz .LBB8_2101
; %bb.2092:
	s_wait_xcnt 0x0
	v_cvt_f32_f64_e32 v2, v[12:13]
	s_mov_b32 s3, exec_lo
                                        ; implicit-def: $vgpr3
	s_delay_alu instid0(VALU_DEP_1) | instskip(NEXT) | instid1(VALU_DEP_1)
	v_and_b32_e32 v4, 0x7fffffff, v2
	v_cmpx_gt_u32_e32 0x43f00000, v4
	s_xor_b32 s3, exec_lo, s3
	s_cbranch_execz .LBB8_2098
; %bb.2093:
	s_mov_b32 s4, exec_lo
                                        ; implicit-def: $vgpr3
	v_cmpx_lt_u32_e32 0x3c7fffff, v4
	s_xor_b32 s4, exec_lo, s4
; %bb.2094:
	v_bfe_u32 v3, v2, 20, 1
	s_delay_alu instid0(VALU_DEP_1) | instskip(NEXT) | instid1(VALU_DEP_1)
	v_add3_u32 v3, v2, v3, 0x407ffff
	v_and_b32_e32 v4, 0xff00000, v3
	v_lshrrev_b32_e32 v3, 20, v3
	s_delay_alu instid0(VALU_DEP_2) | instskip(NEXT) | instid1(VALU_DEP_2)
	v_cmp_ne_u32_e32 vcc_lo, 0x7f00000, v4
	v_cndmask_b32_e32 v3, 0x7e, v3, vcc_lo
; %bb.2095:
	s_and_not1_saveexec_b32 s4, s4
; %bb.2096:
	v_add_f32_e64 v3, 0x46800000, |v2|
; %bb.2097:
	s_or_b32 exec_lo, exec_lo, s4
                                        ; implicit-def: $vgpr4
.LBB8_2098:
	s_and_not1_saveexec_b32 s3, s3
; %bb.2099:
	v_mov_b32_e32 v3, 0x7f
	v_cmp_lt_u32_e32 vcc_lo, 0x7f800000, v4
	s_delay_alu instid0(VALU_DEP_2)
	v_cndmask_b32_e32 v3, 0x7e, v3, vcc_lo
; %bb.2100:
	s_or_b32 exec_lo, exec_lo, s3
	v_lshrrev_b32_e32 v2, 24, v2
	s_delay_alu instid0(VALU_DEP_1)
	v_and_or_b32 v2, 0x80, v2, v3
	global_store_b8 v[0:1], v2, off
.LBB8_2101:
	s_mov_b32 s3, 0
.LBB8_2102:
	s_delay_alu instid0(SALU_CYCLE_1)
	s_and_not1_b32 vcc_lo, exec_lo, s3
	s_cbranch_vccnz .LBB8_2112
; %bb.2103:
	s_wait_xcnt 0x0
	v_cvt_f32_f64_e32 v2, v[12:13]
	s_mov_b32 s3, exec_lo
                                        ; implicit-def: $vgpr3
	s_delay_alu instid0(VALU_DEP_1) | instskip(NEXT) | instid1(VALU_DEP_1)
	v_and_b32_e32 v4, 0x7fffffff, v2
	v_cmpx_gt_u32_e32 0x47800000, v4
	s_xor_b32 s3, exec_lo, s3
	s_cbranch_execz .LBB8_2109
; %bb.2104:
	s_mov_b32 s4, exec_lo
                                        ; implicit-def: $vgpr3
	v_cmpx_lt_u32_e32 0x387fffff, v4
	s_xor_b32 s4, exec_lo, s4
; %bb.2105:
	v_bfe_u32 v3, v2, 21, 1
	s_delay_alu instid0(VALU_DEP_1) | instskip(NEXT) | instid1(VALU_DEP_1)
	v_add3_u32 v3, v2, v3, 0x80fffff
	v_lshrrev_b32_e32 v3, 21, v3
; %bb.2106:
	s_and_not1_saveexec_b32 s4, s4
; %bb.2107:
	v_add_f32_e64 v3, 0x43000000, |v2|
; %bb.2108:
	s_or_b32 exec_lo, exec_lo, s4
                                        ; implicit-def: $vgpr4
.LBB8_2109:
	s_and_not1_saveexec_b32 s3, s3
; %bb.2110:
	v_mov_b32_e32 v3, 0x7f
	v_cmp_lt_u32_e32 vcc_lo, 0x7f800000, v4
	s_delay_alu instid0(VALU_DEP_2)
	v_cndmask_b32_e32 v3, 0x7c, v3, vcc_lo
; %bb.2111:
	s_or_b32 exec_lo, exec_lo, s3
	v_lshrrev_b32_e32 v2, 24, v2
	s_delay_alu instid0(VALU_DEP_1)
	v_and_or_b32 v2, 0x80, v2, v3
	global_store_b8 v[0:1], v2, off
.LBB8_2112:
	s_mov_b32 s3, 0
.LBB8_2113:
	s_delay_alu instid0(SALU_CYCLE_1)
	s_and_not1_b32 vcc_lo, exec_lo, s3
	s_mov_b32 s3, 0
	s_cbranch_vccnz .LBB8_2120
; %bb.2114:
	s_cmp_gt_i32 s2, 14
	s_mov_b32 s3, -1
	s_cbranch_scc0 .LBB8_2118
; %bb.2115:
	s_cmp_eq_u32 s2, 15
	s_mov_b32 s0, -1
	s_cbranch_scc0 .LBB8_2117
; %bb.2116:
	s_wait_xcnt 0x0
	v_cvt_f32_f64_e32 v2, v[12:13]
	s_mov_b32 s0, 0
	s_delay_alu instid0(VALU_DEP_1) | instskip(SKIP_1) | instid1(VALU_DEP_2)
	v_bfe_u32 v3, v2, 16, 1
	v_cmp_o_f32_e32 vcc_lo, v2, v2
	v_add3_u32 v3, v2, v3, 0x7fff
	s_delay_alu instid0(VALU_DEP_1) | instskip(NEXT) | instid1(VALU_DEP_1)
	v_lshrrev_b32_e32 v3, 16, v3
	v_cndmask_b32_e32 v2, 0x7fc0, v3, vcc_lo
	global_store_b16 v[0:1], v2, off
.LBB8_2117:
	s_mov_b32 s3, 0
.LBB8_2118:
	s_delay_alu instid0(SALU_CYCLE_1)
	s_and_b32 vcc_lo, exec_lo, s3
	s_mov_b32 s3, 0
	s_cbranch_vccz .LBB8_2120
; %bb.2119:
	s_cmp_lg_u32 s2, 11
	s_mov_b32 s3, -1
	s_cselect_b32 s0, -1, 0
.LBB8_2120:
	s_delay_alu instid0(SALU_CYCLE_1)
	s_and_b32 vcc_lo, exec_lo, s0
	s_cbranch_vccnz .LBB8_2142
.LBB8_2121:
	s_mov_b32 s0, 0
	s_branch .LBB8_1723
.LBB8_2122:
	s_mov_b32 s0, 0
	s_mov_b32 s3, 0
                                        ; implicit-def: $sgpr12
                                        ; implicit-def: $vgpr0_vgpr1
	s_branch .LBB8_1723
.LBB8_2123:
	s_mov_b32 s3, 0
	s_mov_b32 s0, -1
	s_branch .LBB8_1723
.LBB8_2124:
	s_or_b32 s1, s1, exec_lo
	s_trap 2
	s_cbranch_execz .LBB8_1580
	s_branch .LBB8_1581
.LBB8_2125:
	s_and_not1_saveexec_b32 s9, s9
	s_cbranch_execz .LBB8_1672
.LBB8_2126:
	v_add_f32_e64 v3, 0x46000000, |v2|
	s_and_not1_b32 s8, s8, exec_lo
	s_delay_alu instid0(VALU_DEP_1) | instskip(NEXT) | instid1(VALU_DEP_1)
	v_and_b32_e32 v3, 0xff, v3
	v_cmp_ne_u32_e32 vcc_lo, 0, v3
	s_and_b32 s13, vcc_lo, exec_lo
	s_delay_alu instid0(SALU_CYCLE_1)
	s_or_b32 s8, s8, s13
	s_or_b32 exec_lo, exec_lo, s9
	v_mov_b32_e32 v7, 0
	s_and_saveexec_b32 s9, s8
	s_cbranch_execnz .LBB8_1673
	s_branch .LBB8_1674
.LBB8_2127:
	s_or_b32 s1, s1, exec_lo
	s_trap 2
	s_cbranch_execz .LBB8_1720
	s_branch .LBB8_1721
.LBB8_2128:
	s_and_not1_saveexec_b32 s8, s8
	s_cbranch_execz .LBB8_1685
.LBB8_2129:
	v_add_f32_e64 v3, 0x42800000, |v2|
	s_and_not1_b32 s7, s7, exec_lo
	s_delay_alu instid0(VALU_DEP_1) | instskip(NEXT) | instid1(VALU_DEP_1)
	v_and_b32_e32 v3, 0xff, v3
	v_cmp_ne_u32_e32 vcc_lo, 0, v3
	s_and_b32 s9, vcc_lo, exec_lo
	s_delay_alu instid0(SALU_CYCLE_1)
	s_or_b32 s7, s7, s9
	s_or_b32 exec_lo, exec_lo, s8
	v_mov_b32_e32 v7, 0
	s_and_saveexec_b32 s8, s7
	s_cbranch_execnz .LBB8_1686
	s_branch .LBB8_1687
.LBB8_2130:
	s_and_not1_saveexec_b32 s9, s9
	s_cbranch_execz .LBB8_1836
.LBB8_2131:
	v_add_f32_e64 v6, 0x46000000, |v1|
	s_and_not1_b32 s8, s8, exec_lo
	s_delay_alu instid0(VALU_DEP_1) | instskip(NEXT) | instid1(VALU_DEP_1)
	v_and_b32_e32 v6, 0xff, v6
	v_cmp_ne_u32_e32 vcc_lo, 0, v6
	s_and_b32 s13, vcc_lo, exec_lo
	s_delay_alu instid0(SALU_CYCLE_1)
	s_or_b32 s8, s8, s13
	s_or_b32 exec_lo, exec_lo, s9
	v_mov_b32_e32 v7, 0
	s_and_saveexec_b32 s9, s8
	s_cbranch_execnz .LBB8_1837
	s_branch .LBB8_1838
.LBB8_2132:
	s_or_b32 s1, s1, exec_lo
	s_trap 2
	s_cbranch_execz .LBB8_1884
	s_branch .LBB8_1885
.LBB8_2133:
	s_and_not1_saveexec_b32 s8, s8
	s_cbranch_execz .LBB8_1849
.LBB8_2134:
	v_add_f32_e64 v6, 0x42800000, |v1|
	s_and_not1_b32 s7, s7, exec_lo
	s_delay_alu instid0(VALU_DEP_1) | instskip(NEXT) | instid1(VALU_DEP_1)
	v_and_b32_e32 v6, 0xff, v6
	v_cmp_ne_u32_e32 vcc_lo, 0, v6
	s_and_b32 s9, vcc_lo, exec_lo
	s_delay_alu instid0(SALU_CYCLE_1)
	s_or_b32 s7, s7, s9
	s_or_b32 exec_lo, exec_lo, s8
	v_mov_b32_e32 v7, 0
	s_and_saveexec_b32 s8, s7
	s_cbranch_execnz .LBB8_1850
	s_branch .LBB8_1851
.LBB8_2135:
	s_and_not1_saveexec_b32 s9, s9
	s_cbranch_execz .LBB8_1955
.LBB8_2136:
	v_add_f32_e64 v4, 0x46000000, |v1|
	s_and_not1_b32 s8, s8, exec_lo
	s_delay_alu instid0(VALU_DEP_1) | instskip(NEXT) | instid1(VALU_DEP_1)
	v_and_b32_e32 v4, 0xff, v4
	v_cmp_ne_u32_e32 vcc_lo, 0, v4
	s_and_b32 s13, vcc_lo, exec_lo
	s_delay_alu instid0(SALU_CYCLE_1)
	s_or_b32 s8, s8, s13
	s_or_b32 exec_lo, exec_lo, s9
	v_mov_b32_e32 v5, 0
	s_and_saveexec_b32 s9, s8
	s_cbranch_execnz .LBB8_1956
	s_branch .LBB8_1957
.LBB8_2137:
	s_or_b32 s1, s1, exec_lo
	s_trap 2
	s_cbranch_execz .LBB8_2003
	s_branch .LBB8_2004
.LBB8_2138:
	s_and_not1_saveexec_b32 s8, s8
	s_cbranch_execz .LBB8_1968
.LBB8_2139:
	v_add_f32_e64 v4, 0x42800000, |v1|
	s_and_not1_b32 s7, s7, exec_lo
	s_delay_alu instid0(VALU_DEP_1) | instskip(NEXT) | instid1(VALU_DEP_1)
	v_and_b32_e32 v4, 0xff, v4
	v_cmp_ne_u32_e32 vcc_lo, 0, v4
	s_and_b32 s9, vcc_lo, exec_lo
	s_delay_alu instid0(SALU_CYCLE_1)
	s_or_b32 s7, s7, s9
	s_or_b32 exec_lo, exec_lo, s8
	v_mov_b32_e32 v5, 0
	s_and_saveexec_b32 s8, s7
	s_cbranch_execnz .LBB8_1969
	s_branch .LBB8_1970
.LBB8_2140:
	s_and_not1_saveexec_b32 s6, s6
	s_cbranch_execz .LBB8_2075
.LBB8_2141:
	v_add_f32_e64 v3, 0x46000000, |v2|
	s_and_not1_b32 s5, s5, exec_lo
	s_delay_alu instid0(VALU_DEP_1) | instskip(NEXT) | instid1(VALU_DEP_1)
	v_and_b32_e32 v3, 0xff, v3
	v_cmp_ne_u32_e32 vcc_lo, 0, v3
	s_and_b32 s7, vcc_lo, exec_lo
	s_delay_alu instid0(SALU_CYCLE_1)
	s_or_b32 s5, s5, s7
	s_or_b32 exec_lo, exec_lo, s6
	v_mov_b32_e32 v4, 0
	s_and_saveexec_b32 s6, s5
	s_cbranch_execnz .LBB8_2076
	s_branch .LBB8_2077
.LBB8_2142:
	s_mov_b32 s3, 0
	s_or_b32 s1, s1, exec_lo
	s_trap 2
	s_branch .LBB8_2121
.LBB8_2143:
	s_and_not1_saveexec_b32 s5, s5
	s_cbranch_execz .LBB8_2087
.LBB8_2144:
	v_add_f32_e64 v3, 0x42800000, |v2|
	s_and_not1_b32 s4, s4, exec_lo
	s_delay_alu instid0(VALU_DEP_1) | instskip(NEXT) | instid1(VALU_DEP_1)
	v_and_b32_e32 v3, 0xff, v3
	v_cmp_ne_u32_e32 vcc_lo, 0, v3
	s_and_b32 s6, vcc_lo, exec_lo
	s_delay_alu instid0(SALU_CYCLE_1)
	s_or_b32 s4, s4, s6
	s_or_b32 exec_lo, exec_lo, s5
	v_mov_b32_e32 v4, 0
	s_and_saveexec_b32 s5, s4
	s_cbranch_execnz .LBB8_2088
	s_branch .LBB8_2089
	.section	.rodata,"a",@progbits
	.p2align	6, 0x0
	.amdhsa_kernel _ZN2at6native32elementwise_kernel_manual_unrollILi128ELi4EZNS0_15gpu_kernel_implIZZZNS0_12_GLOBAL__N_130modified_bessel_i1_kernel_cudaERNS_18TensorIteratorBaseEENKUlvE_clEvENKUlvE_clEvEUldE_EEvS5_RKT_EUlibE_EEviT1_
		.amdhsa_group_segment_fixed_size 0
		.amdhsa_private_segment_fixed_size 0
		.amdhsa_kernarg_size 40
		.amdhsa_user_sgpr_count 2
		.amdhsa_user_sgpr_dispatch_ptr 0
		.amdhsa_user_sgpr_queue_ptr 0
		.amdhsa_user_sgpr_kernarg_segment_ptr 1
		.amdhsa_user_sgpr_dispatch_id 0
		.amdhsa_user_sgpr_kernarg_preload_length 0
		.amdhsa_user_sgpr_kernarg_preload_offset 0
		.amdhsa_user_sgpr_private_segment_size 0
		.amdhsa_wavefront_size32 1
		.amdhsa_uses_dynamic_stack 0
		.amdhsa_enable_private_segment 0
		.amdhsa_system_sgpr_workgroup_id_x 1
		.amdhsa_system_sgpr_workgroup_id_y 0
		.amdhsa_system_sgpr_workgroup_id_z 0
		.amdhsa_system_sgpr_workgroup_info 0
		.amdhsa_system_vgpr_workitem_id 0
		.amdhsa_next_free_vgpr 22
		.amdhsa_next_free_sgpr 26
		.amdhsa_named_barrier_count 0
		.amdhsa_reserve_vcc 1
		.amdhsa_float_round_mode_32 0
		.amdhsa_float_round_mode_16_64 0
		.amdhsa_float_denorm_mode_32 3
		.amdhsa_float_denorm_mode_16_64 3
		.amdhsa_fp16_overflow 0
		.amdhsa_memory_ordered 1
		.amdhsa_forward_progress 1
		.amdhsa_inst_pref_size 255
		.amdhsa_round_robin_scheduling 0
		.amdhsa_exception_fp_ieee_invalid_op 0
		.amdhsa_exception_fp_denorm_src 0
		.amdhsa_exception_fp_ieee_div_zero 0
		.amdhsa_exception_fp_ieee_overflow 0
		.amdhsa_exception_fp_ieee_underflow 0
		.amdhsa_exception_fp_ieee_inexact 0
		.amdhsa_exception_int_div_zero 0
	.end_amdhsa_kernel
	.section	.text._ZN2at6native32elementwise_kernel_manual_unrollILi128ELi4EZNS0_15gpu_kernel_implIZZZNS0_12_GLOBAL__N_130modified_bessel_i1_kernel_cudaERNS_18TensorIteratorBaseEENKUlvE_clEvENKUlvE_clEvEUldE_EEvS5_RKT_EUlibE_EEviT1_,"axG",@progbits,_ZN2at6native32elementwise_kernel_manual_unrollILi128ELi4EZNS0_15gpu_kernel_implIZZZNS0_12_GLOBAL__N_130modified_bessel_i1_kernel_cudaERNS_18TensorIteratorBaseEENKUlvE_clEvENKUlvE_clEvEUldE_EEvS5_RKT_EUlibE_EEviT1_,comdat
.Lfunc_end8:
	.size	_ZN2at6native32elementwise_kernel_manual_unrollILi128ELi4EZNS0_15gpu_kernel_implIZZZNS0_12_GLOBAL__N_130modified_bessel_i1_kernel_cudaERNS_18TensorIteratorBaseEENKUlvE_clEvENKUlvE_clEvEUldE_EEvS5_RKT_EUlibE_EEviT1_, .Lfunc_end8-_ZN2at6native32elementwise_kernel_manual_unrollILi128ELi4EZNS0_15gpu_kernel_implIZZZNS0_12_GLOBAL__N_130modified_bessel_i1_kernel_cudaERNS_18TensorIteratorBaseEENKUlvE_clEvENKUlvE_clEvEUldE_EEvS5_RKT_EUlibE_EEviT1_
                                        ; -- End function
	.set _ZN2at6native32elementwise_kernel_manual_unrollILi128ELi4EZNS0_15gpu_kernel_implIZZZNS0_12_GLOBAL__N_130modified_bessel_i1_kernel_cudaERNS_18TensorIteratorBaseEENKUlvE_clEvENKUlvE_clEvEUldE_EEvS5_RKT_EUlibE_EEviT1_.num_vgpr, 22
	.set _ZN2at6native32elementwise_kernel_manual_unrollILi128ELi4EZNS0_15gpu_kernel_implIZZZNS0_12_GLOBAL__N_130modified_bessel_i1_kernel_cudaERNS_18TensorIteratorBaseEENKUlvE_clEvENKUlvE_clEvEUldE_EEvS5_RKT_EUlibE_EEviT1_.num_agpr, 0
	.set _ZN2at6native32elementwise_kernel_manual_unrollILi128ELi4EZNS0_15gpu_kernel_implIZZZNS0_12_GLOBAL__N_130modified_bessel_i1_kernel_cudaERNS_18TensorIteratorBaseEENKUlvE_clEvENKUlvE_clEvEUldE_EEvS5_RKT_EUlibE_EEviT1_.numbered_sgpr, 26
	.set _ZN2at6native32elementwise_kernel_manual_unrollILi128ELi4EZNS0_15gpu_kernel_implIZZZNS0_12_GLOBAL__N_130modified_bessel_i1_kernel_cudaERNS_18TensorIteratorBaseEENKUlvE_clEvENKUlvE_clEvEUldE_EEvS5_RKT_EUlibE_EEviT1_.num_named_barrier, 0
	.set _ZN2at6native32elementwise_kernel_manual_unrollILi128ELi4EZNS0_15gpu_kernel_implIZZZNS0_12_GLOBAL__N_130modified_bessel_i1_kernel_cudaERNS_18TensorIteratorBaseEENKUlvE_clEvENKUlvE_clEvEUldE_EEvS5_RKT_EUlibE_EEviT1_.private_seg_size, 0
	.set _ZN2at6native32elementwise_kernel_manual_unrollILi128ELi4EZNS0_15gpu_kernel_implIZZZNS0_12_GLOBAL__N_130modified_bessel_i1_kernel_cudaERNS_18TensorIteratorBaseEENKUlvE_clEvENKUlvE_clEvEUldE_EEvS5_RKT_EUlibE_EEviT1_.uses_vcc, 1
	.set _ZN2at6native32elementwise_kernel_manual_unrollILi128ELi4EZNS0_15gpu_kernel_implIZZZNS0_12_GLOBAL__N_130modified_bessel_i1_kernel_cudaERNS_18TensorIteratorBaseEENKUlvE_clEvENKUlvE_clEvEUldE_EEvS5_RKT_EUlibE_EEviT1_.uses_flat_scratch, 0
	.set _ZN2at6native32elementwise_kernel_manual_unrollILi128ELi4EZNS0_15gpu_kernel_implIZZZNS0_12_GLOBAL__N_130modified_bessel_i1_kernel_cudaERNS_18TensorIteratorBaseEENKUlvE_clEvENKUlvE_clEvEUldE_EEvS5_RKT_EUlibE_EEviT1_.has_dyn_sized_stack, 0
	.set _ZN2at6native32elementwise_kernel_manual_unrollILi128ELi4EZNS0_15gpu_kernel_implIZZZNS0_12_GLOBAL__N_130modified_bessel_i1_kernel_cudaERNS_18TensorIteratorBaseEENKUlvE_clEvENKUlvE_clEvEUldE_EEvS5_RKT_EUlibE_EEviT1_.has_recursion, 0
	.set _ZN2at6native32elementwise_kernel_manual_unrollILi128ELi4EZNS0_15gpu_kernel_implIZZZNS0_12_GLOBAL__N_130modified_bessel_i1_kernel_cudaERNS_18TensorIteratorBaseEENKUlvE_clEvENKUlvE_clEvEUldE_EEvS5_RKT_EUlibE_EEviT1_.has_indirect_call, 0
	.section	.AMDGPU.csdata,"",@progbits
; Kernel info:
; codeLenInByte = 62764
; TotalNumSgprs: 28
; NumVgprs: 22
; ScratchSize: 0
; MemoryBound: 1
; FloatMode: 240
; IeeeMode: 1
; LDSByteSize: 0 bytes/workgroup (compile time only)
; SGPRBlocks: 0
; VGPRBlocks: 1
; NumSGPRsForWavesPerEU: 28
; NumVGPRsForWavesPerEU: 22
; NamedBarCnt: 0
; Occupancy: 16
; WaveLimiterHint : 0
; COMPUTE_PGM_RSRC2:SCRATCH_EN: 0
; COMPUTE_PGM_RSRC2:USER_SGPR: 2
; COMPUTE_PGM_RSRC2:TRAP_HANDLER: 0
; COMPUTE_PGM_RSRC2:TGID_X_EN: 1
; COMPUTE_PGM_RSRC2:TGID_Y_EN: 0
; COMPUTE_PGM_RSRC2:TGID_Z_EN: 0
; COMPUTE_PGM_RSRC2:TIDIG_COMP_CNT: 0
	.section	.text._ZN2at6native32elementwise_kernel_manual_unrollILi128ELi4EZNS0_15gpu_kernel_implIZZZNS0_12_GLOBAL__N_130modified_bessel_i1_kernel_cudaERNS_18TensorIteratorBaseEENKUlvE_clEvENKUlvE_clEvEUldE_EEvS5_RKT_EUlibE0_EEviT1_,"axG",@progbits,_ZN2at6native32elementwise_kernel_manual_unrollILi128ELi4EZNS0_15gpu_kernel_implIZZZNS0_12_GLOBAL__N_130modified_bessel_i1_kernel_cudaERNS_18TensorIteratorBaseEENKUlvE_clEvENKUlvE_clEvEUldE_EEvS5_RKT_EUlibE0_EEviT1_,comdat
	.globl	_ZN2at6native32elementwise_kernel_manual_unrollILi128ELi4EZNS0_15gpu_kernel_implIZZZNS0_12_GLOBAL__N_130modified_bessel_i1_kernel_cudaERNS_18TensorIteratorBaseEENKUlvE_clEvENKUlvE_clEvEUldE_EEvS5_RKT_EUlibE0_EEviT1_ ; -- Begin function _ZN2at6native32elementwise_kernel_manual_unrollILi128ELi4EZNS0_15gpu_kernel_implIZZZNS0_12_GLOBAL__N_130modified_bessel_i1_kernel_cudaERNS_18TensorIteratorBaseEENKUlvE_clEvENKUlvE_clEvEUldE_EEvS5_RKT_EUlibE0_EEviT1_
	.p2align	8
	.type	_ZN2at6native32elementwise_kernel_manual_unrollILi128ELi4EZNS0_15gpu_kernel_implIZZZNS0_12_GLOBAL__N_130modified_bessel_i1_kernel_cudaERNS_18TensorIteratorBaseEENKUlvE_clEvENKUlvE_clEvEUldE_EEvS5_RKT_EUlibE0_EEviT1_,@function
_ZN2at6native32elementwise_kernel_manual_unrollILi128ELi4EZNS0_15gpu_kernel_implIZZZNS0_12_GLOBAL__N_130modified_bessel_i1_kernel_cudaERNS_18TensorIteratorBaseEENKUlvE_clEvENKUlvE_clEvEUldE_EEvS5_RKT_EUlibE0_EEviT1_: ; @_ZN2at6native32elementwise_kernel_manual_unrollILi128ELi4EZNS0_15gpu_kernel_implIZZZNS0_12_GLOBAL__N_130modified_bessel_i1_kernel_cudaERNS_18TensorIteratorBaseEENKUlvE_clEvENKUlvE_clEvEUldE_EEvS5_RKT_EUlibE0_EEviT1_
; %bb.0:
	s_clause 0x1
	s_load_b32 s28, s[0:1], 0x8
	s_load_b32 s36, s[0:1], 0x0
	s_bfe_u32 s2, ttmp6, 0x4000c
	s_and_b32 s3, ttmp6, 15
	s_add_co_i32 s2, s2, 1
	s_getreg_b32 s4, hwreg(HW_REG_IB_STS2, 6, 4)
	s_mul_i32 s2, ttmp9, s2
	s_mov_b32 s30, 0
	s_add_co_i32 s3, s3, s2
	s_cmp_eq_u32 s4, 0
	s_mov_b32 s23, -1
	s_cselect_b32 s2, ttmp9, s3
	s_mov_b32 s8, 0
	v_lshl_or_b32 v4, s2, 9, v0
	s_add_nc_u64 s[2:3], s[0:1], 8
	s_wait_xcnt 0x0
	s_mov_b32 s0, exec_lo
	s_delay_alu instid0(VALU_DEP_1) | instskip(SKIP_2) | instid1(SALU_CYCLE_1)
	v_or_b32_e32 v5, 0x180, v4
	s_wait_kmcnt 0x0
	s_add_co_i32 s29, s28, -1
	s_cmp_gt_u32 s29, 1
	s_cselect_b32 s31, -1, 0
	v_cmpx_le_i32_e64 s36, v5
	s_xor_b32 s33, exec_lo, s0
	s_cbranch_execz .LBB9_1144
; %bb.1:
	v_mov_b32_e32 v0, 0
	s_clause 0x3
	s_load_b128 s[12:15], s[2:3], 0x4
	s_load_b64 s[0:1], s[2:3], 0x14
	s_load_b128 s[8:11], s[2:3], 0xc4
	s_load_b128 s[4:7], s[2:3], 0x148
	s_cmp_lg_u32 s28, 0
	s_mov_b32 s17, 0
	s_cselect_b32 s38, -1, 0
	global_load_u16 v0, v0, s[2:3] offset:345
	s_min_u32 s37, s29, 15
	s_cmp_gt_u32 s28, 1
	s_add_nc_u64 s[20:21], s[2:3], 0xc4
	s_cselect_b32 s35, -1, 0
	s_mov_b32 s19, s17
	s_mov_b32 s40, s17
	;; [unrolled: 1-line block ×3, first 2 shown]
	s_mov_b32 s41, exec_lo
	s_wait_kmcnt 0x0
	s_mov_b32 s16, s13
	s_mov_b32 s18, s0
	s_wait_loadcnt 0x0
	v_readfirstlane_b32 s34, v0
	s_and_b32 s13, 0xffff, s34
	s_delay_alu instid0(SALU_CYCLE_1)
	s_lshr_b32 s13, s13, 8
	v_cmpx_gt_i32_e64 s36, v4
	s_cbranch_execz .LBB9_279
; %bb.2:
	s_and_not1_b32 vcc_lo, exec_lo, s31
	s_cbranch_vccnz .LBB9_8
; %bb.3:
	s_and_not1_b32 vcc_lo, exec_lo, s38
	s_cbranch_vccnz .LBB9_9
; %bb.4:
	s_add_co_i32 s0, s37, 1
	s_cmp_eq_u32 s29, 2
	s_cbranch_scc1 .LBB9_10
; %bb.5:
	v_dual_mov_b32 v2, 0 :: v_dual_mov_b32 v0, 0
	v_mov_b32_e32 v1, v4
	s_and_b32 s22, s0, 28
	s_mov_b32 s23, 0
	s_mov_b64 s[24:25], s[2:3]
	s_mov_b64 s[26:27], s[20:21]
.LBB9_6:                                ; =>This Inner Loop Header: Depth=1
	s_clause 0x1
	s_load_b256 s[44:51], s[24:25], 0x4
	s_load_b128 s[60:63], s[24:25], 0x24
	s_load_b256 s[52:59], s[26:27], 0x0
	s_add_co_i32 s23, s23, 4
	s_wait_xcnt 0x0
	s_add_nc_u64 s[24:25], s[24:25], 48
	s_cmp_lg_u32 s22, s23
	s_add_nc_u64 s[26:27], s[26:27], 32
	s_wait_kmcnt 0x0
	v_mul_hi_u32 v3, s45, v1
	s_delay_alu instid0(VALU_DEP_1) | instskip(NEXT) | instid1(VALU_DEP_1)
	v_add_nc_u32_e32 v3, v1, v3
	v_lshrrev_b32_e32 v3, s46, v3
	s_delay_alu instid0(VALU_DEP_1) | instskip(NEXT) | instid1(VALU_DEP_1)
	v_mul_hi_u32 v5, s48, v3
	v_add_nc_u32_e32 v5, v3, v5
	s_delay_alu instid0(VALU_DEP_1) | instskip(NEXT) | instid1(VALU_DEP_1)
	v_lshrrev_b32_e32 v5, s49, v5
	v_mul_hi_u32 v6, s51, v5
	s_delay_alu instid0(VALU_DEP_1) | instskip(SKIP_1) | instid1(VALU_DEP_1)
	v_add_nc_u32_e32 v6, v5, v6
	v_mul_lo_u32 v7, v3, s44
	v_sub_nc_u32_e32 v1, v1, v7
	v_mul_lo_u32 v7, v5, s47
	s_delay_alu instid0(VALU_DEP_4) | instskip(NEXT) | instid1(VALU_DEP_3)
	v_lshrrev_b32_e32 v6, s60, v6
	v_mad_u32 v0, v1, s53, v0
	v_mad_u32 v1, v1, s52, v2
	s_delay_alu instid0(VALU_DEP_4) | instskip(NEXT) | instid1(VALU_DEP_4)
	v_sub_nc_u32_e32 v2, v3, v7
	v_mul_hi_u32 v8, s62, v6
	v_mul_lo_u32 v3, v6, s50
	s_delay_alu instid0(VALU_DEP_3) | instskip(SKIP_1) | instid1(VALU_DEP_3)
	v_mad_u32 v0, v2, s55, v0
	v_mad_u32 v2, v2, s54, v1
	v_dual_add_nc_u32 v7, v6, v8 :: v_dual_sub_nc_u32 v3, v5, v3
	s_delay_alu instid0(VALU_DEP_1) | instskip(NEXT) | instid1(VALU_DEP_2)
	v_lshrrev_b32_e32 v1, s63, v7
	v_mad_u32 v0, v3, s57, v0
	s_delay_alu instid0(VALU_DEP_4) | instskip(NEXT) | instid1(VALU_DEP_3)
	v_mad_u32 v2, v3, s56, v2
	v_mul_lo_u32 v5, v1, s61
	s_delay_alu instid0(VALU_DEP_1) | instskip(NEXT) | instid1(VALU_DEP_1)
	v_sub_nc_u32_e32 v3, v6, v5
	v_mad_u32 v0, v3, s59, v0
	s_delay_alu instid0(VALU_DEP_4)
	v_mad_u32 v2, v3, s58, v2
	s_cbranch_scc1 .LBB9_6
; %bb.7:
	s_delay_alu instid0(VALU_DEP_2)
	v_mov_b32_e32 v3, v0
	s_and_b32 s0, s0, 3
	s_mov_b32 s23, 0
	s_cmp_eq_u32 s0, 0
	s_cbranch_scc0 .LBB9_11
	s_branch .LBB9_14
.LBB9_8:
                                        ; implicit-def: $vgpr0
                                        ; implicit-def: $vgpr2
	s_branch .LBB9_15
.LBB9_9:
	v_dual_mov_b32 v0, 0 :: v_dual_mov_b32 v2, 0
	s_branch .LBB9_14
.LBB9_10:
	v_mov_b64_e32 v[2:3], 0
	v_mov_b32_e32 v1, v4
	s_mov_b32 s22, 0
                                        ; implicit-def: $vgpr0
	s_and_b32 s0, s0, 3
	s_mov_b32 s23, 0
	s_cmp_eq_u32 s0, 0
	s_cbranch_scc1 .LBB9_14
.LBB9_11:
	s_lshl_b32 s24, s22, 3
	s_mov_b32 s25, s23
	s_mul_u64 s[26:27], s[22:23], 12
	s_add_nc_u64 s[24:25], s[2:3], s[24:25]
	s_delay_alu instid0(SALU_CYCLE_1)
	s_add_nc_u64 s[22:23], s[24:25], 0xc4
	s_add_nc_u64 s[24:25], s[2:3], s[26:27]
.LBB9_12:                               ; =>This Inner Loop Header: Depth=1
	s_load_b96 s[44:46], s[24:25], 0x4
	s_load_b64 s[26:27], s[22:23], 0x0
	s_add_co_i32 s0, s0, -1
	s_wait_xcnt 0x0
	s_add_nc_u64 s[24:25], s[24:25], 12
	s_cmp_lg_u32 s0, 0
	s_add_nc_u64 s[22:23], s[22:23], 8
	s_wait_kmcnt 0x0
	v_mul_hi_u32 v0, s45, v1
	s_delay_alu instid0(VALU_DEP_1) | instskip(NEXT) | instid1(VALU_DEP_1)
	v_add_nc_u32_e32 v0, v1, v0
	v_lshrrev_b32_e32 v0, s46, v0
	s_delay_alu instid0(VALU_DEP_1) | instskip(NEXT) | instid1(VALU_DEP_1)
	v_mul_lo_u32 v5, v0, s44
	v_sub_nc_u32_e32 v1, v1, v5
	s_delay_alu instid0(VALU_DEP_1)
	v_mad_u32 v3, v1, s27, v3
	v_mad_u32 v2, v1, s26, v2
	v_mov_b32_e32 v1, v0
	s_cbranch_scc1 .LBB9_12
; %bb.13:
	s_delay_alu instid0(VALU_DEP_3)
	v_mov_b32_e32 v0, v3
.LBB9_14:
	s_cbranch_execnz .LBB9_17
.LBB9_15:
	v_mov_b32_e32 v5, 0
	s_and_not1_b32 vcc_lo, exec_lo, s35
	s_delay_alu instid0(VALU_DEP_1) | instskip(NEXT) | instid1(VALU_DEP_1)
	v_mul_u64_e32 v[0:1], s[16:17], v[4:5]
	v_add_nc_u32_e32 v0, v4, v1
	s_delay_alu instid0(VALU_DEP_1) | instskip(NEXT) | instid1(VALU_DEP_1)
	v_lshrrev_b32_e32 v6, s14, v0
	v_mul_lo_u32 v0, v6, s12
	s_delay_alu instid0(VALU_DEP_1) | instskip(NEXT) | instid1(VALU_DEP_1)
	v_sub_nc_u32_e32 v1, v4, v0
	v_mul_lo_u32 v0, v1, s9
	v_mul_lo_u32 v2, v1, s8
	s_cbranch_vccnz .LBB9_17
; %bb.16:
	v_mov_b32_e32 v7, v5
	s_delay_alu instid0(VALU_DEP_1) | instskip(NEXT) | instid1(VALU_DEP_1)
	v_mul_u64_e32 v[8:9], s[18:19], v[6:7]
	v_add_nc_u32_e32 v1, v6, v9
	s_delay_alu instid0(VALU_DEP_1) | instskip(NEXT) | instid1(VALU_DEP_1)
	v_lshrrev_b32_e32 v1, s1, v1
	v_mul_lo_u32 v1, v1, s15
	s_delay_alu instid0(VALU_DEP_1) | instskip(NEXT) | instid1(VALU_DEP_1)
	v_sub_nc_u32_e32 v1, v6, v1
	v_mad_u32 v2, v1, s10, v2
	v_mad_u32 v0, v1, s11, v0
.LBB9_17:
	v_mov_b32_e32 v1, 0
	s_and_b32 s0, 0xffff, s13
	s_delay_alu instid0(SALU_CYCLE_1) | instskip(NEXT) | instid1(VALU_DEP_1)
	s_cmp_lt_i32 s0, 11
	v_add_nc_u64_e32 v[0:1], s[6:7], v[0:1]
	s_cbranch_scc1 .LBB9_24
; %bb.18:
	s_cmp_gt_i32 s0, 25
	s_cbranch_scc0 .LBB9_45
; %bb.19:
	s_cmp_gt_i32 s0, 28
	s_cbranch_scc0 .LBB9_48
	;; [unrolled: 3-line block ×4, first 2 shown]
; %bb.22:
	s_cmp_eq_u32 s0, 46
	s_mov_b32 s24, 0
	s_cbranch_scc0 .LBB9_54
; %bb.23:
	global_load_b32 v3, v[0:1], off
	s_mov_b32 s23, -1
	s_mov_b32 s22, 0
	s_wait_loadcnt 0x0
	v_lshlrev_b32_e32 v3, 16, v3
	s_delay_alu instid0(VALU_DEP_1)
	v_cvt_f64_f32_e32 v[6:7], v3
	s_branch .LBB9_56
.LBB9_24:
	s_mov_b32 s22, 0
	s_mov_b32 s23, 0
                                        ; implicit-def: $vgpr6_vgpr7
	s_cbranch_execnz .LBB9_229
.LBB9_25:
	s_and_not1_b32 vcc_lo, exec_lo, s23
	s_cbranch_vccnz .LBB9_276
.LBB9_26:
	s_wait_loadcnt 0x0
	s_delay_alu instid0(VALU_DEP_1) | instskip(SKIP_1) | instid1(SALU_CYCLE_1)
	v_cmp_ge_f64_e64 s0, 0x40200000, |v[6:7]|
                                        ; implicit-def: $vgpr0_vgpr1
	s_and_saveexec_b32 s23, s0
	s_xor_b32 s0, exec_lo, s23
	s_cbranch_execz .LBB9_32
; %bb.27:
	v_fma_f64 v[0:1], |v[6:7]|, 0.5, -2.0
	s_mov_b64 s[24:25], 0x3c499f2a0c3c4014
	s_mov_b32 s23, exec_lo
	s_delay_alu instid0(VALU_DEP_1) | instskip(SKIP_1) | instid1(SALU_CYCLE_1)
	v_fmaak_f64 v[8:9], s[24:25], v[0:1], 0xbc7857d0c38a0576
	s_mov_b64 s[24:25], 0x3ff71547652b82fe
	v_mul_f64_e64 v[12:13], |v[6:7]|, s[24:25]
	s_mov_b64 s[24:25], 0xbfe62e42fefa39ef
	s_delay_alu instid0(VALU_DEP_2) | instskip(NEXT) | instid1(VALU_DEP_1)
	v_fmaak_f64 v[10:11], v[0:1], v[8:9], 0xbc499f2a0c3c4014
	v_add_f64_e32 v[10:11], 0x3ca663e3e593bfac, v[10:11]
	s_delay_alu instid0(VALU_DEP_3) | instskip(NEXT) | instid1(VALU_DEP_2)
	v_rndne_f64_e32 v[12:13], v[12:13]
	v_fma_f64 v[8:9], v[0:1], v[10:11], -v[8:9]
	s_delay_alu instid0(VALU_DEP_2) | instskip(SKIP_2) | instid1(VALU_DEP_3)
	v_fma_f64 v[14:15], v[12:13], s[24:25], |v[6:7]|
	s_mov_b64 s[24:25], 0x3e5ade156a5dcb37
	v_cvt_i32_f64_e32 v3, v[12:13]
	v_add_f64_e32 v[8:9], 0xbcd3eaaa7e0d1573, v[8:9]
	s_delay_alu instid0(VALU_DEP_1) | instskip(NEXT) | instid1(VALU_DEP_1)
	v_fma_f64 v[10:11], v[0:1], v[8:9], -v[10:11]
	v_add_f64_e32 v[10:11], 0x3d011d7f0615290c, v[10:11]
	s_delay_alu instid0(VALU_DEP_1) | instskip(NEXT) | instid1(VALU_DEP_1)
	v_fma_f64 v[8:9], v[0:1], v[10:11], -v[8:9]
	;; [unrolled: 3-line block ×24, first 2 shown]
	v_add_f64_e32 v[8:9], 0xbfc694d10469192e, v[8:9]
	s_delay_alu instid0(VALU_DEP_1) | instskip(SKIP_1) | instid1(VALU_DEP_1)
	v_fma_f64 v[0:1], v[0:1], v[8:9], -v[10:11]
	v_fmamk_f64 v[8:9], v[12:13], 0xbc7abc9e3b39803f, v[14:15]
	v_fmaak_f64 v[14:15], s[24:25], v[8:9], 0x3e928af3fca7ab0c
	s_delay_alu instid0(VALU_DEP_1) | instskip(NEXT) | instid1(VALU_DEP_1)
	v_fmaak_f64 v[14:15], v[8:9], v[14:15], 0x3ec71dee623fde64
	v_fmaak_f64 v[14:15], v[8:9], v[14:15], 0x3efa01997c89e6b0
	s_delay_alu instid0(VALU_DEP_1) | instskip(SKIP_1) | instid1(VALU_DEP_2)
	v_fmaak_f64 v[14:15], v[8:9], v[14:15], 0x3f2a01a014761f6e
	v_add_f64_e32 v[0:1], 0x3fd02a63724a7ffa, v[0:1]
	v_fmaak_f64 v[14:15], v[8:9], v[14:15], 0x3f56c16c1852b7b0
	s_delay_alu instid0(VALU_DEP_2) | instskip(NEXT) | instid1(VALU_DEP_2)
	v_add_f64_e64 v[0:1], v[0:1], -v[10:11]
	v_fmaak_f64 v[10:11], v[8:9], v[14:15], 0x3f81111111122322
	s_delay_alu instid0(VALU_DEP_1) | instskip(NEXT) | instid1(VALU_DEP_1)
	v_fmaak_f64 v[10:11], v[8:9], v[10:11], 0x3fa55555555502a1
	v_fmaak_f64 v[10:11], v[8:9], v[10:11], 0x3fc5555555555511
	s_delay_alu instid0(VALU_DEP_1) | instskip(NEXT) | instid1(VALU_DEP_1)
	v_fmaak_f64 v[10:11], v[8:9], v[10:11], 0x3fe000000000000b
	v_fma_f64 v[10:11], v[8:9], v[10:11], 1.0
	v_mul_f64_e32 v[0:1], 0.5, v[0:1]
	s_delay_alu instid0(VALU_DEP_2) | instskip(NEXT) | instid1(VALU_DEP_2)
	v_fma_f64 v[10:11], v[8:9], v[10:11], 1.0
	v_mul_f64_e64 v[8:9], |v[6:7]|, v[0:1]
                                        ; implicit-def: $vgpr0_vgpr1
	v_cmpx_ngt_f64_e32 0, v[6:7]
	s_xor_b32 s23, exec_lo, s23
	s_cbranch_execz .LBB9_29
; %bb.28:
	s_delay_alu instid0(VALU_DEP_3) | instskip(SKIP_1) | instid1(VALU_DEP_2)
	v_ldexp_f64 v[0:1], v[10:11], v3
	v_cmp_nlt_f64_e64 vcc_lo, 0x40900000, |v[6:7]|
                                        ; implicit-def: $vgpr10_vgpr11
                                        ; implicit-def: $vgpr3
                                        ; implicit-def: $vgpr6_vgpr7
	v_cndmask_b32_e32 v1, 0x7ff00000, v1, vcc_lo
	s_delay_alu instid0(VALU_DEP_3) | instskip(NEXT) | instid1(VALU_DEP_1)
	v_cndmask_b32_e32 v0, 0, v0, vcc_lo
	v_mul_f64_e32 v[0:1], v[0:1], v[8:9]
                                        ; implicit-def: $vgpr8_vgpr9
.LBB9_29:
	s_and_not1_saveexec_b32 s23, s23
	s_cbranch_execz .LBB9_31
; %bb.30:
	s_delay_alu instid0(VALU_DEP_3) | instskip(SKIP_1) | instid1(VALU_DEP_2)
	v_ldexp_f64 v[0:1], -v[10:11], v3
	v_cmp_nlt_f64_e64 vcc_lo, 0x40900000, |v[6:7]|
	v_cndmask_b32_e32 v1, 0xfff00000, v1, vcc_lo
	s_delay_alu instid0(VALU_DEP_3) | instskip(NEXT) | instid1(VALU_DEP_1)
	v_cndmask_b32_e32 v0, 0, v0, vcc_lo
	v_mul_f64_e32 v[0:1], v[0:1], v[8:9]
.LBB9_31:
	s_or_b32 exec_lo, exec_lo, s23
                                        ; implicit-def: $vgpr6_vgpr7
.LBB9_32:
	s_and_not1_saveexec_b32 s23, s0
	s_cbranch_execz .LBB9_38
; %bb.33:
	v_and_b32_e32 v1, 0x7fffffff, v7
	v_mov_b32_e32 v0, v6
	s_mov_b64 s[24:25], 0x3c61556db352e8e6
	v_cmp_ngt_f64_e64 s0, 0, v[6:7]
	s_delay_alu instid0(VALU_DEP_2) | instskip(SKIP_1) | instid1(VALU_DEP_2)
	v_div_scale_f64 v[8:9], null, v[0:1], v[0:1], 0x40400000
	v_div_scale_f64 v[0:1], vcc_lo, 0x40400000, v[0:1], 0x40400000
	v_rcp_f64_e32 v[10:11], v[8:9]
	v_nop
	s_delay_alu instid0(TRANS32_DEP_1) | instskip(NEXT) | instid1(VALU_DEP_1)
	v_fma_f64 v[12:13], -v[8:9], v[10:11], 1.0
	v_fmac_f64_e32 v[10:11], v[10:11], v[12:13]
	s_delay_alu instid0(VALU_DEP_1) | instskip(NEXT) | instid1(VALU_DEP_1)
	v_fma_f64 v[12:13], -v[8:9], v[10:11], 1.0
	v_fmac_f64_e32 v[10:11], v[10:11], v[12:13]
	s_delay_alu instid0(VALU_DEP_1) | instskip(NEXT) | instid1(VALU_DEP_1)
	v_mul_f64_e32 v[12:13], v[0:1], v[10:11]
	v_fma_f64 v[0:1], -v[8:9], v[12:13], v[0:1]
	s_delay_alu instid0(VALU_DEP_1) | instskip(SKIP_1) | instid1(VALU_DEP_2)
	v_div_fmas_f64 v[0:1], v[0:1], v[10:11], v[12:13]
	v_cmp_nlt_f64_e64 vcc_lo, 0x40900000, |v[6:7]|
	v_div_fixup_f64 v[0:1], v[0:1], |v[6:7]|, 0x40400000
	s_delay_alu instid0(VALU_DEP_1) | instskip(NEXT) | instid1(VALU_DEP_1)
	v_add_f64_e32 v[0:1], -2.0, v[0:1]
	v_fmaak_f64 v[8:9], s[24:25], v[0:1], 0x3c545b8aea87b950
	s_mov_b64 s[24:25], 0x3ff71547652b82fe
	s_delay_alu instid0(SALU_CYCLE_1) | instskip(SKIP_1) | instid1(VALU_DEP_2)
	v_mul_f64_e64 v[12:13], |v[6:7]|, s[24:25]
	s_mov_b64 s[24:25], 0xbfe62e42fefa39ef
	v_fmaak_f64 v[10:11], v[0:1], v[8:9], 0xbc61556db352e8e6
	s_delay_alu instid0(VALU_DEP_1) | instskip(NEXT) | instid1(VALU_DEP_3)
	v_add_f64_e32 v[10:11], 0xbc8acea3b2532277, v[10:11]
	v_rndne_f64_e32 v[12:13], v[12:13]
	s_delay_alu instid0(VALU_DEP_2) | instskip(NEXT) | instid1(VALU_DEP_2)
	v_fma_f64 v[8:9], v[0:1], v[10:11], -v[8:9]
	v_fma_f64 v[14:15], v[12:13], s[24:25], |v[6:7]|
	s_mov_b64 s[24:25], 0x3e5ade156a5dcb37
	v_cvt_i32_f64_e32 v3, v[12:13]
	s_delay_alu instid0(VALU_DEP_3) | instskip(NEXT) | instid1(VALU_DEP_3)
	v_add_f64_e32 v[8:9], 0xbc82806c9c773320, v[8:9]
	v_fmamk_f64 v[14:15], v[12:13], 0xbc7abc9e3b39803f, v[14:15]
	s_delay_alu instid0(VALU_DEP_1) | instskip(NEXT) | instid1(VALU_DEP_3)
	v_fmaak_f64 v[16:17], s[24:25], v[14:15], 0x3e928af3fca7ab0c
	v_fma_f64 v[10:11], v[0:1], v[8:9], -v[10:11]
	s_delay_alu instid0(VALU_DEP_2) | instskip(NEXT) | instid1(VALU_DEP_1)
	v_fmaak_f64 v[16:17], v[14:15], v[16:17], 0x3ec71dee623fde64
	v_fmaak_f64 v[16:17], v[14:15], v[16:17], 0x3efa01997c89e6b0
	s_delay_alu instid0(VALU_DEP_1) | instskip(NEXT) | instid1(VALU_DEP_1)
	v_fmaak_f64 v[16:17], v[14:15], v[16:17], 0x3f2a01a014761f6e
	v_fmaak_f64 v[16:17], v[14:15], v[16:17], 0x3f56c16c1852b7b0
	s_delay_alu instid0(VALU_DEP_1) | instskip(SKIP_1) | instid1(VALU_DEP_2)
	v_fmaak_f64 v[16:17], v[14:15], v[16:17], 0x3f81111111122322
	v_add_f64_e32 v[10:11], 0x3cb55915fceb588a, v[10:11]
	v_fmaak_f64 v[16:17], v[14:15], v[16:17], 0x3fa55555555502a1
	s_delay_alu instid0(VALU_DEP_1) | instskip(NEXT) | instid1(VALU_DEP_1)
	v_fmaak_f64 v[16:17], v[14:15], v[16:17], 0x3fc5555555555511
	v_fmaak_f64 v[16:17], v[14:15], v[16:17], 0x3fe000000000000b
	s_delay_alu instid0(VALU_DEP_1) | instskip(SKIP_1) | instid1(VALU_DEP_1)
	v_fma_f64 v[16:17], v[14:15], v[16:17], 1.0
	v_fma_f64 v[8:9], v[0:1], v[10:11], -v[8:9]
	v_add_f64_e32 v[8:9], 0x3cb7d68e5f04a2d1, v[8:9]
	s_delay_alu instid0(VALU_DEP_1) | instskip(NEXT) | instid1(VALU_DEP_1)
	v_fma_f64 v[10:11], v[0:1], v[8:9], -v[10:11]
	v_add_f64_e32 v[10:11], 0xbce0efcd8bc4d22a, v[10:11]
	s_delay_alu instid0(VALU_DEP_1) | instskip(NEXT) | instid1(VALU_DEP_1)
	;; [unrolled: 3-line block ×18, first 2 shown]
	v_fma_f64 v[8:9], v[0:1], v[10:11], -v[8:9]
	v_add_f64_e32 v[8:9], 0xbf83fda053fcdb4c, v[8:9]
	s_delay_alu instid0(VALU_DEP_1) | instskip(SKIP_1) | instid1(VALU_DEP_2)
	v_fma_f64 v[0:1], v[0:1], v[8:9], -v[10:11]
	v_fma_f64 v[8:9], v[14:15], v[16:17], 1.0
	v_add_f64_e32 v[0:1], 0x3fe8ea18b55b1514, v[0:1]
	s_delay_alu instid0(VALU_DEP_2) | instskip(NEXT) | instid1(VALU_DEP_2)
	v_ldexp_f64 v[8:9], v[8:9], v3
	v_add_f64_e64 v[10:11], v[0:1], -v[10:11]
	s_delay_alu instid0(VALU_DEP_2) | instskip(NEXT) | instid1(VALU_DEP_3)
	v_cndmask_b32_e32 v9, 0x7ff00000, v9, vcc_lo
	v_cndmask_b32_e32 v8, 0, v8, vcc_lo
                                        ; implicit-def: $vgpr0_vgpr1
	s_and_saveexec_b32 s24, s0
	s_delay_alu instid0(SALU_CYCLE_1)
	s_xor_b32 s0, exec_lo, s24
	s_cbranch_execz .LBB9_35
; %bb.34:
	v_cmp_gt_f64_e64 s24, 0x10000000, |v[6:7]|
	s_delay_alu instid0(VALU_DEP_1) | instskip(SKIP_1) | instid1(VALU_DEP_2)
	v_cndmask_b32_e64 v0, 0, 0x100, s24
	v_cndmask_b32_e64 v3, 0, 0xffffff80, s24
	v_ldexp_f64 v[0:1], |v[6:7]|, v0
	s_delay_alu instid0(VALU_DEP_1) | instskip(SKIP_1) | instid1(TRANS32_DEP_1)
	v_rsq_f64_e32 v[6:7], v[0:1]
	v_cmp_class_f64_e64 vcc_lo, v[0:1], 0x260
	v_mul_f64_e32 v[12:13], v[0:1], v[6:7]
	v_mul_f64_e32 v[6:7], 0.5, v[6:7]
	s_delay_alu instid0(VALU_DEP_1) | instskip(NEXT) | instid1(VALU_DEP_1)
	v_fma_f64 v[14:15], -v[6:7], v[12:13], 0.5
	v_fmac_f64_e32 v[12:13], v[12:13], v[14:15]
	v_fmac_f64_e32 v[6:7], v[6:7], v[14:15]
	s_delay_alu instid0(VALU_DEP_2) | instskip(NEXT) | instid1(VALU_DEP_1)
	v_fma_f64 v[14:15], -v[12:13], v[12:13], v[0:1]
	v_fmac_f64_e32 v[12:13], v[14:15], v[6:7]
	s_delay_alu instid0(VALU_DEP_1) | instskip(NEXT) | instid1(VALU_DEP_1)
	v_fma_f64 v[14:15], -v[12:13], v[12:13], v[0:1]
	v_fmac_f64_e32 v[12:13], v[14:15], v[6:7]
	v_mul_f64_e32 v[6:7], 0.5, v[10:11]
	s_delay_alu instid0(VALU_DEP_2) | instskip(NEXT) | instid1(VALU_DEP_1)
	v_ldexp_f64 v[10:11], v[12:13], v3
	v_dual_mul_f64 v[6:7], v[8:9], v[6:7] :: v_dual_cndmask_b32 v1, v11, v1, vcc_lo
	s_delay_alu instid0(VALU_DEP_2) | instskip(NEXT) | instid1(VALU_DEP_1)
	v_cndmask_b32_e32 v0, v10, v0, vcc_lo
	v_div_scale_f64 v[8:9], null, v[0:1], v[0:1], v[6:7]
	s_delay_alu instid0(VALU_DEP_1) | instskip(SKIP_1) | instid1(TRANS32_DEP_1)
	v_rcp_f64_e32 v[10:11], v[8:9]
	v_nop
	v_fma_f64 v[12:13], -v[8:9], v[10:11], 1.0
	s_delay_alu instid0(VALU_DEP_1) | instskip(NEXT) | instid1(VALU_DEP_1)
	v_fmac_f64_e32 v[10:11], v[10:11], v[12:13]
	v_fma_f64 v[12:13], -v[8:9], v[10:11], 1.0
	s_delay_alu instid0(VALU_DEP_1) | instskip(SKIP_1) | instid1(VALU_DEP_1)
	v_fmac_f64_e32 v[10:11], v[10:11], v[12:13]
	v_div_scale_f64 v[12:13], vcc_lo, v[6:7], v[0:1], v[6:7]
	v_mul_f64_e32 v[14:15], v[12:13], v[10:11]
	s_delay_alu instid0(VALU_DEP_1) | instskip(NEXT) | instid1(VALU_DEP_1)
	v_fma_f64 v[8:9], -v[8:9], v[14:15], v[12:13]
	v_div_fmas_f64 v[8:9], v[8:9], v[10:11], v[14:15]
                                        ; implicit-def: $vgpr10_vgpr11
	s_delay_alu instid0(VALU_DEP_1)
	v_div_fixup_f64 v[0:1], v[8:9], v[0:1], v[6:7]
                                        ; implicit-def: $vgpr6_vgpr7
                                        ; implicit-def: $vgpr8_vgpr9
.LBB9_35:
	s_and_not1_saveexec_b32 s0, s0
	s_cbranch_execz .LBB9_37
; %bb.36:
	v_cmp_gt_f64_e64 s24, 0x10000000, |v[6:7]|
	s_delay_alu instid0(VALU_DEP_1) | instskip(SKIP_1) | instid1(VALU_DEP_2)
	v_cndmask_b32_e64 v0, 0, 0x100, s24
	v_cndmask_b32_e64 v3, 0, 0xffffff80, s24
	v_ldexp_f64 v[0:1], |v[6:7]|, v0
	s_delay_alu instid0(VALU_DEP_1) | instskip(SKIP_1) | instid1(TRANS32_DEP_1)
	v_rsq_f64_e32 v[6:7], v[0:1]
	v_cmp_class_f64_e64 vcc_lo, v[0:1], 0x260
	v_mul_f64_e32 v[12:13], v[0:1], v[6:7]
	v_mul_f64_e32 v[6:7], 0.5, v[6:7]
	s_delay_alu instid0(VALU_DEP_1) | instskip(NEXT) | instid1(VALU_DEP_1)
	v_fma_f64 v[14:15], -v[6:7], v[12:13], 0.5
	v_fmac_f64_e32 v[12:13], v[12:13], v[14:15]
	v_fmac_f64_e32 v[6:7], v[6:7], v[14:15]
	s_delay_alu instid0(VALU_DEP_2) | instskip(NEXT) | instid1(VALU_DEP_1)
	v_fma_f64 v[14:15], -v[12:13], v[12:13], v[0:1]
	v_fmac_f64_e32 v[12:13], v[14:15], v[6:7]
	s_delay_alu instid0(VALU_DEP_1) | instskip(NEXT) | instid1(VALU_DEP_1)
	v_fma_f64 v[14:15], -v[12:13], v[12:13], v[0:1]
	v_fmac_f64_e32 v[12:13], v[14:15], v[6:7]
	v_mul_f64_e32 v[6:7], -0.5, v[10:11]
	s_delay_alu instid0(VALU_DEP_2) | instskip(NEXT) | instid1(VALU_DEP_1)
	v_ldexp_f64 v[10:11], v[12:13], v3
	v_dual_mul_f64 v[6:7], v[8:9], v[6:7] :: v_dual_cndmask_b32 v1, v11, v1, vcc_lo
	s_delay_alu instid0(VALU_DEP_2) | instskip(NEXT) | instid1(VALU_DEP_1)
	v_cndmask_b32_e32 v0, v10, v0, vcc_lo
	v_div_scale_f64 v[8:9], null, v[0:1], v[0:1], v[6:7]
	s_delay_alu instid0(VALU_DEP_1) | instskip(SKIP_1) | instid1(TRANS32_DEP_1)
	v_rcp_f64_e32 v[10:11], v[8:9]
	v_nop
	v_fma_f64 v[12:13], -v[8:9], v[10:11], 1.0
	s_delay_alu instid0(VALU_DEP_1) | instskip(NEXT) | instid1(VALU_DEP_1)
	v_fmac_f64_e32 v[10:11], v[10:11], v[12:13]
	v_fma_f64 v[12:13], -v[8:9], v[10:11], 1.0
	s_delay_alu instid0(VALU_DEP_1) | instskip(SKIP_1) | instid1(VALU_DEP_1)
	v_fmac_f64_e32 v[10:11], v[10:11], v[12:13]
	v_div_scale_f64 v[12:13], vcc_lo, v[6:7], v[0:1], v[6:7]
	v_mul_f64_e32 v[14:15], v[12:13], v[10:11]
	s_delay_alu instid0(VALU_DEP_1) | instskip(NEXT) | instid1(VALU_DEP_1)
	v_fma_f64 v[8:9], -v[8:9], v[14:15], v[12:13]
	v_div_fmas_f64 v[8:9], v[8:9], v[10:11], v[14:15]
	s_delay_alu instid0(VALU_DEP_1)
	v_div_fixup_f64 v[0:1], v[8:9], v[0:1], v[6:7]
.LBB9_37:
	s_or_b32 exec_lo, exec_lo, s0
.LBB9_38:
	s_delay_alu instid0(SALU_CYCLE_1) | instskip(SKIP_2) | instid1(SALU_CYCLE_1)
	s_or_b32 exec_lo, exec_lo, s23
	v_mov_b32_e32 v3, 0
	s_and_b32 s23, s34, 0xff
	s_cmp_lt_i32 s23, 11
	s_delay_alu instid0(VALU_DEP_1)
	v_add_nc_u64_e32 v[6:7], s[4:5], v[2:3]
	s_cbranch_scc1 .LBB9_46
; %bb.39:
	s_and_b32 s24, 0xffff, s23
	s_delay_alu instid0(SALU_CYCLE_1)
	s_cmp_gt_i32 s24, 25
	s_cbranch_scc0 .LBB9_49
; %bb.40:
	s_cmp_gt_i32 s24, 28
	s_cbranch_scc0 .LBB9_51
; %bb.41:
	;; [unrolled: 3-line block ×4, first 2 shown]
	s_mov_b32 s26, 0
	s_mov_b32 s0, -1
	s_cmp_eq_u32 s24, 46
	s_mov_b32 s25, 0
	s_cbranch_scc0 .LBB9_60
; %bb.44:
	s_delay_alu instid0(VALU_DEP_3) | instskip(SKIP_2) | instid1(VALU_DEP_1)
	v_cvt_f32_f64_e32 v2, v[0:1]
	s_mov_b32 s25, -1
	s_mov_b32 s0, 0
	v_bfe_u32 v3, v2, 16, 1
	v_cmp_o_f32_e32 vcc_lo, v2, v2
	s_delay_alu instid0(VALU_DEP_2) | instskip(NEXT) | instid1(VALU_DEP_1)
	v_add3_u32 v3, v2, v3, 0x7fff
	v_lshrrev_b32_e32 v3, 16, v3
	s_delay_alu instid0(VALU_DEP_1)
	v_cndmask_b32_e32 v2, 0x7fc0, v3, vcc_lo
	global_store_b32 v[6:7], v2, off
	s_branch .LBB9_60
.LBB9_45:
	s_mov_b32 s22, 0
	s_mov_b32 s23, 0
                                        ; implicit-def: $vgpr6_vgpr7
	s_cbranch_execnz .LBB9_194
	s_branch .LBB9_228
.LBB9_46:
	s_mov_b32 s0, 0
	s_mov_b32 s25, 0
	s_cbranch_execnz .LBB9_129
.LBB9_47:
	s_and_not1_b32 vcc_lo, exec_lo, s25
	s_cbranch_vccz .LBB9_167
	s_branch .LBB9_277
.LBB9_48:
	s_mov_b32 s24, -1
	s_mov_b32 s22, 0
	s_mov_b32 s23, 0
                                        ; implicit-def: $vgpr6_vgpr7
	s_branch .LBB9_175
.LBB9_49:
	s_mov_b32 s26, -1
	s_mov_b32 s0, 0
	s_mov_b32 s25, 0
	s_branch .LBB9_87
.LBB9_50:
	s_mov_b32 s24, -1
	s_mov_b32 s22, 0
	s_mov_b32 s23, 0
                                        ; implicit-def: $vgpr6_vgpr7
	s_branch .LBB9_170
.LBB9_51:
	s_mov_b32 s26, -1
	s_mov_b32 s0, 0
	s_mov_b32 s25, 0
	s_branch .LBB9_70
.LBB9_52:
	s_mov_b32 s24, -1
	s_mov_b32 s22, 0
	s_branch .LBB9_55
.LBB9_53:
	s_mov_b32 s26, -1
	s_mov_b32 s0, 0
	s_mov_b32 s25, 0
	s_branch .LBB9_66
.LBB9_54:
	s_mov_b32 s22, -1
.LBB9_55:
	s_mov_b32 s23, 0
                                        ; implicit-def: $vgpr6_vgpr7
.LBB9_56:
	s_and_b32 vcc_lo, exec_lo, s24
	s_cbranch_vccz .LBB9_169
; %bb.57:
	s_cmp_eq_u32 s0, 44
	s_cbranch_scc0 .LBB9_168
; %bb.58:
	global_load_u8 v3, v[0:1], off
	s_mov_b32 s22, 0
	s_mov_b32 s23, -1
	s_wait_loadcnt 0x0
	v_lshlrev_b32_e32 v5, 23, v3
	v_cmp_ne_u32_e32 vcc_lo, 0xff, v3
	s_delay_alu instid0(VALU_DEP_2) | instskip(NEXT) | instid1(VALU_DEP_1)
	v_cvt_f64_f32_e32 v[6:7], v5
	v_cndmask_b32_e32 v5, 0x20000000, v6, vcc_lo
	s_delay_alu instid0(VALU_DEP_2) | instskip(SKIP_1) | instid1(VALU_DEP_2)
	v_cndmask_b32_e32 v6, 0x7ff80000, v7, vcc_lo
	v_cmp_ne_u32_e32 vcc_lo, 0, v3
	v_cndmask_b32_e32 v7, 0x38000000, v6, vcc_lo
	s_delay_alu instid0(VALU_DEP_4)
	v_cndmask_b32_e32 v6, 0, v5, vcc_lo
	s_branch .LBB9_169
.LBB9_59:
	s_mov_b32 s26, -1
	s_mov_b32 s0, 0
	s_mov_b32 s25, 0
.LBB9_60:
	s_and_b32 vcc_lo, exec_lo, s26
	s_cbranch_vccz .LBB9_65
; %bb.61:
	s_cmp_eq_u32 s24, 44
	s_mov_b32 s0, -1
	s_cbranch_scc0 .LBB9_65
; %bb.62:
	s_wait_xcnt 0x0
	s_delay_alu instid0(VALU_DEP_3) | instskip(SKIP_2) | instid1(VALU_DEP_2)
	v_cvt_f32_f64_e32 v2, v[0:1]
	v_mov_b32_e32 v3, 0xff
	s_mov_b32 s25, exec_lo
	v_bfe_u32 v5, v2, 23, 8
	s_delay_alu instid0(VALU_DEP_1)
	v_cmpx_ne_u32_e32 0xff, v5
	s_cbranch_execz .LBB9_64
; %bb.63:
	v_and_b32_e32 v3, 0x400000, v2
	v_and_or_b32 v5, 0x3fffff, v2, v5
	v_lshrrev_b32_e32 v2, 23, v2
	s_delay_alu instid0(VALU_DEP_3) | instskip(NEXT) | instid1(VALU_DEP_3)
	v_cmp_ne_u32_e32 vcc_lo, 0, v3
	v_cmp_ne_u32_e64 s0, 0, v5
	s_and_b32 s0, vcc_lo, s0
	s_delay_alu instid0(SALU_CYCLE_1) | instskip(NEXT) | instid1(VALU_DEP_1)
	v_cndmask_b32_e64 v3, 0, 1, s0
	v_add_nc_u32_e32 v3, v2, v3
.LBB9_64:
	s_or_b32 exec_lo, exec_lo, s25
	s_mov_b32 s25, -1
	s_mov_b32 s0, 0
	global_store_b8 v[6:7], v3, off
.LBB9_65:
	s_mov_b32 s26, 0
.LBB9_66:
	s_delay_alu instid0(SALU_CYCLE_1)
	s_and_b32 vcc_lo, exec_lo, s26
	s_cbranch_vccz .LBB9_69
; %bb.67:
	s_cmp_eq_u32 s24, 29
	s_mov_b32 s0, -1
	s_cbranch_scc0 .LBB9_69
; %bb.68:
	s_wait_xcnt 0x0
	s_delay_alu instid0(VALU_DEP_3) | instskip(SKIP_3) | instid1(VALU_DEP_1)
	v_trunc_f64_e32 v[2:3], v[0:1]
	s_mov_b32 s25, -1
	s_mov_b32 s0, 0
	s_mov_b32 s26, 0
	v_ldexp_f64 v[8:9], v[2:3], 0xffffffe0
	s_delay_alu instid0(VALU_DEP_1) | instskip(NEXT) | instid1(VALU_DEP_1)
	v_floor_f64_e32 v[8:9], v[8:9]
	v_fmamk_f64 v[2:3], v[8:9], 0xc1f00000, v[2:3]
	v_cvt_u32_f64_e32 v9, v[8:9]
	s_delay_alu instid0(VALU_DEP_2)
	v_cvt_u32_f64_e32 v8, v[2:3]
	global_store_b64 v[6:7], v[8:9], off
	s_branch .LBB9_70
.LBB9_69:
	s_mov_b32 s26, 0
.LBB9_70:
	s_delay_alu instid0(SALU_CYCLE_1)
	s_and_b32 vcc_lo, exec_lo, s26
	s_cbranch_vccz .LBB9_86
; %bb.71:
	s_cmp_lt_i32 s24, 27
	s_mov_b32 s25, -1
	s_cbranch_scc1 .LBB9_77
; %bb.72:
	s_wait_xcnt 0x0
	s_delay_alu instid0(VALU_DEP_3)
	v_cvt_u32_f64_e32 v2, v[0:1]
	s_cmp_gt_i32 s24, 27
	s_cbranch_scc0 .LBB9_74
; %bb.73:
	s_mov_b32 s25, 0
	global_store_b32 v[6:7], v2, off
.LBB9_74:
	s_and_not1_b32 vcc_lo, exec_lo, s25
	s_cbranch_vccnz .LBB9_76
; %bb.75:
	global_store_b16 v[6:7], v2, off
.LBB9_76:
	s_mov_b32 s25, 0
.LBB9_77:
	s_delay_alu instid0(SALU_CYCLE_1)
	s_and_not1_b32 vcc_lo, exec_lo, s25
	s_cbranch_vccnz .LBB9_85
; %bb.78:
	s_wait_xcnt 0x0
	s_delay_alu instid0(VALU_DEP_3) | instskip(SKIP_2) | instid1(VALU_DEP_2)
	v_cvt_f32_f64_e32 v2, v[0:1]
	v_mov_b32_e32 v5, 0x80
	s_mov_b32 s25, exec_lo
	v_and_b32_e32 v3, 0x7fffffff, v2
	s_delay_alu instid0(VALU_DEP_1)
	v_cmpx_gt_u32_e32 0x43800000, v3
	s_cbranch_execz .LBB9_84
; %bb.79:
	v_cmp_lt_u32_e32 vcc_lo, 0x3bffffff, v3
	s_mov_b32 s26, 0
                                        ; implicit-def: $vgpr3
	s_and_saveexec_b32 s27, vcc_lo
	s_delay_alu instid0(SALU_CYCLE_1)
	s_xor_b32 s27, exec_lo, s27
	s_cbranch_execz .LBB9_334
; %bb.80:
	v_bfe_u32 v3, v2, 20, 1
	s_mov_b32 s26, exec_lo
	s_delay_alu instid0(VALU_DEP_1) | instskip(NEXT) | instid1(VALU_DEP_1)
	v_add3_u32 v3, v2, v3, 0x487ffff
	v_lshrrev_b32_e32 v3, 20, v3
	s_and_not1_saveexec_b32 s27, s27
	s_cbranch_execnz .LBB9_335
.LBB9_81:
	s_or_b32 exec_lo, exec_lo, s27
	v_mov_b32_e32 v5, 0
	s_and_saveexec_b32 s27, s26
.LBB9_82:
	v_lshrrev_b32_e32 v2, 24, v2
	s_delay_alu instid0(VALU_DEP_1)
	v_and_or_b32 v5, 0x80, v2, v3
.LBB9_83:
	s_or_b32 exec_lo, exec_lo, s27
.LBB9_84:
	s_delay_alu instid0(SALU_CYCLE_1)
	s_or_b32 exec_lo, exec_lo, s25
	global_store_b8 v[6:7], v5, off
.LBB9_85:
	s_mov_b32 s25, -1
.LBB9_86:
	s_mov_b32 s26, 0
.LBB9_87:
	s_delay_alu instid0(SALU_CYCLE_1)
	s_and_b32 vcc_lo, exec_lo, s26
	s_cbranch_vccz .LBB9_128
; %bb.88:
	s_cmp_gt_i32 s24, 22
	s_mov_b32 s26, -1
	s_cbranch_scc0 .LBB9_120
; %bb.89:
	s_cmp_lt_i32 s24, 24
	s_mov_b32 s25, -1
	s_cbranch_scc1 .LBB9_109
; %bb.90:
	s_cmp_gt_i32 s24, 24
	s_cbranch_scc0 .LBB9_98
; %bb.91:
	s_wait_xcnt 0x0
	s_delay_alu instid0(VALU_DEP_3) | instskip(SKIP_2) | instid1(VALU_DEP_2)
	v_cvt_f32_f64_e32 v2, v[0:1]
	v_mov_b32_e32 v5, 0x80
	s_mov_b32 s25, exec_lo
	v_and_b32_e32 v3, 0x7fffffff, v2
	s_delay_alu instid0(VALU_DEP_1)
	v_cmpx_gt_u32_e32 0x47800000, v3
	s_cbranch_execz .LBB9_97
; %bb.92:
	v_cmp_lt_u32_e32 vcc_lo, 0x37ffffff, v3
	s_mov_b32 s26, 0
                                        ; implicit-def: $vgpr3
	s_and_saveexec_b32 s27, vcc_lo
	s_delay_alu instid0(SALU_CYCLE_1)
	s_xor_b32 s27, exec_lo, s27
	s_cbranch_execz .LBB9_338
; %bb.93:
	v_bfe_u32 v3, v2, 21, 1
	s_mov_b32 s26, exec_lo
	s_delay_alu instid0(VALU_DEP_1) | instskip(NEXT) | instid1(VALU_DEP_1)
	v_add3_u32 v3, v2, v3, 0x88fffff
	v_lshrrev_b32_e32 v3, 21, v3
	s_and_not1_saveexec_b32 s27, s27
	s_cbranch_execnz .LBB9_339
.LBB9_94:
	s_or_b32 exec_lo, exec_lo, s27
	v_mov_b32_e32 v5, 0
	s_and_saveexec_b32 s27, s26
.LBB9_95:
	v_lshrrev_b32_e32 v2, 24, v2
	s_delay_alu instid0(VALU_DEP_1)
	v_and_or_b32 v5, 0x80, v2, v3
.LBB9_96:
	s_or_b32 exec_lo, exec_lo, s27
.LBB9_97:
	s_delay_alu instid0(SALU_CYCLE_1)
	s_or_b32 exec_lo, exec_lo, s25
	s_mov_b32 s25, 0
	global_store_b8 v[6:7], v5, off
.LBB9_98:
	s_and_b32 vcc_lo, exec_lo, s25
	s_cbranch_vccz .LBB9_108
; %bb.99:
	s_wait_xcnt 0x0
	s_delay_alu instid0(VALU_DEP_3) | instskip(SKIP_1) | instid1(VALU_DEP_1)
	v_cvt_f32_f64_e32 v2, v[0:1]
	s_mov_b32 s25, exec_lo
                                        ; implicit-def: $vgpr3
	v_and_b32_e32 v5, 0x7fffffff, v2
	s_delay_alu instid0(VALU_DEP_1)
	v_cmpx_gt_u32_e32 0x43f00000, v5
	s_xor_b32 s25, exec_lo, s25
	s_cbranch_execz .LBB9_105
; %bb.100:
	s_mov_b32 s26, exec_lo
                                        ; implicit-def: $vgpr3
	v_cmpx_lt_u32_e32 0x3c7fffff, v5
	s_xor_b32 s26, exec_lo, s26
; %bb.101:
	v_bfe_u32 v3, v2, 20, 1
	s_delay_alu instid0(VALU_DEP_1) | instskip(NEXT) | instid1(VALU_DEP_1)
	v_add3_u32 v3, v2, v3, 0x407ffff
	v_and_b32_e32 v5, 0xff00000, v3
	v_lshrrev_b32_e32 v3, 20, v3
	s_delay_alu instid0(VALU_DEP_2) | instskip(NEXT) | instid1(VALU_DEP_2)
	v_cmp_ne_u32_e32 vcc_lo, 0x7f00000, v5
	v_cndmask_b32_e32 v3, 0x7e, v3, vcc_lo
; %bb.102:
	s_and_not1_saveexec_b32 s26, s26
; %bb.103:
	v_add_f32_e64 v3, 0x46800000, |v2|
; %bb.104:
	s_or_b32 exec_lo, exec_lo, s26
                                        ; implicit-def: $vgpr5
.LBB9_105:
	s_and_not1_saveexec_b32 s25, s25
; %bb.106:
	v_mov_b32_e32 v3, 0x7f
	v_cmp_lt_u32_e32 vcc_lo, 0x7f800000, v5
	s_delay_alu instid0(VALU_DEP_2)
	v_cndmask_b32_e32 v3, 0x7e, v3, vcc_lo
; %bb.107:
	s_or_b32 exec_lo, exec_lo, s25
	v_lshrrev_b32_e32 v2, 24, v2
	s_delay_alu instid0(VALU_DEP_1)
	v_and_or_b32 v2, 0x80, v2, v3
	global_store_b8 v[6:7], v2, off
.LBB9_108:
	s_mov_b32 s25, 0
.LBB9_109:
	s_delay_alu instid0(SALU_CYCLE_1)
	s_and_not1_b32 vcc_lo, exec_lo, s25
	s_cbranch_vccnz .LBB9_119
; %bb.110:
	s_wait_xcnt 0x0
	s_delay_alu instid0(VALU_DEP_3) | instskip(SKIP_1) | instid1(VALU_DEP_1)
	v_cvt_f32_f64_e32 v2, v[0:1]
	s_mov_b32 s25, exec_lo
                                        ; implicit-def: $vgpr3
	v_and_b32_e32 v5, 0x7fffffff, v2
	s_delay_alu instid0(VALU_DEP_1)
	v_cmpx_gt_u32_e32 0x47800000, v5
	s_xor_b32 s25, exec_lo, s25
	s_cbranch_execz .LBB9_116
; %bb.111:
	s_mov_b32 s26, exec_lo
                                        ; implicit-def: $vgpr3
	v_cmpx_lt_u32_e32 0x387fffff, v5
	s_xor_b32 s26, exec_lo, s26
; %bb.112:
	v_bfe_u32 v3, v2, 21, 1
	s_delay_alu instid0(VALU_DEP_1) | instskip(NEXT) | instid1(VALU_DEP_1)
	v_add3_u32 v3, v2, v3, 0x80fffff
	v_lshrrev_b32_e32 v3, 21, v3
; %bb.113:
	s_and_not1_saveexec_b32 s26, s26
; %bb.114:
	v_add_f32_e64 v3, 0x43000000, |v2|
; %bb.115:
	s_or_b32 exec_lo, exec_lo, s26
                                        ; implicit-def: $vgpr5
.LBB9_116:
	s_and_not1_saveexec_b32 s25, s25
; %bb.117:
	v_mov_b32_e32 v3, 0x7f
	v_cmp_lt_u32_e32 vcc_lo, 0x7f800000, v5
	s_delay_alu instid0(VALU_DEP_2)
	v_cndmask_b32_e32 v3, 0x7c, v3, vcc_lo
; %bb.118:
	s_or_b32 exec_lo, exec_lo, s25
	v_lshrrev_b32_e32 v2, 24, v2
	s_delay_alu instid0(VALU_DEP_1)
	v_and_or_b32 v2, 0x80, v2, v3
	global_store_b8 v[6:7], v2, off
.LBB9_119:
	s_mov_b32 s26, 0
	s_mov_b32 s25, -1
.LBB9_120:
	s_and_not1_b32 vcc_lo, exec_lo, s26
	s_cbranch_vccnz .LBB9_128
; %bb.121:
	s_cmp_gt_i32 s24, 14
	s_mov_b32 s26, -1
	s_cbranch_scc0 .LBB9_125
; %bb.122:
	s_cmp_eq_u32 s24, 15
	s_mov_b32 s0, -1
	s_cbranch_scc0 .LBB9_124
; %bb.123:
	s_wait_xcnt 0x0
	s_delay_alu instid0(VALU_DEP_3) | instskip(SKIP_2) | instid1(VALU_DEP_1)
	v_cvt_f32_f64_e32 v2, v[0:1]
	s_mov_b32 s25, -1
	s_mov_b32 s0, 0
	v_bfe_u32 v3, v2, 16, 1
	v_cmp_o_f32_e32 vcc_lo, v2, v2
	s_delay_alu instid0(VALU_DEP_2) | instskip(NEXT) | instid1(VALU_DEP_1)
	v_add3_u32 v3, v2, v3, 0x7fff
	v_lshrrev_b32_e32 v3, 16, v3
	s_delay_alu instid0(VALU_DEP_1)
	v_cndmask_b32_e32 v2, 0x7fc0, v3, vcc_lo
	global_store_b16 v[6:7], v2, off
.LBB9_124:
	s_mov_b32 s26, 0
.LBB9_125:
	s_delay_alu instid0(SALU_CYCLE_1)
	s_and_b32 vcc_lo, exec_lo, s26
	s_cbranch_vccz .LBB9_128
; %bb.126:
	s_cmp_eq_u32 s24, 11
	s_mov_b32 s0, -1
	s_cbranch_scc0 .LBB9_128
; %bb.127:
	s_delay_alu instid0(VALU_DEP_3)
	v_cmp_neq_f64_e32 vcc_lo, 0, v[0:1]
	s_mov_b32 s25, -1
	s_mov_b32 s0, 0
	s_wait_xcnt 0x0
	v_cndmask_b32_e64 v2, 0, 1, vcc_lo
	global_store_b8 v[6:7], v2, off
.LBB9_128:
	s_branch .LBB9_47
.LBB9_129:
	s_and_b32 s23, 0xffff, s23
	s_mov_b32 s24, -1
	s_cmp_lt_i32 s23, 5
	s_cbranch_scc1 .LBB9_150
; %bb.130:
	s_cmp_lt_i32 s23, 8
	s_cbranch_scc1 .LBB9_140
; %bb.131:
	;; [unrolled: 3-line block ×3, first 2 shown]
	s_cmp_gt_i32 s23, 9
	s_cbranch_scc0 .LBB9_134
; %bb.133:
	s_wait_xcnt 0x0
	v_mov_b32_e32 v2, 0
	s_mov_b32 s24, 0
	s_delay_alu instid0(VALU_DEP_1)
	v_mov_b32_e32 v3, v2
	global_store_b128 v[6:7], v[0:3], off
.LBB9_134:
	s_and_not1_b32 vcc_lo, exec_lo, s24
	s_cbranch_vccnz .LBB9_136
; %bb.135:
	s_wait_xcnt 0x0
	s_delay_alu instid0(VALU_DEP_3)
	v_cvt_f32_f64_e32 v2, v[0:1]
	v_mov_b32_e32 v3, 0
	global_store_b64 v[6:7], v[2:3], off
.LBB9_136:
	s_mov_b32 s24, 0
.LBB9_137:
	s_delay_alu instid0(SALU_CYCLE_1)
	s_and_not1_b32 vcc_lo, exec_lo, s24
	s_cbranch_vccnz .LBB9_139
; %bb.138:
	s_wait_xcnt 0x0
	s_delay_alu instid0(VALU_DEP_3) | instskip(SKIP_2) | instid1(VALU_DEP_3)
	v_and_or_b32 v2, 0x1ff, v1, v0
	v_lshrrev_b32_e32 v3, 8, v1
	v_bfe_u32 v5, v1, 20, 11
	v_cmp_ne_u32_e32 vcc_lo, 0, v2
	s_delay_alu instid0(VALU_DEP_2) | instskip(SKIP_2) | instid1(VALU_DEP_1)
	v_sub_nc_u32_e32 v8, 0x3f1, v5
	v_add_nc_u32_e32 v5, 0xfffffc10, v5
	v_cndmask_b32_e64 v2, 0, 1, vcc_lo
	v_and_or_b32 v2, 0xffe, v3, v2
	s_delay_alu instid0(VALU_DEP_4) | instskip(NEXT) | instid1(VALU_DEP_2)
	v_med3_i32 v3, v8, 0, 13
	v_or_b32_e32 v8, 0x1000, v2
	s_delay_alu instid0(VALU_DEP_1) | instskip(NEXT) | instid1(VALU_DEP_1)
	v_lshrrev_b32_e32 v9, v3, v8
	v_lshlrev_b32_e32 v3, v3, v9
	s_delay_alu instid0(VALU_DEP_1) | instskip(SKIP_3) | instid1(VALU_DEP_2)
	v_cmp_ne_u32_e32 vcc_lo, v3, v8
	v_lshl_or_b32 v8, v5, 12, v2
	v_cndmask_b32_e64 v3, 0, 1, vcc_lo
	v_cmp_gt_i32_e32 vcc_lo, 1, v5
	v_or_b32_e32 v3, v9, v3
	s_delay_alu instid0(VALU_DEP_1) | instskip(NEXT) | instid1(VALU_DEP_1)
	v_cndmask_b32_e32 v3, v8, v3, vcc_lo
	v_dual_lshrrev_b32 v3, 2, v3 :: v_dual_bitop2_b32 v8, 7, v3 bitop3:0x40
	s_delay_alu instid0(VALU_DEP_1) | instskip(SKIP_4) | instid1(VALU_DEP_2)
	v_cmp_lt_i32_e32 vcc_lo, 5, v8
	v_cndmask_b32_e64 v9, 0, 1, vcc_lo
	v_cmp_eq_u32_e32 vcc_lo, 3, v8
	v_cndmask_b32_e64 v8, 0, 1, vcc_lo
	v_cmp_ne_u32_e32 vcc_lo, 0, v2
	v_or_b32_e32 v8, v8, v9
	v_mov_b32_e32 v9, 0x7e00
	s_delay_alu instid0(VALU_DEP_1) | instskip(SKIP_1) | instid1(VALU_DEP_2)
	v_dual_cndmask_b32 v2, 0x7c00, v9 :: v_dual_add_nc_u32 v3, v3, v8
	v_cmp_gt_i32_e32 vcc_lo, 31, v5
	v_dual_cndmask_b32 v3, 0x7c00, v3 :: v_dual_lshrrev_b32 v8, 16, v1
	v_cmp_eq_u32_e32 vcc_lo, 0x40f, v5
	s_delay_alu instid0(VALU_DEP_2) | instskip(NEXT) | instid1(VALU_DEP_3)
	v_cndmask_b32_e32 v2, v3, v2, vcc_lo
	v_and_b32_e32 v3, 0x8000, v8
	s_delay_alu instid0(VALU_DEP_1)
	v_bitop3_b32 v2, v3, 0xffff, v2 bitop3:0xc8
	global_store_b32 v[6:7], v2, off
.LBB9_139:
	s_mov_b32 s24, 0
.LBB9_140:
	s_delay_alu instid0(SALU_CYCLE_1)
	s_and_not1_b32 vcc_lo, exec_lo, s24
	s_cbranch_vccnz .LBB9_149
; %bb.141:
	s_cmp_lt_i32 s23, 6
	s_mov_b32 s24, -1
	s_cbranch_scc1 .LBB9_147
; %bb.142:
	s_cmp_gt_i32 s23, 6
	s_cbranch_scc0 .LBB9_144
; %bb.143:
	s_mov_b32 s24, 0
	global_store_b64 v[6:7], v[0:1], off
.LBB9_144:
	s_and_not1_b32 vcc_lo, exec_lo, s24
	s_cbranch_vccnz .LBB9_146
; %bb.145:
	s_wait_xcnt 0x0
	s_delay_alu instid0(VALU_DEP_3)
	v_cvt_f32_f64_e32 v2, v[0:1]
	global_store_b32 v[6:7], v2, off
.LBB9_146:
	s_mov_b32 s24, 0
.LBB9_147:
	s_delay_alu instid0(SALU_CYCLE_1)
	s_and_not1_b32 vcc_lo, exec_lo, s24
	s_cbranch_vccnz .LBB9_149
; %bb.148:
	s_wait_xcnt 0x0
	s_delay_alu instid0(VALU_DEP_3) | instskip(SKIP_2) | instid1(VALU_DEP_3)
	v_and_or_b32 v2, 0x1ff, v1, v0
	v_lshrrev_b32_e32 v3, 8, v1
	v_bfe_u32 v5, v1, 20, 11
	v_cmp_ne_u32_e32 vcc_lo, 0, v2
	s_delay_alu instid0(VALU_DEP_2) | instskip(SKIP_2) | instid1(VALU_DEP_1)
	v_sub_nc_u32_e32 v8, 0x3f1, v5
	v_add_nc_u32_e32 v5, 0xfffffc10, v5
	v_cndmask_b32_e64 v2, 0, 1, vcc_lo
	v_and_or_b32 v2, 0xffe, v3, v2
	s_delay_alu instid0(VALU_DEP_4) | instskip(NEXT) | instid1(VALU_DEP_2)
	v_med3_i32 v3, v8, 0, 13
	v_or_b32_e32 v8, 0x1000, v2
	s_delay_alu instid0(VALU_DEP_1) | instskip(NEXT) | instid1(VALU_DEP_1)
	v_lshrrev_b32_e32 v9, v3, v8
	v_lshlrev_b32_e32 v3, v3, v9
	s_delay_alu instid0(VALU_DEP_1) | instskip(SKIP_3) | instid1(VALU_DEP_2)
	v_cmp_ne_u32_e32 vcc_lo, v3, v8
	v_lshl_or_b32 v8, v5, 12, v2
	v_cndmask_b32_e64 v3, 0, 1, vcc_lo
	v_cmp_gt_i32_e32 vcc_lo, 1, v5
	v_or_b32_e32 v3, v9, v3
	s_delay_alu instid0(VALU_DEP_1) | instskip(NEXT) | instid1(VALU_DEP_1)
	v_cndmask_b32_e32 v3, v8, v3, vcc_lo
	v_dual_lshrrev_b32 v3, 2, v3 :: v_dual_bitop2_b32 v8, 7, v3 bitop3:0x40
	s_delay_alu instid0(VALU_DEP_1) | instskip(SKIP_4) | instid1(VALU_DEP_2)
	v_cmp_lt_i32_e32 vcc_lo, 5, v8
	v_cndmask_b32_e64 v9, 0, 1, vcc_lo
	v_cmp_eq_u32_e32 vcc_lo, 3, v8
	v_cndmask_b32_e64 v8, 0, 1, vcc_lo
	v_cmp_ne_u32_e32 vcc_lo, 0, v2
	v_or_b32_e32 v8, v8, v9
	v_mov_b32_e32 v9, 0x7e00
	s_delay_alu instid0(VALU_DEP_1) | instskip(SKIP_1) | instid1(VALU_DEP_2)
	v_dual_cndmask_b32 v2, 0x7c00, v9 :: v_dual_add_nc_u32 v3, v3, v8
	v_cmp_gt_i32_e32 vcc_lo, 31, v5
	v_cndmask_b32_e32 v3, 0x7c00, v3, vcc_lo
	v_cmp_eq_u32_e32 vcc_lo, 0x40f, v5
	s_delay_alu instid0(VALU_DEP_2) | instskip(NEXT) | instid1(VALU_DEP_1)
	v_dual_cndmask_b32 v2, v3, v2 :: v_dual_lshrrev_b32 v3, 16, v1
	v_and_or_b32 v2, 0x8000, v3, v2
	global_store_b16 v[6:7], v2, off
.LBB9_149:
	s_mov_b32 s24, 0
.LBB9_150:
	s_delay_alu instid0(SALU_CYCLE_1)
	s_and_not1_b32 vcc_lo, exec_lo, s24
	s_cbranch_vccnz .LBB9_166
; %bb.151:
	s_cmp_lt_i32 s23, 2
	s_mov_b32 s24, -1
	s_cbranch_scc1 .LBB9_161
; %bb.152:
	s_cmp_lt_i32 s23, 3
	s_cbranch_scc1 .LBB9_158
; %bb.153:
	s_cmp_gt_i32 s23, 3
	s_cbranch_scc0 .LBB9_155
; %bb.154:
	s_wait_xcnt 0x0
	s_delay_alu instid0(VALU_DEP_3) | instskip(SKIP_1) | instid1(VALU_DEP_1)
	v_trunc_f64_e32 v[2:3], v[0:1]
	s_mov_b32 s24, 0
	v_ldexp_f64 v[8:9], v[2:3], 0xffffffe0
	s_delay_alu instid0(VALU_DEP_1) | instskip(NEXT) | instid1(VALU_DEP_1)
	v_floor_f64_e32 v[8:9], v[8:9]
	v_fmamk_f64 v[2:3], v[8:9], 0xc1f00000, v[2:3]
	v_cvt_i32_f64_e32 v9, v[8:9]
	s_delay_alu instid0(VALU_DEP_2)
	v_cvt_u32_f64_e32 v8, v[2:3]
	global_store_b64 v[6:7], v[8:9], off
.LBB9_155:
	s_and_not1_b32 vcc_lo, exec_lo, s24
	s_cbranch_vccnz .LBB9_157
; %bb.156:
	s_wait_xcnt 0x0
	s_delay_alu instid0(VALU_DEP_3)
	v_cvt_i32_f64_e32 v2, v[0:1]
	global_store_b32 v[6:7], v2, off
.LBB9_157:
	s_mov_b32 s24, 0
.LBB9_158:
	s_delay_alu instid0(SALU_CYCLE_1)
	s_and_not1_b32 vcc_lo, exec_lo, s24
	s_cbranch_vccnz .LBB9_160
; %bb.159:
	s_wait_xcnt 0x0
	s_delay_alu instid0(VALU_DEP_3)
	v_cvt_i32_f64_e32 v2, v[0:1]
	global_store_b16 v[6:7], v2, off
.LBB9_160:
	s_mov_b32 s24, 0
.LBB9_161:
	s_delay_alu instid0(SALU_CYCLE_1)
	s_and_not1_b32 vcc_lo, exec_lo, s24
	s_cbranch_vccnz .LBB9_166
; %bb.162:
	s_cmp_gt_i32 s23, 0
	s_mov_b32 s23, -1
	s_cbranch_scc0 .LBB9_164
; %bb.163:
	s_wait_xcnt 0x0
	s_delay_alu instid0(VALU_DEP_3)
	v_cvt_i32_f64_e32 v2, v[0:1]
	s_mov_b32 s23, 0
	global_store_b8 v[6:7], v2, off
.LBB9_164:
	s_and_not1_b32 vcc_lo, exec_lo, s23
	s_cbranch_vccnz .LBB9_166
; %bb.165:
	s_wait_xcnt 0x0
	s_delay_alu instid0(VALU_DEP_3) | instskip(NEXT) | instid1(VALU_DEP_1)
	v_trunc_f64_e32 v[0:1], v[0:1]
	v_ldexp_f64 v[2:3], v[0:1], 0xffffffe0
	s_delay_alu instid0(VALU_DEP_1) | instskip(NEXT) | instid1(VALU_DEP_1)
	v_floor_f64_e32 v[2:3], v[2:3]
	v_fmamk_f64 v[0:1], v[2:3], 0xc1f00000, v[0:1]
	s_delay_alu instid0(VALU_DEP_1)
	v_cvt_u32_f64_e32 v0, v[0:1]
	global_store_b8 v[6:7], v0, off
.LBB9_166:
.LBB9_167:
	v_add_nc_u32_e32 v4, 0x80, v4
	s_mov_b32 s23, -1
	s_branch .LBB9_278
.LBB9_168:
	s_mov_b32 s22, -1
                                        ; implicit-def: $vgpr6_vgpr7
.LBB9_169:
	s_mov_b32 s24, 0
.LBB9_170:
	s_delay_alu instid0(SALU_CYCLE_1)
	s_and_b32 vcc_lo, exec_lo, s24
	s_cbranch_vccz .LBB9_174
; %bb.171:
	s_cmp_eq_u32 s0, 29
	s_cbranch_scc0 .LBB9_173
; %bb.172:
	global_load_b64 v[6:7], v[0:1], off
	s_mov_b32 s23, -1
	s_mov_b32 s22, 0
	s_mov_b32 s24, 0
	s_wait_loadcnt 0x0
	v_cvt_f64_u32_e32 v[8:9], v7
	v_cvt_f64_u32_e32 v[6:7], v6
	s_delay_alu instid0(VALU_DEP_2) | instskip(NEXT) | instid1(VALU_DEP_1)
	v_ldexp_f64 v[8:9], v[8:9], 32
	v_add_f64_e32 v[6:7], v[8:9], v[6:7]
	s_branch .LBB9_175
.LBB9_173:
	s_mov_b32 s22, -1
                                        ; implicit-def: $vgpr6_vgpr7
.LBB9_174:
	s_mov_b32 s24, 0
.LBB9_175:
	s_delay_alu instid0(SALU_CYCLE_1)
	s_and_b32 vcc_lo, exec_lo, s24
	s_cbranch_vccz .LBB9_193
; %bb.176:
	s_cmp_lt_i32 s0, 27
	s_cbranch_scc1 .LBB9_179
; %bb.177:
	s_cmp_gt_i32 s0, 27
	s_cbranch_scc0 .LBB9_180
; %bb.178:
	global_load_b32 v3, v[0:1], off
	s_mov_b32 s23, 0
	s_wait_loadcnt 0x0
	v_cvt_f64_u32_e32 v[6:7], v3
	s_branch .LBB9_181
.LBB9_179:
	s_mov_b32 s23, -1
                                        ; implicit-def: $vgpr6_vgpr7
	s_branch .LBB9_184
.LBB9_180:
	s_mov_b32 s23, -1
                                        ; implicit-def: $vgpr6_vgpr7
.LBB9_181:
	s_delay_alu instid0(SALU_CYCLE_1)
	s_and_not1_b32 vcc_lo, exec_lo, s23
	s_cbranch_vccnz .LBB9_183
; %bb.182:
	global_load_u16 v3, v[0:1], off
	s_wait_loadcnt 0x0
	v_cvt_f64_u32_e32 v[6:7], v3
.LBB9_183:
	s_mov_b32 s23, 0
.LBB9_184:
	s_delay_alu instid0(SALU_CYCLE_1)
	s_and_not1_b32 vcc_lo, exec_lo, s23
	s_cbranch_vccnz .LBB9_192
; %bb.185:
	global_load_u8 v3, v[0:1], off
	s_mov_b32 s23, 0
	s_mov_b32 s24, exec_lo
	s_wait_loadcnt 0x0
	v_cmpx_lt_i16_e32 0x7f, v3
	s_xor_b32 s24, exec_lo, s24
	s_cbranch_execz .LBB9_205
; %bb.186:
	s_mov_b32 s23, -1
	s_mov_b32 s25, exec_lo
	v_cmpx_eq_u16_e32 0x80, v3
; %bb.187:
	s_xor_b32 s23, exec_lo, -1
; %bb.188:
	s_or_b32 exec_lo, exec_lo, s25
	s_delay_alu instid0(SALU_CYCLE_1)
	s_and_b32 s23, s23, exec_lo
	s_or_saveexec_b32 s24, s24
	v_mov_b64_e32 v[6:7], 0x7ff8000020000000
	s_xor_b32 exec_lo, exec_lo, s24
	s_cbranch_execnz .LBB9_206
.LBB9_189:
	s_or_b32 exec_lo, exec_lo, s24
	s_and_saveexec_b32 s24, s23
	s_cbranch_execz .LBB9_191
.LBB9_190:
	v_and_b32_e32 v5, 0xffff, v3
	s_delay_alu instid0(VALU_DEP_1) | instskip(SKIP_1) | instid1(VALU_DEP_2)
	v_and_b32_e32 v6, 7, v5
	v_bfe_u32 v9, v5, 3, 4
	v_clz_i32_u32_e32 v7, v6
	s_delay_alu instid0(VALU_DEP_2) | instskip(NEXT) | instid1(VALU_DEP_2)
	v_cmp_eq_u32_e32 vcc_lo, 0, v9
	v_min_u32_e32 v7, 32, v7
	s_delay_alu instid0(VALU_DEP_1) | instskip(NEXT) | instid1(VALU_DEP_1)
	v_subrev_nc_u32_e32 v8, 28, v7
	v_dual_lshlrev_b32 v5, v8, v5 :: v_dual_sub_nc_u32 v7, 29, v7
	s_delay_alu instid0(VALU_DEP_1) | instskip(NEXT) | instid1(VALU_DEP_1)
	v_dual_lshlrev_b32 v3, 24, v3 :: v_dual_bitop2_b32 v5, 7, v5 bitop3:0x40
	v_dual_cndmask_b32 v5, v6, v5, vcc_lo :: v_dual_cndmask_b32 v7, v9, v7, vcc_lo
	s_delay_alu instid0(VALU_DEP_2) | instskip(NEXT) | instid1(VALU_DEP_2)
	v_and_b32_e32 v3, 0x80000000, v3
	v_lshlrev_b32_e32 v5, 20, v5
	s_delay_alu instid0(VALU_DEP_3) | instskip(NEXT) | instid1(VALU_DEP_1)
	v_lshl_add_u32 v6, v7, 23, 0x3b800000
	v_or3_b32 v3, v3, v6, v5
	s_delay_alu instid0(VALU_DEP_1)
	v_cvt_f64_f32_e32 v[6:7], v3
.LBB9_191:
	s_or_b32 exec_lo, exec_lo, s24
.LBB9_192:
	s_mov_b32 s23, -1
.LBB9_193:
	s_branch .LBB9_228
.LBB9_194:
	s_cmp_gt_i32 s0, 22
	s_cbranch_scc0 .LBB9_204
; %bb.195:
	s_cmp_lt_i32 s0, 24
	s_cbranch_scc1 .LBB9_207
; %bb.196:
	s_cmp_gt_i32 s0, 24
	s_cbranch_scc0 .LBB9_208
; %bb.197:
	global_load_u8 v3, v[0:1], off
	s_mov_b32 s23, 0
	s_mov_b32 s24, exec_lo
	s_wait_loadcnt 0x0
	v_cmpx_lt_i16_e32 0x7f, v3
	s_xor_b32 s24, exec_lo, s24
	s_cbranch_execz .LBB9_220
; %bb.198:
	s_mov_b32 s23, -1
	s_mov_b32 s25, exec_lo
	v_cmpx_eq_u16_e32 0x80, v3
; %bb.199:
	s_xor_b32 s23, exec_lo, -1
; %bb.200:
	s_or_b32 exec_lo, exec_lo, s25
	s_delay_alu instid0(SALU_CYCLE_1)
	s_and_b32 s23, s23, exec_lo
	s_or_saveexec_b32 s24, s24
	v_mov_b64_e32 v[6:7], 0x7ff8000020000000
	s_xor_b32 exec_lo, exec_lo, s24
	s_cbranch_execnz .LBB9_221
.LBB9_201:
	s_or_b32 exec_lo, exec_lo, s24
	s_and_saveexec_b32 s24, s23
	s_cbranch_execz .LBB9_203
.LBB9_202:
	v_and_b32_e32 v5, 0xffff, v3
	s_delay_alu instid0(VALU_DEP_1) | instskip(SKIP_1) | instid1(VALU_DEP_2)
	v_and_b32_e32 v6, 3, v5
	v_bfe_u32 v9, v5, 2, 5
	v_clz_i32_u32_e32 v7, v6
	s_delay_alu instid0(VALU_DEP_2) | instskip(NEXT) | instid1(VALU_DEP_2)
	v_cmp_eq_u32_e32 vcc_lo, 0, v9
	v_min_u32_e32 v7, 32, v7
	s_delay_alu instid0(VALU_DEP_1) | instskip(NEXT) | instid1(VALU_DEP_1)
	v_subrev_nc_u32_e32 v8, 29, v7
	v_dual_lshlrev_b32 v5, v8, v5 :: v_dual_sub_nc_u32 v7, 30, v7
	s_delay_alu instid0(VALU_DEP_1) | instskip(NEXT) | instid1(VALU_DEP_1)
	v_dual_lshlrev_b32 v3, 24, v3 :: v_dual_bitop2_b32 v5, 3, v5 bitop3:0x40
	v_dual_cndmask_b32 v5, v6, v5, vcc_lo :: v_dual_cndmask_b32 v7, v9, v7, vcc_lo
	s_delay_alu instid0(VALU_DEP_2) | instskip(NEXT) | instid1(VALU_DEP_2)
	v_and_b32_e32 v3, 0x80000000, v3
	v_lshlrev_b32_e32 v5, 21, v5
	s_delay_alu instid0(VALU_DEP_3) | instskip(NEXT) | instid1(VALU_DEP_1)
	v_lshl_add_u32 v6, v7, 23, 0x37800000
	v_or3_b32 v3, v3, v6, v5
	s_delay_alu instid0(VALU_DEP_1)
	v_cvt_f64_f32_e32 v[6:7], v3
.LBB9_203:
	s_or_b32 exec_lo, exec_lo, s24
	s_mov_b32 s23, 0
	s_branch .LBB9_209
.LBB9_204:
	s_mov_b32 s24, -1
                                        ; implicit-def: $vgpr6_vgpr7
	s_branch .LBB9_215
.LBB9_205:
	s_or_saveexec_b32 s24, s24
	v_mov_b64_e32 v[6:7], 0x7ff8000020000000
	s_xor_b32 exec_lo, exec_lo, s24
	s_cbranch_execz .LBB9_189
.LBB9_206:
	v_cmp_ne_u16_e32 vcc_lo, 0, v3
	v_mov_b64_e32 v[6:7], 0
	s_and_not1_b32 s23, s23, exec_lo
	s_and_b32 s25, vcc_lo, exec_lo
	s_delay_alu instid0(SALU_CYCLE_1)
	s_or_b32 s23, s23, s25
	s_or_b32 exec_lo, exec_lo, s24
	s_and_saveexec_b32 s24, s23
	s_cbranch_execnz .LBB9_190
	s_branch .LBB9_191
.LBB9_207:
	s_mov_b32 s23, -1
                                        ; implicit-def: $vgpr6_vgpr7
	s_branch .LBB9_212
.LBB9_208:
	s_mov_b32 s23, -1
                                        ; implicit-def: $vgpr6_vgpr7
.LBB9_209:
	s_delay_alu instid0(SALU_CYCLE_1)
	s_and_b32 vcc_lo, exec_lo, s23
	s_cbranch_vccz .LBB9_211
; %bb.210:
	global_load_u8 v3, v[0:1], off
	s_wait_loadcnt 0x0
	v_lshlrev_b32_e32 v3, 24, v3
	s_delay_alu instid0(VALU_DEP_1) | instskip(NEXT) | instid1(VALU_DEP_1)
	v_and_b32_e32 v5, 0x7f000000, v3
	v_clz_i32_u32_e32 v6, v5
	v_cmp_ne_u32_e32 vcc_lo, 0, v5
	v_add_nc_u32_e32 v8, 0x1000000, v5
	s_delay_alu instid0(VALU_DEP_3) | instskip(NEXT) | instid1(VALU_DEP_1)
	v_min_u32_e32 v6, 32, v6
	v_sub_nc_u32_e64 v6, v6, 4 clamp
	s_delay_alu instid0(VALU_DEP_1) | instskip(NEXT) | instid1(VALU_DEP_1)
	v_dual_lshlrev_b32 v7, v6, v5 :: v_dual_lshlrev_b32 v6, 23, v6
	v_lshrrev_b32_e32 v7, 4, v7
	s_delay_alu instid0(VALU_DEP_1) | instskip(NEXT) | instid1(VALU_DEP_1)
	v_dual_sub_nc_u32 v6, v7, v6 :: v_dual_ashrrev_i32 v7, 8, v8
	v_add_nc_u32_e32 v6, 0x3c000000, v6
	s_delay_alu instid0(VALU_DEP_1) | instskip(NEXT) | instid1(VALU_DEP_1)
	v_and_or_b32 v6, 0x7f800000, v7, v6
	v_cndmask_b32_e32 v5, 0, v6, vcc_lo
	s_delay_alu instid0(VALU_DEP_1) | instskip(NEXT) | instid1(VALU_DEP_1)
	v_and_or_b32 v3, 0x80000000, v3, v5
	v_cvt_f64_f32_e32 v[6:7], v3
.LBB9_211:
	s_mov_b32 s23, 0
.LBB9_212:
	s_delay_alu instid0(SALU_CYCLE_1)
	s_and_not1_b32 vcc_lo, exec_lo, s23
	s_cbranch_vccnz .LBB9_214
; %bb.213:
	global_load_u8 v3, v[0:1], off
	s_wait_loadcnt 0x0
	v_lshlrev_b32_e32 v5, 25, v3
	v_lshlrev_b16 v3, 8, v3
	s_delay_alu instid0(VALU_DEP_1) | instskip(NEXT) | instid1(VALU_DEP_3)
	v_and_or_b32 v7, 0x7f00, v3, 0.5
	v_lshrrev_b32_e32 v6, 4, v5
	v_bfe_i32 v3, v3, 0, 16
	s_delay_alu instid0(VALU_DEP_3) | instskip(NEXT) | instid1(VALU_DEP_3)
	v_add_f32_e32 v7, -0.5, v7
	v_or_b32_e32 v6, 0x70000000, v6
	s_delay_alu instid0(VALU_DEP_1) | instskip(SKIP_1) | instid1(VALU_DEP_2)
	v_mul_f32_e32 v6, 0x7800000, v6
	v_cmp_gt_u32_e32 vcc_lo, 0x8000000, v5
	v_cndmask_b32_e32 v5, v6, v7, vcc_lo
	s_delay_alu instid0(VALU_DEP_1) | instskip(NEXT) | instid1(VALU_DEP_1)
	v_and_or_b32 v3, 0x80000000, v3, v5
	v_cvt_f64_f32_e32 v[6:7], v3
.LBB9_214:
	s_mov_b32 s24, 0
	s_mov_b32 s23, -1
.LBB9_215:
	s_and_not1_b32 vcc_lo, exec_lo, s24
	s_cbranch_vccnz .LBB9_228
; %bb.216:
	s_cmp_gt_i32 s0, 14
	s_cbranch_scc0 .LBB9_219
; %bb.217:
	s_cmp_eq_u32 s0, 15
	s_cbranch_scc0 .LBB9_222
; %bb.218:
	global_load_u16 v3, v[0:1], off
	s_mov_b32 s23, -1
	s_mov_b32 s22, 0
	s_wait_loadcnt 0x0
	v_lshlrev_b32_e32 v3, 16, v3
	s_delay_alu instid0(VALU_DEP_1)
	v_cvt_f64_f32_e32 v[6:7], v3
	s_branch .LBB9_223
.LBB9_219:
	s_mov_b32 s24, -1
                                        ; implicit-def: $vgpr6_vgpr7
	s_branch .LBB9_224
.LBB9_220:
	s_or_saveexec_b32 s24, s24
	v_mov_b64_e32 v[6:7], 0x7ff8000020000000
	s_xor_b32 exec_lo, exec_lo, s24
	s_cbranch_execz .LBB9_201
.LBB9_221:
	v_cmp_ne_u16_e32 vcc_lo, 0, v3
	v_mov_b64_e32 v[6:7], 0
	s_and_not1_b32 s23, s23, exec_lo
	s_and_b32 s25, vcc_lo, exec_lo
	s_delay_alu instid0(SALU_CYCLE_1)
	s_or_b32 s23, s23, s25
	s_or_b32 exec_lo, exec_lo, s24
	s_and_saveexec_b32 s24, s23
	s_cbranch_execnz .LBB9_202
	s_branch .LBB9_203
.LBB9_222:
	s_mov_b32 s22, -1
                                        ; implicit-def: $vgpr6_vgpr7
.LBB9_223:
	s_mov_b32 s24, 0
.LBB9_224:
	s_delay_alu instid0(SALU_CYCLE_1)
	s_and_b32 vcc_lo, exec_lo, s24
	s_cbranch_vccz .LBB9_228
; %bb.225:
	s_cmp_eq_u32 s0, 11
	s_cbranch_scc0 .LBB9_227
; %bb.226:
	global_load_u8 v3, v[0:1], off
	v_mov_b32_e32 v6, 0
	s_mov_b32 s22, 0
	s_mov_b32 s23, -1
	s_wait_loadcnt 0x0
	v_cmp_ne_u16_e32 vcc_lo, 0, v3
	v_cndmask_b32_e64 v7, 0, 0x3ff00000, vcc_lo
	s_branch .LBB9_228
.LBB9_227:
	s_mov_b32 s22, -1
                                        ; implicit-def: $vgpr6_vgpr7
.LBB9_228:
	s_branch .LBB9_25
.LBB9_229:
	s_cmp_lt_i32 s0, 5
	s_cbranch_scc1 .LBB9_234
; %bb.230:
	s_cmp_lt_i32 s0, 8
	s_cbranch_scc1 .LBB9_235
; %bb.231:
	;; [unrolled: 3-line block ×3, first 2 shown]
	s_cmp_gt_i32 s0, 9
	s_cbranch_scc0 .LBB9_237
; %bb.233:
	global_load_b64 v[6:7], v[0:1], off
	s_mov_b32 s23, 0
	s_branch .LBB9_238
.LBB9_234:
                                        ; implicit-def: $vgpr6_vgpr7
	s_branch .LBB9_256
.LBB9_235:
	s_mov_b32 s23, -1
                                        ; implicit-def: $vgpr6_vgpr7
	s_branch .LBB9_244
.LBB9_236:
	s_mov_b32 s23, -1
                                        ; implicit-def: $vgpr6_vgpr7
	s_branch .LBB9_241
.LBB9_237:
	s_mov_b32 s23, -1
                                        ; implicit-def: $vgpr6_vgpr7
.LBB9_238:
	s_delay_alu instid0(SALU_CYCLE_1)
	s_and_not1_b32 vcc_lo, exec_lo, s23
	s_cbranch_vccnz .LBB9_240
; %bb.239:
	global_load_b32 v3, v[0:1], off
	s_wait_loadcnt 0x0
	v_cvt_f64_f32_e32 v[6:7], v3
.LBB9_240:
	s_mov_b32 s23, 0
.LBB9_241:
	s_delay_alu instid0(SALU_CYCLE_1)
	s_and_not1_b32 vcc_lo, exec_lo, s23
	s_cbranch_vccnz .LBB9_243
; %bb.242:
	global_load_b32 v3, v[0:1], off
	s_wait_loadcnt 0x0
	v_cvt_f32_f16_e32 v3, v3
	s_delay_alu instid0(VALU_DEP_1)
	v_cvt_f64_f32_e32 v[6:7], v3
.LBB9_243:
	s_mov_b32 s23, 0
.LBB9_244:
	s_delay_alu instid0(SALU_CYCLE_1)
	s_and_not1_b32 vcc_lo, exec_lo, s23
	s_cbranch_vccnz .LBB9_255
; %bb.245:
	s_cmp_lt_i32 s0, 6
	s_cbranch_scc1 .LBB9_248
; %bb.246:
	s_cmp_gt_i32 s0, 6
	s_cbranch_scc0 .LBB9_249
; %bb.247:
	s_wait_loadcnt 0x0
	global_load_b64 v[6:7], v[0:1], off
	s_mov_b32 s23, 0
	s_branch .LBB9_250
.LBB9_248:
	s_mov_b32 s23, -1
                                        ; implicit-def: $vgpr6_vgpr7
	s_branch .LBB9_253
.LBB9_249:
	s_mov_b32 s23, -1
                                        ; implicit-def: $vgpr6_vgpr7
.LBB9_250:
	s_delay_alu instid0(SALU_CYCLE_1)
	s_and_not1_b32 vcc_lo, exec_lo, s23
	s_cbranch_vccnz .LBB9_252
; %bb.251:
	global_load_b32 v3, v[0:1], off
	s_wait_loadcnt 0x0
	v_cvt_f64_f32_e32 v[6:7], v3
.LBB9_252:
	s_mov_b32 s23, 0
.LBB9_253:
	s_delay_alu instid0(SALU_CYCLE_1)
	s_and_not1_b32 vcc_lo, exec_lo, s23
	s_cbranch_vccnz .LBB9_255
; %bb.254:
	global_load_u16 v3, v[0:1], off
	s_wait_loadcnt 0x0
	v_cvt_f32_f16_e32 v3, v3
	s_delay_alu instid0(VALU_DEP_1)
	v_cvt_f64_f32_e32 v[6:7], v3
.LBB9_255:
	s_cbranch_execnz .LBB9_275
.LBB9_256:
	s_cmp_lt_i32 s0, 2
	s_cbranch_scc1 .LBB9_260
; %bb.257:
	s_cmp_lt_i32 s0, 3
	s_cbranch_scc1 .LBB9_261
; %bb.258:
	s_cmp_gt_i32 s0, 3
	s_cbranch_scc0 .LBB9_262
; %bb.259:
	s_wait_loadcnt 0x0
	global_load_b64 v[6:7], v[0:1], off
	s_mov_b32 s23, 0
	s_wait_loadcnt 0x0
	v_cvt_f64_i32_e32 v[8:9], v7
	v_cvt_f64_u32_e32 v[6:7], v6
	s_delay_alu instid0(VALU_DEP_2) | instskip(NEXT) | instid1(VALU_DEP_1)
	v_ldexp_f64 v[8:9], v[8:9], 32
	v_add_f64_e32 v[6:7], v[8:9], v[6:7]
	s_branch .LBB9_263
.LBB9_260:
	s_mov_b32 s23, -1
                                        ; implicit-def: $vgpr6_vgpr7
	s_branch .LBB9_269
.LBB9_261:
	s_mov_b32 s23, -1
                                        ; implicit-def: $vgpr6_vgpr7
	s_branch .LBB9_266
.LBB9_262:
	s_mov_b32 s23, -1
                                        ; implicit-def: $vgpr6_vgpr7
.LBB9_263:
	s_delay_alu instid0(SALU_CYCLE_1)
	s_and_not1_b32 vcc_lo, exec_lo, s23
	s_cbranch_vccnz .LBB9_265
; %bb.264:
	global_load_b32 v3, v[0:1], off
	s_wait_loadcnt 0x0
	v_cvt_f64_i32_e32 v[6:7], v3
.LBB9_265:
	s_mov_b32 s23, 0
.LBB9_266:
	s_delay_alu instid0(SALU_CYCLE_1)
	s_and_not1_b32 vcc_lo, exec_lo, s23
	s_cbranch_vccnz .LBB9_268
; %bb.267:
	global_load_i16 v3, v[0:1], off
	s_wait_loadcnt 0x0
	v_cvt_f64_i32_e32 v[6:7], v3
.LBB9_268:
	s_mov_b32 s23, 0
.LBB9_269:
	s_delay_alu instid0(SALU_CYCLE_1)
	s_and_not1_b32 vcc_lo, exec_lo, s23
	s_cbranch_vccnz .LBB9_275
; %bb.270:
	s_cmp_gt_i32 s0, 0
	s_mov_b32 s0, 0
	s_cbranch_scc0 .LBB9_272
; %bb.271:
	global_load_i8 v3, v[0:1], off
	s_wait_loadcnt 0x0
	v_cvt_f64_i32_e32 v[6:7], v3
	s_branch .LBB9_273
.LBB9_272:
	s_mov_b32 s0, -1
                                        ; implicit-def: $vgpr6_vgpr7
.LBB9_273:
	s_delay_alu instid0(SALU_CYCLE_1)
	s_and_not1_b32 vcc_lo, exec_lo, s0
	s_cbranch_vccnz .LBB9_275
; %bb.274:
	global_load_u8 v0, v[0:1], off
	s_wait_loadcnt 0x0
	v_cvt_f64_u32_e32 v[6:7], v0
.LBB9_275:
	s_branch .LBB9_26
.LBB9_276:
	s_mov_b32 s0, 0
.LBB9_277:
	s_mov_b32 s23, 0
                                        ; implicit-def: $vgpr4
.LBB9_278:
	s_and_b32 s39, s0, exec_lo
	s_and_b32 s40, s22, exec_lo
	s_or_not1_b32 s23, s23, exec_lo
.LBB9_279:
	s_wait_xcnt 0x0
	s_or_b32 exec_lo, exec_lo, s41
	s_mov_b32 s22, 0
	s_mov_b32 s0, 0
                                        ; implicit-def: $vgpr0_vgpr1
                                        ; implicit-def: $vgpr2
                                        ; implicit-def: $vgpr6_vgpr7
	s_and_saveexec_b32 s41, s23
	s_cbranch_execz .LBB9_287
; %bb.280:
	s_mov_b32 s0, -1
	s_mov_b32 s42, s40
	s_mov_b32 s43, s39
	s_mov_b32 s44, exec_lo
	v_cmpx_gt_i32_e64 s36, v4
	s_cbranch_execz .LBB9_570
; %bb.281:
	s_and_not1_b32 vcc_lo, exec_lo, s31
	s_cbranch_vccnz .LBB9_290
; %bb.282:
	s_and_not1_b32 vcc_lo, exec_lo, s38
	s_cbranch_vccnz .LBB9_291
; %bb.283:
	s_add_co_i32 s0, s37, 1
	s_cmp_eq_u32 s29, 2
	s_cbranch_scc1 .LBB9_292
; %bb.284:
	v_dual_mov_b32 v2, 0 :: v_dual_mov_b32 v0, 0
	v_mov_b32_e32 v1, v4
	s_and_b32 s22, s0, 28
	s_mov_b32 s23, 0
	s_mov_b64 s[24:25], s[2:3]
	s_mov_b64 s[26:27], s[20:21]
.LBB9_285:                              ; =>This Inner Loop Header: Depth=1
	s_clause 0x1
	s_load_b256 s[48:55], s[24:25], 0x4
	s_load_b128 s[64:67], s[24:25], 0x24
	s_load_b256 s[56:63], s[26:27], 0x0
	s_add_co_i32 s23, s23, 4
	s_wait_xcnt 0x0
	s_add_nc_u64 s[24:25], s[24:25], 48
	s_cmp_eq_u32 s22, s23
	s_add_nc_u64 s[26:27], s[26:27], 32
	s_wait_kmcnt 0x0
	v_mul_hi_u32 v3, s49, v1
	s_delay_alu instid0(VALU_DEP_1) | instskip(NEXT) | instid1(VALU_DEP_1)
	v_add_nc_u32_e32 v3, v1, v3
	v_lshrrev_b32_e32 v3, s50, v3
	s_delay_alu instid0(VALU_DEP_1) | instskip(NEXT) | instid1(VALU_DEP_1)
	v_mul_hi_u32 v5, s52, v3
	v_add_nc_u32_e32 v5, v3, v5
	s_delay_alu instid0(VALU_DEP_1) | instskip(SKIP_1) | instid1(VALU_DEP_1)
	v_lshrrev_b32_e32 v5, s53, v5
	s_wait_loadcnt 0x0
	v_mul_hi_u32 v6, s55, v5
	s_delay_alu instid0(VALU_DEP_1) | instskip(SKIP_1) | instid1(VALU_DEP_1)
	v_add_nc_u32_e32 v6, v5, v6
	v_mul_lo_u32 v7, v3, s48
	v_sub_nc_u32_e32 v1, v1, v7
	v_mul_lo_u32 v7, v5, s51
	s_delay_alu instid0(VALU_DEP_4) | instskip(NEXT) | instid1(VALU_DEP_3)
	v_lshrrev_b32_e32 v6, s64, v6
	v_mad_u32 v0, v1, s57, v0
	v_mad_u32 v1, v1, s56, v2
	s_delay_alu instid0(VALU_DEP_4) | instskip(NEXT) | instid1(VALU_DEP_4)
	v_sub_nc_u32_e32 v2, v3, v7
	v_mul_hi_u32 v8, s66, v6
	v_mul_lo_u32 v3, v6, s54
	s_delay_alu instid0(VALU_DEP_3) | instskip(SKIP_1) | instid1(VALU_DEP_3)
	v_mad_u32 v0, v2, s59, v0
	v_mad_u32 v2, v2, s58, v1
	v_dual_add_nc_u32 v7, v6, v8 :: v_dual_sub_nc_u32 v3, v5, v3
	s_delay_alu instid0(VALU_DEP_1) | instskip(NEXT) | instid1(VALU_DEP_2)
	v_lshrrev_b32_e32 v1, s67, v7
	v_mad_u32 v0, v3, s61, v0
	s_delay_alu instid0(VALU_DEP_4) | instskip(NEXT) | instid1(VALU_DEP_3)
	v_mad_u32 v2, v3, s60, v2
	v_mul_lo_u32 v5, v1, s65
	s_delay_alu instid0(VALU_DEP_1) | instskip(NEXT) | instid1(VALU_DEP_1)
	v_sub_nc_u32_e32 v3, v6, v5
	v_mad_u32 v0, v3, s63, v0
	s_delay_alu instid0(VALU_DEP_4)
	v_mad_u32 v2, v3, s62, v2
	s_cbranch_scc0 .LBB9_285
; %bb.286:
	s_delay_alu instid0(VALU_DEP_2)
	v_mov_b32_e32 v3, v0
	s_branch .LBB9_293
.LBB9_287:
	s_or_b32 exec_lo, exec_lo, s41
	s_mov_b32 s1, 0
	s_and_saveexec_b32 s6, s40
	s_cbranch_execnz .LBB9_964
.LBB9_288:
	s_or_b32 exec_lo, exec_lo, s6
	s_and_saveexec_b32 s6, s17
	s_delay_alu instid0(SALU_CYCLE_1)
	s_xor_b32 s6, exec_lo, s6
	s_cbranch_execz .LBB9_965
.LBB9_289:
	global_load_u8 v3, v[0:1], off
	s_wait_loadcnt 0x1
	v_mov_b32_e32 v6, 0
	s_or_b32 s0, s0, exec_lo
	s_wait_loadcnt 0x0
	v_cmp_ne_u16_e32 vcc_lo, 0, v3
	v_cndmask_b32_e64 v7, 0, 0x3ff00000, vcc_lo
	s_wait_xcnt 0x0
	s_or_b32 exec_lo, exec_lo, s6
	s_and_saveexec_b32 s6, s22
	s_cbranch_execz .LBB9_1011
	s_branch .LBB9_966
.LBB9_290:
                                        ; implicit-def: $vgpr0
                                        ; implicit-def: $vgpr2
	s_and_not1_b32 vcc_lo, exec_lo, s0
	s_cbranch_vccnz .LBB9_300
	s_branch .LBB9_298
.LBB9_291:
	v_dual_mov_b32 v0, 0 :: v_dual_mov_b32 v2, 0
	s_branch .LBB9_297
.LBB9_292:
	v_mov_b64_e32 v[2:3], 0
	v_mov_b32_e32 v1, v4
                                        ; implicit-def: $vgpr0
.LBB9_293:
	s_and_b32 s0, s0, 3
	s_mov_b32 s23, 0
	s_cmp_eq_u32 s0, 0
	s_cbranch_scc1 .LBB9_297
; %bb.294:
	s_lshl_b32 s24, s22, 3
	s_mov_b32 s25, s23
	s_mul_u64 s[26:27], s[22:23], 12
	s_add_nc_u64 s[24:25], s[2:3], s[24:25]
	s_delay_alu instid0(SALU_CYCLE_1)
	s_add_nc_u64 s[22:23], s[24:25], 0xc4
	s_add_nc_u64 s[24:25], s[2:3], s[26:27]
.LBB9_295:                              ; =>This Inner Loop Header: Depth=1
	s_load_b96 s[48:50], s[24:25], 0x4
	s_load_b64 s[26:27], s[22:23], 0x0
	s_add_co_i32 s0, s0, -1
	s_wait_xcnt 0x0
	s_add_nc_u64 s[24:25], s[24:25], 12
	s_cmp_lg_u32 s0, 0
	s_add_nc_u64 s[22:23], s[22:23], 8
	s_wait_kmcnt 0x0
	v_mul_hi_u32 v0, s49, v1
	s_delay_alu instid0(VALU_DEP_1) | instskip(NEXT) | instid1(VALU_DEP_1)
	v_add_nc_u32_e32 v0, v1, v0
	v_lshrrev_b32_e32 v0, s50, v0
	s_delay_alu instid0(VALU_DEP_1) | instskip(NEXT) | instid1(VALU_DEP_1)
	v_mul_lo_u32 v5, v0, s48
	v_sub_nc_u32_e32 v1, v1, v5
	s_delay_alu instid0(VALU_DEP_1)
	v_mad_u32 v3, v1, s27, v3
	v_mad_u32 v2, v1, s26, v2
	v_mov_b32_e32 v1, v0
	s_cbranch_scc1 .LBB9_295
; %bb.296:
	s_delay_alu instid0(VALU_DEP_3)
	v_mov_b32_e32 v0, v3
.LBB9_297:
	s_cbranch_execnz .LBB9_300
.LBB9_298:
	v_mov_b32_e32 v5, 0
	s_and_not1_b32 vcc_lo, exec_lo, s35
	s_delay_alu instid0(VALU_DEP_1) | instskip(NEXT) | instid1(VALU_DEP_1)
	v_mul_u64_e32 v[0:1], s[16:17], v[4:5]
	v_add_nc_u32_e32 v0, v4, v1
	s_wait_loadcnt 0x0
	s_delay_alu instid0(VALU_DEP_1) | instskip(NEXT) | instid1(VALU_DEP_1)
	v_lshrrev_b32_e32 v6, s14, v0
	v_mul_lo_u32 v0, v6, s12
	s_delay_alu instid0(VALU_DEP_1) | instskip(NEXT) | instid1(VALU_DEP_1)
	v_sub_nc_u32_e32 v1, v4, v0
	v_mul_lo_u32 v0, v1, s9
	v_mul_lo_u32 v2, v1, s8
	s_cbranch_vccnz .LBB9_300
; %bb.299:
	v_mov_b32_e32 v7, v5
	s_delay_alu instid0(VALU_DEP_1) | instskip(NEXT) | instid1(VALU_DEP_1)
	v_mul_u64_e32 v[8:9], s[18:19], v[6:7]
	v_add_nc_u32_e32 v1, v6, v9
	s_delay_alu instid0(VALU_DEP_1) | instskip(NEXT) | instid1(VALU_DEP_1)
	v_lshrrev_b32_e32 v1, s1, v1
	v_mul_lo_u32 v1, v1, s15
	s_delay_alu instid0(VALU_DEP_1) | instskip(NEXT) | instid1(VALU_DEP_1)
	v_sub_nc_u32_e32 v1, v6, v1
	v_mad_u32 v2, v1, s10, v2
	v_mad_u32 v0, v1, s11, v0
.LBB9_300:
	v_mov_b32_e32 v1, 0
	s_and_b32 s0, 0xffff, s13
	s_delay_alu instid0(SALU_CYCLE_1) | instskip(NEXT) | instid1(VALU_DEP_1)
	s_cmp_lt_i32 s0, 11
	v_add_nc_u64_e32 v[0:1], s[6:7], v[0:1]
	s_cbranch_scc1 .LBB9_307
; %bb.301:
	s_cmp_gt_i32 s0, 25
	s_cbranch_scc0 .LBB9_328
; %bb.302:
	s_cmp_gt_i32 s0, 28
	s_cbranch_scc0 .LBB9_330
; %bb.303:
	s_cmp_gt_i32 s0, 43
	s_cbranch_scc0 .LBB9_332
; %bb.304:
	s_cmp_gt_i32 s0, 45
	s_cbranch_scc0 .LBB9_336
; %bb.305:
	s_cmp_eq_u32 s0, 46
	s_mov_b32 s24, 0
	s_cbranch_scc0 .LBB9_340
; %bb.306:
	global_load_b32 v3, v[0:1], off
	s_mov_b32 s23, -1
	s_mov_b32 s22, 0
	s_wait_loadcnt 0x0
	v_lshlrev_b32_e32 v3, 16, v3
	s_delay_alu instid0(VALU_DEP_1)
	v_cvt_f64_f32_e32 v[6:7], v3
	s_branch .LBB9_342
.LBB9_307:
	s_mov_b32 s23, 0
	s_mov_b32 s22, s40
                                        ; implicit-def: $vgpr6_vgpr7
	s_cbranch_execnz .LBB9_519
.LBB9_308:
	s_and_not1_b32 vcc_lo, exec_lo, s23
	s_cbranch_vccnz .LBB9_567
.LBB9_309:
	s_wait_loadcnt 0x0
	s_delay_alu instid0(VALU_DEP_1) | instskip(SKIP_2) | instid1(SALU_CYCLE_1)
	v_cmp_ge_f64_e64 s0, 0x40200000, |v[6:7]|
                                        ; implicit-def: $vgpr0_vgpr1
	s_wait_xcnt 0x0
	s_and_saveexec_b32 s23, s0
	s_xor_b32 s0, exec_lo, s23
	s_cbranch_execz .LBB9_315
; %bb.310:
	v_fma_f64 v[0:1], |v[6:7]|, 0.5, -2.0
	s_mov_b64 s[24:25], 0x3c499f2a0c3c4014
	s_mov_b32 s23, exec_lo
	s_delay_alu instid0(VALU_DEP_1) | instskip(SKIP_1) | instid1(SALU_CYCLE_1)
	v_fmaak_f64 v[8:9], s[24:25], v[0:1], 0xbc7857d0c38a0576
	s_mov_b64 s[24:25], 0x3ff71547652b82fe
	v_mul_f64_e64 v[12:13], |v[6:7]|, s[24:25]
	s_mov_b64 s[24:25], 0xbfe62e42fefa39ef
	s_delay_alu instid0(VALU_DEP_2) | instskip(NEXT) | instid1(VALU_DEP_1)
	v_fmaak_f64 v[10:11], v[0:1], v[8:9], 0xbc499f2a0c3c4014
	v_add_f64_e32 v[10:11], 0x3ca663e3e593bfac, v[10:11]
	s_delay_alu instid0(VALU_DEP_3) | instskip(NEXT) | instid1(VALU_DEP_2)
	v_rndne_f64_e32 v[12:13], v[12:13]
	v_fma_f64 v[8:9], v[0:1], v[10:11], -v[8:9]
	s_delay_alu instid0(VALU_DEP_2) | instskip(SKIP_2) | instid1(VALU_DEP_3)
	v_fma_f64 v[14:15], v[12:13], s[24:25], |v[6:7]|
	s_mov_b64 s[24:25], 0x3e5ade156a5dcb37
	v_cvt_i32_f64_e32 v3, v[12:13]
	v_add_f64_e32 v[8:9], 0xbcd3eaaa7e0d1573, v[8:9]
	s_delay_alu instid0(VALU_DEP_1) | instskip(NEXT) | instid1(VALU_DEP_1)
	v_fma_f64 v[10:11], v[0:1], v[8:9], -v[10:11]
	v_add_f64_e32 v[10:11], 0x3d011d7f0615290c, v[10:11]
	s_delay_alu instid0(VALU_DEP_1) | instskip(NEXT) | instid1(VALU_DEP_1)
	v_fma_f64 v[8:9], v[0:1], v[10:11], -v[8:9]
	;; [unrolled: 3-line block ×24, first 2 shown]
	v_add_f64_e32 v[8:9], 0xbfc694d10469192e, v[8:9]
	s_delay_alu instid0(VALU_DEP_1) | instskip(SKIP_1) | instid1(VALU_DEP_1)
	v_fma_f64 v[0:1], v[0:1], v[8:9], -v[10:11]
	v_fmamk_f64 v[8:9], v[12:13], 0xbc7abc9e3b39803f, v[14:15]
	v_fmaak_f64 v[14:15], s[24:25], v[8:9], 0x3e928af3fca7ab0c
	s_delay_alu instid0(VALU_DEP_1) | instskip(NEXT) | instid1(VALU_DEP_1)
	v_fmaak_f64 v[14:15], v[8:9], v[14:15], 0x3ec71dee623fde64
	v_fmaak_f64 v[14:15], v[8:9], v[14:15], 0x3efa01997c89e6b0
	s_delay_alu instid0(VALU_DEP_1) | instskip(SKIP_1) | instid1(VALU_DEP_2)
	v_fmaak_f64 v[14:15], v[8:9], v[14:15], 0x3f2a01a014761f6e
	v_add_f64_e32 v[0:1], 0x3fd02a63724a7ffa, v[0:1]
	v_fmaak_f64 v[14:15], v[8:9], v[14:15], 0x3f56c16c1852b7b0
	s_delay_alu instid0(VALU_DEP_2) | instskip(NEXT) | instid1(VALU_DEP_2)
	v_add_f64_e64 v[0:1], v[0:1], -v[10:11]
	v_fmaak_f64 v[10:11], v[8:9], v[14:15], 0x3f81111111122322
	s_delay_alu instid0(VALU_DEP_1) | instskip(NEXT) | instid1(VALU_DEP_1)
	v_fmaak_f64 v[10:11], v[8:9], v[10:11], 0x3fa55555555502a1
	v_fmaak_f64 v[10:11], v[8:9], v[10:11], 0x3fc5555555555511
	s_delay_alu instid0(VALU_DEP_1) | instskip(NEXT) | instid1(VALU_DEP_1)
	v_fmaak_f64 v[10:11], v[8:9], v[10:11], 0x3fe000000000000b
	v_fma_f64 v[10:11], v[8:9], v[10:11], 1.0
	v_mul_f64_e32 v[0:1], 0.5, v[0:1]
	s_delay_alu instid0(VALU_DEP_2) | instskip(NEXT) | instid1(VALU_DEP_2)
	v_fma_f64 v[10:11], v[8:9], v[10:11], 1.0
	v_mul_f64_e64 v[8:9], |v[6:7]|, v[0:1]
                                        ; implicit-def: $vgpr0_vgpr1
	v_cmpx_ngt_f64_e32 0, v[6:7]
	s_xor_b32 s23, exec_lo, s23
	s_cbranch_execz .LBB9_312
; %bb.311:
	s_delay_alu instid0(VALU_DEP_3) | instskip(SKIP_1) | instid1(VALU_DEP_2)
	v_ldexp_f64 v[0:1], v[10:11], v3
	v_cmp_nlt_f64_e64 vcc_lo, 0x40900000, |v[6:7]|
                                        ; implicit-def: $vgpr10_vgpr11
                                        ; implicit-def: $vgpr3
                                        ; implicit-def: $vgpr6_vgpr7
	v_cndmask_b32_e32 v1, 0x7ff00000, v1, vcc_lo
	s_delay_alu instid0(VALU_DEP_3) | instskip(NEXT) | instid1(VALU_DEP_1)
	v_cndmask_b32_e32 v0, 0, v0, vcc_lo
	v_mul_f64_e32 v[0:1], v[0:1], v[8:9]
                                        ; implicit-def: $vgpr8_vgpr9
.LBB9_312:
	s_and_not1_saveexec_b32 s23, s23
	s_cbranch_execz .LBB9_314
; %bb.313:
	s_delay_alu instid0(VALU_DEP_3) | instskip(SKIP_1) | instid1(VALU_DEP_2)
	v_ldexp_f64 v[0:1], -v[10:11], v3
	v_cmp_nlt_f64_e64 vcc_lo, 0x40900000, |v[6:7]|
	v_cndmask_b32_e32 v1, 0xfff00000, v1, vcc_lo
	s_delay_alu instid0(VALU_DEP_3) | instskip(NEXT) | instid1(VALU_DEP_1)
	v_cndmask_b32_e32 v0, 0, v0, vcc_lo
	v_mul_f64_e32 v[0:1], v[0:1], v[8:9]
.LBB9_314:
	s_or_b32 exec_lo, exec_lo, s23
                                        ; implicit-def: $vgpr6_vgpr7
.LBB9_315:
	s_and_not1_saveexec_b32 s23, s0
	s_cbranch_execz .LBB9_321
; %bb.316:
	v_and_b32_e32 v1, 0x7fffffff, v7
	v_mov_b32_e32 v0, v6
	s_mov_b64 s[24:25], 0x3c61556db352e8e6
	v_cmp_ngt_f64_e64 s0, 0, v[6:7]
	s_delay_alu instid0(VALU_DEP_2) | instskip(SKIP_1) | instid1(VALU_DEP_2)
	v_div_scale_f64 v[8:9], null, v[0:1], v[0:1], 0x40400000
	v_div_scale_f64 v[0:1], vcc_lo, 0x40400000, v[0:1], 0x40400000
	v_rcp_f64_e32 v[10:11], v[8:9]
	v_nop
	s_delay_alu instid0(TRANS32_DEP_1) | instskip(NEXT) | instid1(VALU_DEP_1)
	v_fma_f64 v[12:13], -v[8:9], v[10:11], 1.0
	v_fmac_f64_e32 v[10:11], v[10:11], v[12:13]
	s_delay_alu instid0(VALU_DEP_1) | instskip(NEXT) | instid1(VALU_DEP_1)
	v_fma_f64 v[12:13], -v[8:9], v[10:11], 1.0
	v_fmac_f64_e32 v[10:11], v[10:11], v[12:13]
	s_delay_alu instid0(VALU_DEP_1) | instskip(NEXT) | instid1(VALU_DEP_1)
	v_mul_f64_e32 v[12:13], v[0:1], v[10:11]
	v_fma_f64 v[0:1], -v[8:9], v[12:13], v[0:1]
	s_delay_alu instid0(VALU_DEP_1) | instskip(SKIP_1) | instid1(VALU_DEP_2)
	v_div_fmas_f64 v[0:1], v[0:1], v[10:11], v[12:13]
	v_cmp_nlt_f64_e64 vcc_lo, 0x40900000, |v[6:7]|
	v_div_fixup_f64 v[0:1], v[0:1], |v[6:7]|, 0x40400000
	s_delay_alu instid0(VALU_DEP_1) | instskip(NEXT) | instid1(VALU_DEP_1)
	v_add_f64_e32 v[0:1], -2.0, v[0:1]
	v_fmaak_f64 v[8:9], s[24:25], v[0:1], 0x3c545b8aea87b950
	s_mov_b64 s[24:25], 0x3ff71547652b82fe
	s_delay_alu instid0(SALU_CYCLE_1) | instskip(SKIP_1) | instid1(VALU_DEP_2)
	v_mul_f64_e64 v[12:13], |v[6:7]|, s[24:25]
	s_mov_b64 s[24:25], 0xbfe62e42fefa39ef
	v_fmaak_f64 v[10:11], v[0:1], v[8:9], 0xbc61556db352e8e6
	s_delay_alu instid0(VALU_DEP_1) | instskip(NEXT) | instid1(VALU_DEP_3)
	v_add_f64_e32 v[10:11], 0xbc8acea3b2532277, v[10:11]
	v_rndne_f64_e32 v[12:13], v[12:13]
	s_delay_alu instid0(VALU_DEP_2) | instskip(NEXT) | instid1(VALU_DEP_2)
	v_fma_f64 v[8:9], v[0:1], v[10:11], -v[8:9]
	v_fma_f64 v[14:15], v[12:13], s[24:25], |v[6:7]|
	s_mov_b64 s[24:25], 0x3e5ade156a5dcb37
	v_cvt_i32_f64_e32 v3, v[12:13]
	s_delay_alu instid0(VALU_DEP_3) | instskip(NEXT) | instid1(VALU_DEP_3)
	v_add_f64_e32 v[8:9], 0xbc82806c9c773320, v[8:9]
	v_fmamk_f64 v[14:15], v[12:13], 0xbc7abc9e3b39803f, v[14:15]
	s_delay_alu instid0(VALU_DEP_1) | instskip(NEXT) | instid1(VALU_DEP_3)
	v_fmaak_f64 v[16:17], s[24:25], v[14:15], 0x3e928af3fca7ab0c
	v_fma_f64 v[10:11], v[0:1], v[8:9], -v[10:11]
	s_delay_alu instid0(VALU_DEP_2) | instskip(NEXT) | instid1(VALU_DEP_1)
	v_fmaak_f64 v[16:17], v[14:15], v[16:17], 0x3ec71dee623fde64
	v_fmaak_f64 v[16:17], v[14:15], v[16:17], 0x3efa01997c89e6b0
	s_delay_alu instid0(VALU_DEP_1) | instskip(NEXT) | instid1(VALU_DEP_1)
	v_fmaak_f64 v[16:17], v[14:15], v[16:17], 0x3f2a01a014761f6e
	v_fmaak_f64 v[16:17], v[14:15], v[16:17], 0x3f56c16c1852b7b0
	s_delay_alu instid0(VALU_DEP_1) | instskip(SKIP_1) | instid1(VALU_DEP_2)
	v_fmaak_f64 v[16:17], v[14:15], v[16:17], 0x3f81111111122322
	v_add_f64_e32 v[10:11], 0x3cb55915fceb588a, v[10:11]
	v_fmaak_f64 v[16:17], v[14:15], v[16:17], 0x3fa55555555502a1
	s_delay_alu instid0(VALU_DEP_1) | instskip(NEXT) | instid1(VALU_DEP_1)
	v_fmaak_f64 v[16:17], v[14:15], v[16:17], 0x3fc5555555555511
	v_fmaak_f64 v[16:17], v[14:15], v[16:17], 0x3fe000000000000b
	s_delay_alu instid0(VALU_DEP_1) | instskip(SKIP_1) | instid1(VALU_DEP_1)
	v_fma_f64 v[16:17], v[14:15], v[16:17], 1.0
	v_fma_f64 v[8:9], v[0:1], v[10:11], -v[8:9]
	v_add_f64_e32 v[8:9], 0x3cb7d68e5f04a2d1, v[8:9]
	s_delay_alu instid0(VALU_DEP_1) | instskip(NEXT) | instid1(VALU_DEP_1)
	v_fma_f64 v[10:11], v[0:1], v[8:9], -v[10:11]
	v_add_f64_e32 v[10:11], 0xbce0efcd8bc4d22a, v[10:11]
	s_delay_alu instid0(VALU_DEP_1) | instskip(NEXT) | instid1(VALU_DEP_1)
	;; [unrolled: 3-line block ×18, first 2 shown]
	v_fma_f64 v[8:9], v[0:1], v[10:11], -v[8:9]
	v_add_f64_e32 v[8:9], 0xbf83fda053fcdb4c, v[8:9]
	s_delay_alu instid0(VALU_DEP_1) | instskip(SKIP_1) | instid1(VALU_DEP_2)
	v_fma_f64 v[0:1], v[0:1], v[8:9], -v[10:11]
	v_fma_f64 v[8:9], v[14:15], v[16:17], 1.0
	v_add_f64_e32 v[0:1], 0x3fe8ea18b55b1514, v[0:1]
	s_delay_alu instid0(VALU_DEP_2) | instskip(NEXT) | instid1(VALU_DEP_2)
	v_ldexp_f64 v[8:9], v[8:9], v3
	v_add_f64_e64 v[10:11], v[0:1], -v[10:11]
	s_delay_alu instid0(VALU_DEP_2) | instskip(NEXT) | instid1(VALU_DEP_3)
	v_cndmask_b32_e32 v9, 0x7ff00000, v9, vcc_lo
	v_cndmask_b32_e32 v8, 0, v8, vcc_lo
                                        ; implicit-def: $vgpr0_vgpr1
	s_and_saveexec_b32 s24, s0
	s_delay_alu instid0(SALU_CYCLE_1)
	s_xor_b32 s0, exec_lo, s24
	s_cbranch_execz .LBB9_318
; %bb.317:
	v_cmp_gt_f64_e64 s24, 0x10000000, |v[6:7]|
	s_delay_alu instid0(VALU_DEP_1) | instskip(SKIP_1) | instid1(VALU_DEP_2)
	v_cndmask_b32_e64 v0, 0, 0x100, s24
	v_cndmask_b32_e64 v3, 0, 0xffffff80, s24
	v_ldexp_f64 v[0:1], |v[6:7]|, v0
	s_delay_alu instid0(VALU_DEP_1) | instskip(SKIP_1) | instid1(TRANS32_DEP_1)
	v_rsq_f64_e32 v[6:7], v[0:1]
	v_cmp_class_f64_e64 vcc_lo, v[0:1], 0x260
	v_mul_f64_e32 v[12:13], v[0:1], v[6:7]
	v_mul_f64_e32 v[6:7], 0.5, v[6:7]
	s_delay_alu instid0(VALU_DEP_1) | instskip(NEXT) | instid1(VALU_DEP_1)
	v_fma_f64 v[14:15], -v[6:7], v[12:13], 0.5
	v_fmac_f64_e32 v[12:13], v[12:13], v[14:15]
	v_fmac_f64_e32 v[6:7], v[6:7], v[14:15]
	s_delay_alu instid0(VALU_DEP_2) | instskip(NEXT) | instid1(VALU_DEP_1)
	v_fma_f64 v[14:15], -v[12:13], v[12:13], v[0:1]
	v_fmac_f64_e32 v[12:13], v[14:15], v[6:7]
	s_delay_alu instid0(VALU_DEP_1) | instskip(NEXT) | instid1(VALU_DEP_1)
	v_fma_f64 v[14:15], -v[12:13], v[12:13], v[0:1]
	v_fmac_f64_e32 v[12:13], v[14:15], v[6:7]
	v_mul_f64_e32 v[6:7], 0.5, v[10:11]
	s_delay_alu instid0(VALU_DEP_2) | instskip(NEXT) | instid1(VALU_DEP_1)
	v_ldexp_f64 v[10:11], v[12:13], v3
	v_dual_mul_f64 v[6:7], v[8:9], v[6:7] :: v_dual_cndmask_b32 v1, v11, v1, vcc_lo
	s_delay_alu instid0(VALU_DEP_2) | instskip(NEXT) | instid1(VALU_DEP_1)
	v_cndmask_b32_e32 v0, v10, v0, vcc_lo
	v_div_scale_f64 v[8:9], null, v[0:1], v[0:1], v[6:7]
	s_delay_alu instid0(VALU_DEP_1) | instskip(SKIP_1) | instid1(TRANS32_DEP_1)
	v_rcp_f64_e32 v[10:11], v[8:9]
	v_nop
	v_fma_f64 v[12:13], -v[8:9], v[10:11], 1.0
	s_delay_alu instid0(VALU_DEP_1) | instskip(NEXT) | instid1(VALU_DEP_1)
	v_fmac_f64_e32 v[10:11], v[10:11], v[12:13]
	v_fma_f64 v[12:13], -v[8:9], v[10:11], 1.0
	s_delay_alu instid0(VALU_DEP_1) | instskip(SKIP_1) | instid1(VALU_DEP_1)
	v_fmac_f64_e32 v[10:11], v[10:11], v[12:13]
	v_div_scale_f64 v[12:13], vcc_lo, v[6:7], v[0:1], v[6:7]
	v_mul_f64_e32 v[14:15], v[12:13], v[10:11]
	s_delay_alu instid0(VALU_DEP_1) | instskip(NEXT) | instid1(VALU_DEP_1)
	v_fma_f64 v[8:9], -v[8:9], v[14:15], v[12:13]
	v_div_fmas_f64 v[8:9], v[8:9], v[10:11], v[14:15]
                                        ; implicit-def: $vgpr10_vgpr11
	s_delay_alu instid0(VALU_DEP_1)
	v_div_fixup_f64 v[0:1], v[8:9], v[0:1], v[6:7]
                                        ; implicit-def: $vgpr6_vgpr7
                                        ; implicit-def: $vgpr8_vgpr9
.LBB9_318:
	s_and_not1_saveexec_b32 s0, s0
	s_cbranch_execz .LBB9_320
; %bb.319:
	v_cmp_gt_f64_e64 s24, 0x10000000, |v[6:7]|
	s_delay_alu instid0(VALU_DEP_1) | instskip(SKIP_1) | instid1(VALU_DEP_2)
	v_cndmask_b32_e64 v0, 0, 0x100, s24
	v_cndmask_b32_e64 v3, 0, 0xffffff80, s24
	v_ldexp_f64 v[0:1], |v[6:7]|, v0
	s_delay_alu instid0(VALU_DEP_1) | instskip(SKIP_1) | instid1(TRANS32_DEP_1)
	v_rsq_f64_e32 v[6:7], v[0:1]
	v_cmp_class_f64_e64 vcc_lo, v[0:1], 0x260
	v_mul_f64_e32 v[12:13], v[0:1], v[6:7]
	v_mul_f64_e32 v[6:7], 0.5, v[6:7]
	s_delay_alu instid0(VALU_DEP_1) | instskip(NEXT) | instid1(VALU_DEP_1)
	v_fma_f64 v[14:15], -v[6:7], v[12:13], 0.5
	v_fmac_f64_e32 v[12:13], v[12:13], v[14:15]
	v_fmac_f64_e32 v[6:7], v[6:7], v[14:15]
	s_delay_alu instid0(VALU_DEP_2) | instskip(NEXT) | instid1(VALU_DEP_1)
	v_fma_f64 v[14:15], -v[12:13], v[12:13], v[0:1]
	v_fmac_f64_e32 v[12:13], v[14:15], v[6:7]
	s_delay_alu instid0(VALU_DEP_1) | instskip(NEXT) | instid1(VALU_DEP_1)
	v_fma_f64 v[14:15], -v[12:13], v[12:13], v[0:1]
	v_fmac_f64_e32 v[12:13], v[14:15], v[6:7]
	v_mul_f64_e32 v[6:7], -0.5, v[10:11]
	s_delay_alu instid0(VALU_DEP_2) | instskip(NEXT) | instid1(VALU_DEP_1)
	v_ldexp_f64 v[10:11], v[12:13], v3
	v_dual_mul_f64 v[6:7], v[8:9], v[6:7] :: v_dual_cndmask_b32 v1, v11, v1, vcc_lo
	s_delay_alu instid0(VALU_DEP_2) | instskip(NEXT) | instid1(VALU_DEP_1)
	v_cndmask_b32_e32 v0, v10, v0, vcc_lo
	v_div_scale_f64 v[8:9], null, v[0:1], v[0:1], v[6:7]
	s_delay_alu instid0(VALU_DEP_1) | instskip(SKIP_1) | instid1(TRANS32_DEP_1)
	v_rcp_f64_e32 v[10:11], v[8:9]
	v_nop
	v_fma_f64 v[12:13], -v[8:9], v[10:11], 1.0
	s_delay_alu instid0(VALU_DEP_1) | instskip(NEXT) | instid1(VALU_DEP_1)
	v_fmac_f64_e32 v[10:11], v[10:11], v[12:13]
	v_fma_f64 v[12:13], -v[8:9], v[10:11], 1.0
	s_delay_alu instid0(VALU_DEP_1) | instskip(SKIP_1) | instid1(VALU_DEP_1)
	v_fmac_f64_e32 v[10:11], v[10:11], v[12:13]
	v_div_scale_f64 v[12:13], vcc_lo, v[6:7], v[0:1], v[6:7]
	v_mul_f64_e32 v[14:15], v[12:13], v[10:11]
	s_delay_alu instid0(VALU_DEP_1) | instskip(NEXT) | instid1(VALU_DEP_1)
	v_fma_f64 v[8:9], -v[8:9], v[14:15], v[12:13]
	v_div_fmas_f64 v[8:9], v[8:9], v[10:11], v[14:15]
	s_delay_alu instid0(VALU_DEP_1)
	v_div_fixup_f64 v[0:1], v[8:9], v[0:1], v[6:7]
.LBB9_320:
	s_or_b32 exec_lo, exec_lo, s0
.LBB9_321:
	s_delay_alu instid0(SALU_CYCLE_1) | instskip(SKIP_2) | instid1(SALU_CYCLE_1)
	s_or_b32 exec_lo, exec_lo, s23
	v_mov_b32_e32 v3, 0
	s_and_b32 s23, s34, 0xff
	s_cmp_lt_i32 s23, 11
	s_delay_alu instid0(VALU_DEP_1)
	v_add_nc_u64_e32 v[6:7], s[4:5], v[2:3]
	s_cbranch_scc1 .LBB9_329
; %bb.322:
	s_and_b32 s24, 0xffff, s23
	s_delay_alu instid0(SALU_CYCLE_1)
	s_cmp_gt_i32 s24, 25
	s_cbranch_scc0 .LBB9_331
; %bb.323:
	s_cmp_gt_i32 s24, 28
	s_cbranch_scc0 .LBB9_333
; %bb.324:
	;; [unrolled: 3-line block ×4, first 2 shown]
	s_mov_b32 s26, 0
	s_mov_b32 s0, -1
	s_cmp_eq_u32 s24, 46
	s_mov_b32 s25, 0
	s_cbranch_scc0 .LBB9_346
; %bb.327:
	s_delay_alu instid0(VALU_DEP_3) | instskip(SKIP_2) | instid1(VALU_DEP_1)
	v_cvt_f32_f64_e32 v2, v[0:1]
	s_mov_b32 s25, -1
	s_mov_b32 s0, 0
	v_bfe_u32 v3, v2, 16, 1
	v_cmp_o_f32_e32 vcc_lo, v2, v2
	s_delay_alu instid0(VALU_DEP_2) | instskip(NEXT) | instid1(VALU_DEP_1)
	v_add3_u32 v3, v2, v3, 0x7fff
	v_lshrrev_b32_e32 v3, 16, v3
	s_delay_alu instid0(VALU_DEP_1)
	v_cndmask_b32_e32 v2, 0x7fc0, v3, vcc_lo
	global_store_b32 v[6:7], v2, off
	s_branch .LBB9_346
.LBB9_328:
	s_mov_b32 s24, -1
	s_mov_b32 s23, 0
	s_mov_b32 s22, s40
                                        ; implicit-def: $vgpr6_vgpr7
	s_branch .LBB9_483
.LBB9_329:
	s_mov_b32 s24, -1
	s_mov_b32 s25, 0
	s_mov_b32 s0, s39
	s_branch .LBB9_415
.LBB9_330:
	s_mov_b32 s24, -1
	s_mov_b32 s23, 0
	s_mov_b32 s22, s40
                                        ; implicit-def: $vgpr6_vgpr7
	s_branch .LBB9_464
.LBB9_331:
	s_mov_b32 s26, -1
	s_mov_b32 s25, 0
	s_mov_b32 s0, s39
	s_branch .LBB9_373
.LBB9_332:
	s_mov_b32 s24, -1
	s_mov_b32 s23, 0
	s_mov_b32 s22, s40
                                        ; implicit-def: $vgpr6_vgpr7
	s_branch .LBB9_459
.LBB9_333:
	s_mov_b32 s26, -1
	s_mov_b32 s25, 0
	s_mov_b32 s0, s39
	s_branch .LBB9_356
.LBB9_334:
	s_and_not1_saveexec_b32 s27, s27
	s_cbranch_execz .LBB9_81
.LBB9_335:
	v_add_f32_e64 v3, 0x46000000, |v2|
	s_and_not1_b32 s26, s26, exec_lo
	s_delay_alu instid0(VALU_DEP_1) | instskip(NEXT) | instid1(VALU_DEP_1)
	v_and_b32_e32 v3, 0xff, v3
	v_cmp_ne_u32_e32 vcc_lo, 0, v3
	s_and_b32 s39, vcc_lo, exec_lo
	s_delay_alu instid0(SALU_CYCLE_1)
	s_or_b32 s26, s26, s39
	s_or_b32 exec_lo, exec_lo, s27
	v_mov_b32_e32 v5, 0
	s_and_saveexec_b32 s27, s26
	s_cbranch_execnz .LBB9_82
	s_branch .LBB9_83
.LBB9_336:
	s_mov_b32 s24, -1
	s_mov_b32 s23, 0
	s_mov_b32 s22, s40
	s_branch .LBB9_341
.LBB9_337:
	s_mov_b32 s26, -1
	s_mov_b32 s25, 0
	s_mov_b32 s0, s39
	s_branch .LBB9_352
.LBB9_338:
	s_and_not1_saveexec_b32 s27, s27
	s_cbranch_execz .LBB9_94
.LBB9_339:
	v_add_f32_e64 v3, 0x42800000, |v2|
	s_and_not1_b32 s26, s26, exec_lo
	s_delay_alu instid0(VALU_DEP_1) | instskip(NEXT) | instid1(VALU_DEP_1)
	v_and_b32_e32 v3, 0xff, v3
	v_cmp_ne_u32_e32 vcc_lo, 0, v3
	s_and_b32 s39, vcc_lo, exec_lo
	s_delay_alu instid0(SALU_CYCLE_1)
	s_or_b32 s26, s26, s39
	s_or_b32 exec_lo, exec_lo, s27
	v_mov_b32_e32 v5, 0
	s_and_saveexec_b32 s27, s26
	s_cbranch_execnz .LBB9_95
	s_branch .LBB9_96
.LBB9_340:
	s_mov_b32 s22, -1
	s_mov_b32 s23, 0
.LBB9_341:
                                        ; implicit-def: $vgpr6_vgpr7
.LBB9_342:
	s_and_b32 vcc_lo, exec_lo, s24
	s_cbranch_vccz .LBB9_458
; %bb.343:
	s_cmp_eq_u32 s0, 44
	s_cbranch_scc0 .LBB9_457
; %bb.344:
	global_load_u8 v3, v[0:1], off
	s_mov_b32 s22, 0
	s_mov_b32 s23, -1
	s_wait_loadcnt 0x0
	v_lshlrev_b32_e32 v5, 23, v3
	v_cmp_ne_u32_e32 vcc_lo, 0xff, v3
	s_delay_alu instid0(VALU_DEP_2) | instskip(NEXT) | instid1(VALU_DEP_1)
	v_cvt_f64_f32_e32 v[6:7], v5
	v_cndmask_b32_e32 v5, 0x20000000, v6, vcc_lo
	s_delay_alu instid0(VALU_DEP_2) | instskip(SKIP_1) | instid1(VALU_DEP_2)
	v_cndmask_b32_e32 v6, 0x7ff80000, v7, vcc_lo
	v_cmp_ne_u32_e32 vcc_lo, 0, v3
	v_cndmask_b32_e32 v7, 0x38000000, v6, vcc_lo
	s_delay_alu instid0(VALU_DEP_4)
	v_cndmask_b32_e32 v6, 0, v5, vcc_lo
	s_branch .LBB9_458
.LBB9_345:
	s_mov_b32 s26, -1
	s_mov_b32 s25, 0
	s_mov_b32 s0, s39
.LBB9_346:
	s_and_b32 vcc_lo, exec_lo, s26
	s_cbranch_vccz .LBB9_351
; %bb.347:
	s_cmp_eq_u32 s24, 44
	s_mov_b32 s0, -1
	s_cbranch_scc0 .LBB9_351
; %bb.348:
	s_wait_xcnt 0x0
	s_delay_alu instid0(VALU_DEP_3) | instskip(SKIP_2) | instid1(VALU_DEP_2)
	v_cvt_f32_f64_e32 v2, v[0:1]
	v_mov_b32_e32 v3, 0xff
	s_mov_b32 s25, exec_lo
	v_bfe_u32 v5, v2, 23, 8
	s_delay_alu instid0(VALU_DEP_1)
	v_cmpx_ne_u32_e32 0xff, v5
	s_cbranch_execz .LBB9_350
; %bb.349:
	v_and_b32_e32 v3, 0x400000, v2
	v_and_or_b32 v5, 0x3fffff, v2, v5
	v_lshrrev_b32_e32 v2, 23, v2
	s_delay_alu instid0(VALU_DEP_3) | instskip(NEXT) | instid1(VALU_DEP_3)
	v_cmp_ne_u32_e32 vcc_lo, 0, v3
	v_cmp_ne_u32_e64 s0, 0, v5
	s_and_b32 s0, vcc_lo, s0
	s_delay_alu instid0(SALU_CYCLE_1) | instskip(NEXT) | instid1(VALU_DEP_1)
	v_cndmask_b32_e64 v3, 0, 1, s0
	v_add_nc_u32_e32 v3, v2, v3
.LBB9_350:
	s_or_b32 exec_lo, exec_lo, s25
	s_mov_b32 s25, -1
	s_mov_b32 s0, 0
	global_store_b8 v[6:7], v3, off
.LBB9_351:
	s_mov_b32 s26, 0
.LBB9_352:
	s_delay_alu instid0(SALU_CYCLE_1)
	s_and_b32 vcc_lo, exec_lo, s26
	s_cbranch_vccz .LBB9_355
; %bb.353:
	s_cmp_eq_u32 s24, 29
	s_mov_b32 s0, -1
	s_cbranch_scc0 .LBB9_355
; %bb.354:
	s_wait_xcnt 0x0
	s_delay_alu instid0(VALU_DEP_3) | instskip(SKIP_3) | instid1(VALU_DEP_1)
	v_trunc_f64_e32 v[2:3], v[0:1]
	s_mov_b32 s25, -1
	s_mov_b32 s0, 0
	s_mov_b32 s26, 0
	v_ldexp_f64 v[8:9], v[2:3], 0xffffffe0
	s_delay_alu instid0(VALU_DEP_1) | instskip(NEXT) | instid1(VALU_DEP_1)
	v_floor_f64_e32 v[8:9], v[8:9]
	v_fmamk_f64 v[2:3], v[8:9], 0xc1f00000, v[2:3]
	v_cvt_u32_f64_e32 v9, v[8:9]
	s_delay_alu instid0(VALU_DEP_2)
	v_cvt_u32_f64_e32 v8, v[2:3]
	global_store_b64 v[6:7], v[8:9], off
	s_branch .LBB9_356
.LBB9_355:
	s_mov_b32 s26, 0
.LBB9_356:
	s_delay_alu instid0(SALU_CYCLE_1)
	s_and_b32 vcc_lo, exec_lo, s26
	s_cbranch_vccz .LBB9_372
; %bb.357:
	s_cmp_lt_i32 s24, 27
	s_mov_b32 s25, -1
	s_cbranch_scc1 .LBB9_363
; %bb.358:
	s_wait_xcnt 0x0
	s_delay_alu instid0(VALU_DEP_3)
	v_cvt_u32_f64_e32 v2, v[0:1]
	s_cmp_gt_i32 s24, 27
	s_cbranch_scc0 .LBB9_360
; %bb.359:
	s_mov_b32 s25, 0
	global_store_b32 v[6:7], v2, off
.LBB9_360:
	s_and_not1_b32 vcc_lo, exec_lo, s25
	s_cbranch_vccnz .LBB9_362
; %bb.361:
	global_store_b16 v[6:7], v2, off
.LBB9_362:
	s_mov_b32 s25, 0
.LBB9_363:
	s_delay_alu instid0(SALU_CYCLE_1)
	s_and_not1_b32 vcc_lo, exec_lo, s25
	s_cbranch_vccnz .LBB9_371
; %bb.364:
	s_wait_xcnt 0x0
	s_delay_alu instid0(VALU_DEP_3) | instskip(SKIP_2) | instid1(VALU_DEP_2)
	v_cvt_f32_f64_e32 v2, v[0:1]
	v_mov_b32_e32 v5, 0x80
	s_mov_b32 s25, exec_lo
	v_and_b32_e32 v3, 0x7fffffff, v2
	s_delay_alu instid0(VALU_DEP_1)
	v_cmpx_gt_u32_e32 0x43800000, v3
	s_cbranch_execz .LBB9_370
; %bb.365:
	v_cmp_lt_u32_e32 vcc_lo, 0x3bffffff, v3
	s_mov_b32 s26, 0
                                        ; implicit-def: $vgpr3
	s_and_saveexec_b32 s27, vcc_lo
	s_delay_alu instid0(SALU_CYCLE_1)
	s_xor_b32 s27, exec_lo, s27
	s_cbranch_execz .LBB9_600
; %bb.366:
	v_bfe_u32 v3, v2, 20, 1
	s_mov_b32 s26, exec_lo
	s_delay_alu instid0(VALU_DEP_1) | instskip(NEXT) | instid1(VALU_DEP_1)
	v_add3_u32 v3, v2, v3, 0x487ffff
	v_lshrrev_b32_e32 v3, 20, v3
	s_and_not1_saveexec_b32 s27, s27
	s_cbranch_execnz .LBB9_601
.LBB9_367:
	s_or_b32 exec_lo, exec_lo, s27
	v_mov_b32_e32 v5, 0
	s_and_saveexec_b32 s27, s26
.LBB9_368:
	v_lshrrev_b32_e32 v2, 24, v2
	s_delay_alu instid0(VALU_DEP_1)
	v_and_or_b32 v5, 0x80, v2, v3
.LBB9_369:
	s_or_b32 exec_lo, exec_lo, s27
.LBB9_370:
	s_delay_alu instid0(SALU_CYCLE_1)
	s_or_b32 exec_lo, exec_lo, s25
	global_store_b8 v[6:7], v5, off
.LBB9_371:
	s_mov_b32 s25, -1
.LBB9_372:
	s_mov_b32 s26, 0
.LBB9_373:
	s_delay_alu instid0(SALU_CYCLE_1)
	s_and_b32 vcc_lo, exec_lo, s26
	s_cbranch_vccz .LBB9_414
; %bb.374:
	s_cmp_gt_i32 s24, 22
	s_mov_b32 s26, -1
	s_cbranch_scc0 .LBB9_406
; %bb.375:
	s_cmp_lt_i32 s24, 24
	s_mov_b32 s25, -1
	s_cbranch_scc1 .LBB9_395
; %bb.376:
	s_cmp_gt_i32 s24, 24
	s_cbranch_scc0 .LBB9_384
; %bb.377:
	s_wait_xcnt 0x0
	s_delay_alu instid0(VALU_DEP_3) | instskip(SKIP_2) | instid1(VALU_DEP_2)
	v_cvt_f32_f64_e32 v2, v[0:1]
	v_mov_b32_e32 v5, 0x80
	s_mov_b32 s25, exec_lo
	v_and_b32_e32 v3, 0x7fffffff, v2
	s_delay_alu instid0(VALU_DEP_1)
	v_cmpx_gt_u32_e32 0x47800000, v3
	s_cbranch_execz .LBB9_383
; %bb.378:
	v_cmp_lt_u32_e32 vcc_lo, 0x37ffffff, v3
	s_mov_b32 s26, 0
                                        ; implicit-def: $vgpr3
	s_and_saveexec_b32 s27, vcc_lo
	s_delay_alu instid0(SALU_CYCLE_1)
	s_xor_b32 s27, exec_lo, s27
	s_cbranch_execz .LBB9_603
; %bb.379:
	v_bfe_u32 v3, v2, 21, 1
	s_mov_b32 s26, exec_lo
	s_delay_alu instid0(VALU_DEP_1) | instskip(NEXT) | instid1(VALU_DEP_1)
	v_add3_u32 v3, v2, v3, 0x88fffff
	v_lshrrev_b32_e32 v3, 21, v3
	s_and_not1_saveexec_b32 s27, s27
	s_cbranch_execnz .LBB9_604
.LBB9_380:
	s_or_b32 exec_lo, exec_lo, s27
	v_mov_b32_e32 v5, 0
	s_and_saveexec_b32 s27, s26
.LBB9_381:
	v_lshrrev_b32_e32 v2, 24, v2
	s_delay_alu instid0(VALU_DEP_1)
	v_and_or_b32 v5, 0x80, v2, v3
.LBB9_382:
	s_or_b32 exec_lo, exec_lo, s27
.LBB9_383:
	s_delay_alu instid0(SALU_CYCLE_1)
	s_or_b32 exec_lo, exec_lo, s25
	s_mov_b32 s25, 0
	global_store_b8 v[6:7], v5, off
.LBB9_384:
	s_and_b32 vcc_lo, exec_lo, s25
	s_cbranch_vccz .LBB9_394
; %bb.385:
	s_wait_xcnt 0x0
	s_delay_alu instid0(VALU_DEP_3) | instskip(SKIP_1) | instid1(VALU_DEP_1)
	v_cvt_f32_f64_e32 v2, v[0:1]
	s_mov_b32 s25, exec_lo
                                        ; implicit-def: $vgpr3
	v_and_b32_e32 v5, 0x7fffffff, v2
	s_delay_alu instid0(VALU_DEP_1)
	v_cmpx_gt_u32_e32 0x43f00000, v5
	s_xor_b32 s25, exec_lo, s25
	s_cbranch_execz .LBB9_391
; %bb.386:
	s_mov_b32 s26, exec_lo
                                        ; implicit-def: $vgpr3
	v_cmpx_lt_u32_e32 0x3c7fffff, v5
	s_xor_b32 s26, exec_lo, s26
; %bb.387:
	v_bfe_u32 v3, v2, 20, 1
	s_delay_alu instid0(VALU_DEP_1) | instskip(NEXT) | instid1(VALU_DEP_1)
	v_add3_u32 v3, v2, v3, 0x407ffff
	v_and_b32_e32 v5, 0xff00000, v3
	v_lshrrev_b32_e32 v3, 20, v3
	s_delay_alu instid0(VALU_DEP_2) | instskip(NEXT) | instid1(VALU_DEP_2)
	v_cmp_ne_u32_e32 vcc_lo, 0x7f00000, v5
	v_cndmask_b32_e32 v3, 0x7e, v3, vcc_lo
; %bb.388:
	s_and_not1_saveexec_b32 s26, s26
; %bb.389:
	v_add_f32_e64 v3, 0x46800000, |v2|
; %bb.390:
	s_or_b32 exec_lo, exec_lo, s26
                                        ; implicit-def: $vgpr5
.LBB9_391:
	s_and_not1_saveexec_b32 s25, s25
; %bb.392:
	v_mov_b32_e32 v3, 0x7f
	v_cmp_lt_u32_e32 vcc_lo, 0x7f800000, v5
	s_delay_alu instid0(VALU_DEP_2)
	v_cndmask_b32_e32 v3, 0x7e, v3, vcc_lo
; %bb.393:
	s_or_b32 exec_lo, exec_lo, s25
	v_lshrrev_b32_e32 v2, 24, v2
	s_delay_alu instid0(VALU_DEP_1)
	v_and_or_b32 v2, 0x80, v2, v3
	global_store_b8 v[6:7], v2, off
.LBB9_394:
	s_mov_b32 s25, 0
.LBB9_395:
	s_delay_alu instid0(SALU_CYCLE_1)
	s_and_not1_b32 vcc_lo, exec_lo, s25
	s_cbranch_vccnz .LBB9_405
; %bb.396:
	s_wait_xcnt 0x0
	s_delay_alu instid0(VALU_DEP_3) | instskip(SKIP_1) | instid1(VALU_DEP_1)
	v_cvt_f32_f64_e32 v2, v[0:1]
	s_mov_b32 s25, exec_lo
                                        ; implicit-def: $vgpr3
	v_and_b32_e32 v5, 0x7fffffff, v2
	s_delay_alu instid0(VALU_DEP_1)
	v_cmpx_gt_u32_e32 0x47800000, v5
	s_xor_b32 s25, exec_lo, s25
	s_cbranch_execz .LBB9_402
; %bb.397:
	s_mov_b32 s26, exec_lo
                                        ; implicit-def: $vgpr3
	v_cmpx_lt_u32_e32 0x387fffff, v5
	s_xor_b32 s26, exec_lo, s26
; %bb.398:
	v_bfe_u32 v3, v2, 21, 1
	s_delay_alu instid0(VALU_DEP_1) | instskip(NEXT) | instid1(VALU_DEP_1)
	v_add3_u32 v3, v2, v3, 0x80fffff
	v_lshrrev_b32_e32 v3, 21, v3
; %bb.399:
	s_and_not1_saveexec_b32 s26, s26
; %bb.400:
	v_add_f32_e64 v3, 0x43000000, |v2|
; %bb.401:
	s_or_b32 exec_lo, exec_lo, s26
                                        ; implicit-def: $vgpr5
.LBB9_402:
	s_and_not1_saveexec_b32 s25, s25
; %bb.403:
	v_mov_b32_e32 v3, 0x7f
	v_cmp_lt_u32_e32 vcc_lo, 0x7f800000, v5
	s_delay_alu instid0(VALU_DEP_2)
	v_cndmask_b32_e32 v3, 0x7c, v3, vcc_lo
; %bb.404:
	s_or_b32 exec_lo, exec_lo, s25
	v_lshrrev_b32_e32 v2, 24, v2
	s_delay_alu instid0(VALU_DEP_1)
	v_and_or_b32 v2, 0x80, v2, v3
	global_store_b8 v[6:7], v2, off
.LBB9_405:
	s_mov_b32 s26, 0
	s_mov_b32 s25, -1
.LBB9_406:
	s_and_not1_b32 vcc_lo, exec_lo, s26
	s_cbranch_vccnz .LBB9_414
; %bb.407:
	s_cmp_gt_i32 s24, 14
	s_mov_b32 s26, -1
	s_cbranch_scc0 .LBB9_411
; %bb.408:
	s_cmp_eq_u32 s24, 15
	s_mov_b32 s0, -1
	s_cbranch_scc0 .LBB9_410
; %bb.409:
	s_wait_xcnt 0x0
	s_delay_alu instid0(VALU_DEP_3) | instskip(SKIP_2) | instid1(VALU_DEP_1)
	v_cvt_f32_f64_e32 v2, v[0:1]
	s_mov_b32 s25, -1
	s_mov_b32 s0, 0
	v_bfe_u32 v3, v2, 16, 1
	v_cmp_o_f32_e32 vcc_lo, v2, v2
	s_delay_alu instid0(VALU_DEP_2) | instskip(NEXT) | instid1(VALU_DEP_1)
	v_add3_u32 v3, v2, v3, 0x7fff
	v_lshrrev_b32_e32 v3, 16, v3
	s_delay_alu instid0(VALU_DEP_1)
	v_cndmask_b32_e32 v2, 0x7fc0, v3, vcc_lo
	global_store_b16 v[6:7], v2, off
.LBB9_410:
	s_mov_b32 s26, 0
.LBB9_411:
	s_delay_alu instid0(SALU_CYCLE_1)
	s_and_b32 vcc_lo, exec_lo, s26
	s_cbranch_vccz .LBB9_414
; %bb.412:
	s_cmp_eq_u32 s24, 11
	s_mov_b32 s0, -1
	s_cbranch_scc0 .LBB9_414
; %bb.413:
	s_delay_alu instid0(VALU_DEP_3)
	v_cmp_neq_f64_e32 vcc_lo, 0, v[0:1]
	s_mov_b32 s25, -1
	s_mov_b32 s0, 0
	s_wait_xcnt 0x0
	v_cndmask_b32_e64 v2, 0, 1, vcc_lo
	global_store_b8 v[6:7], v2, off
.LBB9_414:
	s_mov_b32 s24, 0
.LBB9_415:
	s_delay_alu instid0(SALU_CYCLE_1)
	s_and_b32 vcc_lo, exec_lo, s24
	s_cbranch_vccz .LBB9_454
; %bb.416:
	s_and_b32 s23, 0xffff, s23
	s_mov_b32 s24, -1
	s_cmp_lt_i32 s23, 5
	s_cbranch_scc1 .LBB9_437
; %bb.417:
	s_cmp_lt_i32 s23, 8
	s_cbranch_scc1 .LBB9_427
; %bb.418:
	s_cmp_lt_i32 s23, 9
	s_cbranch_scc1 .LBB9_424
; %bb.419:
	s_cmp_gt_i32 s23, 9
	s_cbranch_scc0 .LBB9_421
; %bb.420:
	s_wait_xcnt 0x0
	v_mov_b32_e32 v2, 0
	s_mov_b32 s24, 0
	s_delay_alu instid0(VALU_DEP_1)
	v_mov_b32_e32 v3, v2
	global_store_b128 v[6:7], v[0:3], off
.LBB9_421:
	s_and_not1_b32 vcc_lo, exec_lo, s24
	s_cbranch_vccnz .LBB9_423
; %bb.422:
	s_wait_xcnt 0x0
	s_delay_alu instid0(VALU_DEP_3)
	v_cvt_f32_f64_e32 v2, v[0:1]
	v_mov_b32_e32 v3, 0
	global_store_b64 v[6:7], v[2:3], off
.LBB9_423:
	s_mov_b32 s24, 0
.LBB9_424:
	s_delay_alu instid0(SALU_CYCLE_1)
	s_and_not1_b32 vcc_lo, exec_lo, s24
	s_cbranch_vccnz .LBB9_426
; %bb.425:
	s_wait_xcnt 0x0
	s_delay_alu instid0(VALU_DEP_3) | instskip(SKIP_2) | instid1(VALU_DEP_3)
	v_and_or_b32 v2, 0x1ff, v1, v0
	v_lshrrev_b32_e32 v3, 8, v1
	v_bfe_u32 v5, v1, 20, 11
	v_cmp_ne_u32_e32 vcc_lo, 0, v2
	s_delay_alu instid0(VALU_DEP_2) | instskip(SKIP_2) | instid1(VALU_DEP_1)
	v_sub_nc_u32_e32 v8, 0x3f1, v5
	v_add_nc_u32_e32 v5, 0xfffffc10, v5
	v_cndmask_b32_e64 v2, 0, 1, vcc_lo
	v_and_or_b32 v2, 0xffe, v3, v2
	s_delay_alu instid0(VALU_DEP_4) | instskip(NEXT) | instid1(VALU_DEP_2)
	v_med3_i32 v3, v8, 0, 13
	v_or_b32_e32 v8, 0x1000, v2
	s_delay_alu instid0(VALU_DEP_1) | instskip(NEXT) | instid1(VALU_DEP_1)
	v_lshrrev_b32_e32 v9, v3, v8
	v_lshlrev_b32_e32 v3, v3, v9
	s_delay_alu instid0(VALU_DEP_1) | instskip(SKIP_3) | instid1(VALU_DEP_2)
	v_cmp_ne_u32_e32 vcc_lo, v3, v8
	v_lshl_or_b32 v8, v5, 12, v2
	v_cndmask_b32_e64 v3, 0, 1, vcc_lo
	v_cmp_gt_i32_e32 vcc_lo, 1, v5
	v_or_b32_e32 v3, v9, v3
	s_delay_alu instid0(VALU_DEP_1) | instskip(NEXT) | instid1(VALU_DEP_1)
	v_cndmask_b32_e32 v3, v8, v3, vcc_lo
	v_dual_lshrrev_b32 v3, 2, v3 :: v_dual_bitop2_b32 v8, 7, v3 bitop3:0x40
	s_delay_alu instid0(VALU_DEP_1) | instskip(SKIP_4) | instid1(VALU_DEP_2)
	v_cmp_lt_i32_e32 vcc_lo, 5, v8
	v_cndmask_b32_e64 v9, 0, 1, vcc_lo
	v_cmp_eq_u32_e32 vcc_lo, 3, v8
	v_cndmask_b32_e64 v8, 0, 1, vcc_lo
	v_cmp_ne_u32_e32 vcc_lo, 0, v2
	v_or_b32_e32 v8, v8, v9
	v_mov_b32_e32 v9, 0x7e00
	s_delay_alu instid0(VALU_DEP_1) | instskip(SKIP_1) | instid1(VALU_DEP_2)
	v_dual_cndmask_b32 v2, 0x7c00, v9 :: v_dual_add_nc_u32 v3, v3, v8
	v_cmp_gt_i32_e32 vcc_lo, 31, v5
	v_dual_cndmask_b32 v3, 0x7c00, v3 :: v_dual_lshrrev_b32 v8, 16, v1
	v_cmp_eq_u32_e32 vcc_lo, 0x40f, v5
	s_delay_alu instid0(VALU_DEP_2) | instskip(NEXT) | instid1(VALU_DEP_3)
	v_cndmask_b32_e32 v2, v3, v2, vcc_lo
	v_and_b32_e32 v3, 0x8000, v8
	s_delay_alu instid0(VALU_DEP_1)
	v_bitop3_b32 v2, v3, 0xffff, v2 bitop3:0xc8
	global_store_b32 v[6:7], v2, off
.LBB9_426:
	s_mov_b32 s24, 0
.LBB9_427:
	s_delay_alu instid0(SALU_CYCLE_1)
	s_and_not1_b32 vcc_lo, exec_lo, s24
	s_cbranch_vccnz .LBB9_436
; %bb.428:
	s_cmp_lt_i32 s23, 6
	s_mov_b32 s24, -1
	s_cbranch_scc1 .LBB9_434
; %bb.429:
	s_cmp_gt_i32 s23, 6
	s_cbranch_scc0 .LBB9_431
; %bb.430:
	s_mov_b32 s24, 0
	global_store_b64 v[6:7], v[0:1], off
.LBB9_431:
	s_and_not1_b32 vcc_lo, exec_lo, s24
	s_cbranch_vccnz .LBB9_433
; %bb.432:
	s_wait_xcnt 0x0
	s_delay_alu instid0(VALU_DEP_3)
	v_cvt_f32_f64_e32 v2, v[0:1]
	global_store_b32 v[6:7], v2, off
.LBB9_433:
	s_mov_b32 s24, 0
.LBB9_434:
	s_delay_alu instid0(SALU_CYCLE_1)
	s_and_not1_b32 vcc_lo, exec_lo, s24
	s_cbranch_vccnz .LBB9_436
; %bb.435:
	s_wait_xcnt 0x0
	s_delay_alu instid0(VALU_DEP_3) | instskip(SKIP_2) | instid1(VALU_DEP_3)
	v_and_or_b32 v2, 0x1ff, v1, v0
	v_lshrrev_b32_e32 v3, 8, v1
	v_bfe_u32 v5, v1, 20, 11
	v_cmp_ne_u32_e32 vcc_lo, 0, v2
	s_delay_alu instid0(VALU_DEP_2) | instskip(SKIP_2) | instid1(VALU_DEP_1)
	v_sub_nc_u32_e32 v8, 0x3f1, v5
	v_add_nc_u32_e32 v5, 0xfffffc10, v5
	v_cndmask_b32_e64 v2, 0, 1, vcc_lo
	v_and_or_b32 v2, 0xffe, v3, v2
	s_delay_alu instid0(VALU_DEP_4) | instskip(NEXT) | instid1(VALU_DEP_2)
	v_med3_i32 v3, v8, 0, 13
	v_or_b32_e32 v8, 0x1000, v2
	s_delay_alu instid0(VALU_DEP_1) | instskip(NEXT) | instid1(VALU_DEP_1)
	v_lshrrev_b32_e32 v9, v3, v8
	v_lshlrev_b32_e32 v3, v3, v9
	s_delay_alu instid0(VALU_DEP_1) | instskip(SKIP_3) | instid1(VALU_DEP_2)
	v_cmp_ne_u32_e32 vcc_lo, v3, v8
	v_lshl_or_b32 v8, v5, 12, v2
	v_cndmask_b32_e64 v3, 0, 1, vcc_lo
	v_cmp_gt_i32_e32 vcc_lo, 1, v5
	v_or_b32_e32 v3, v9, v3
	s_delay_alu instid0(VALU_DEP_1) | instskip(NEXT) | instid1(VALU_DEP_1)
	v_cndmask_b32_e32 v3, v8, v3, vcc_lo
	v_dual_lshrrev_b32 v3, 2, v3 :: v_dual_bitop2_b32 v8, 7, v3 bitop3:0x40
	s_delay_alu instid0(VALU_DEP_1) | instskip(SKIP_4) | instid1(VALU_DEP_2)
	v_cmp_lt_i32_e32 vcc_lo, 5, v8
	v_cndmask_b32_e64 v9, 0, 1, vcc_lo
	v_cmp_eq_u32_e32 vcc_lo, 3, v8
	v_cndmask_b32_e64 v8, 0, 1, vcc_lo
	v_cmp_ne_u32_e32 vcc_lo, 0, v2
	v_or_b32_e32 v8, v8, v9
	v_mov_b32_e32 v9, 0x7e00
	s_delay_alu instid0(VALU_DEP_1) | instskip(SKIP_1) | instid1(VALU_DEP_2)
	v_dual_cndmask_b32 v2, 0x7c00, v9 :: v_dual_add_nc_u32 v3, v3, v8
	v_cmp_gt_i32_e32 vcc_lo, 31, v5
	v_cndmask_b32_e32 v3, 0x7c00, v3, vcc_lo
	v_cmp_eq_u32_e32 vcc_lo, 0x40f, v5
	s_delay_alu instid0(VALU_DEP_2) | instskip(NEXT) | instid1(VALU_DEP_1)
	v_dual_cndmask_b32 v2, v3, v2 :: v_dual_lshrrev_b32 v3, 16, v1
	v_and_or_b32 v2, 0x8000, v3, v2
	global_store_b16 v[6:7], v2, off
.LBB9_436:
	s_mov_b32 s24, 0
.LBB9_437:
	s_delay_alu instid0(SALU_CYCLE_1)
	s_and_not1_b32 vcc_lo, exec_lo, s24
	s_cbranch_vccnz .LBB9_453
; %bb.438:
	s_cmp_lt_i32 s23, 2
	s_mov_b32 s24, -1
	s_cbranch_scc1 .LBB9_448
; %bb.439:
	s_cmp_lt_i32 s23, 3
	s_cbranch_scc1 .LBB9_445
; %bb.440:
	s_cmp_gt_i32 s23, 3
	s_cbranch_scc0 .LBB9_442
; %bb.441:
	s_wait_xcnt 0x0
	s_delay_alu instid0(VALU_DEP_3) | instskip(SKIP_1) | instid1(VALU_DEP_1)
	v_trunc_f64_e32 v[2:3], v[0:1]
	s_mov_b32 s24, 0
	v_ldexp_f64 v[8:9], v[2:3], 0xffffffe0
	s_delay_alu instid0(VALU_DEP_1) | instskip(NEXT) | instid1(VALU_DEP_1)
	v_floor_f64_e32 v[8:9], v[8:9]
	v_fmamk_f64 v[2:3], v[8:9], 0xc1f00000, v[2:3]
	v_cvt_i32_f64_e32 v9, v[8:9]
	s_delay_alu instid0(VALU_DEP_2)
	v_cvt_u32_f64_e32 v8, v[2:3]
	global_store_b64 v[6:7], v[8:9], off
.LBB9_442:
	s_and_not1_b32 vcc_lo, exec_lo, s24
	s_cbranch_vccnz .LBB9_444
; %bb.443:
	s_wait_xcnt 0x0
	s_delay_alu instid0(VALU_DEP_3)
	v_cvt_i32_f64_e32 v2, v[0:1]
	global_store_b32 v[6:7], v2, off
.LBB9_444:
	s_mov_b32 s24, 0
.LBB9_445:
	s_delay_alu instid0(SALU_CYCLE_1)
	s_and_not1_b32 vcc_lo, exec_lo, s24
	s_cbranch_vccnz .LBB9_447
; %bb.446:
	s_wait_xcnt 0x0
	s_delay_alu instid0(VALU_DEP_3)
	v_cvt_i32_f64_e32 v2, v[0:1]
	global_store_b16 v[6:7], v2, off
.LBB9_447:
	s_mov_b32 s24, 0
.LBB9_448:
	s_delay_alu instid0(SALU_CYCLE_1)
	s_and_not1_b32 vcc_lo, exec_lo, s24
	s_cbranch_vccnz .LBB9_453
; %bb.449:
	s_cmp_gt_i32 s23, 0
	s_mov_b32 s23, -1
	s_cbranch_scc0 .LBB9_451
; %bb.450:
	s_wait_xcnt 0x0
	s_delay_alu instid0(VALU_DEP_3)
	v_cvt_i32_f64_e32 v2, v[0:1]
	s_mov_b32 s23, 0
	global_store_b8 v[6:7], v2, off
.LBB9_451:
	s_and_not1_b32 vcc_lo, exec_lo, s23
	s_cbranch_vccnz .LBB9_453
; %bb.452:
	s_wait_xcnt 0x0
	s_delay_alu instid0(VALU_DEP_3) | instskip(NEXT) | instid1(VALU_DEP_1)
	v_trunc_f64_e32 v[0:1], v[0:1]
	v_ldexp_f64 v[2:3], v[0:1], 0xffffffe0
	s_delay_alu instid0(VALU_DEP_1) | instskip(NEXT) | instid1(VALU_DEP_1)
	v_floor_f64_e32 v[2:3], v[2:3]
	v_fmamk_f64 v[0:1], v[2:3], 0xc1f00000, v[0:1]
	s_delay_alu instid0(VALU_DEP_1)
	v_cvt_u32_f64_e32 v0, v[0:1]
	global_store_b8 v[6:7], v0, off
.LBB9_453:
	s_mov_b32 s25, -1
.LBB9_454:
	s_delay_alu instid0(SALU_CYCLE_1)
	s_and_not1_b32 vcc_lo, exec_lo, s25
	s_cbranch_vccnz .LBB9_456
; %bb.455:
	v_add_nc_u32_e32 v4, 0x80, v4
	s_mov_b32 s23, -1
	s_branch .LBB9_569
.LBB9_456:
	s_mov_b32 s23, 0
	s_branch .LBB9_568
.LBB9_457:
	s_mov_b32 s22, -1
                                        ; implicit-def: $vgpr6_vgpr7
.LBB9_458:
	s_mov_b32 s24, 0
.LBB9_459:
	s_delay_alu instid0(SALU_CYCLE_1)
	s_and_b32 vcc_lo, exec_lo, s24
	s_cbranch_vccz .LBB9_463
; %bb.460:
	s_cmp_eq_u32 s0, 29
	s_cbranch_scc0 .LBB9_462
; %bb.461:
	s_wait_loadcnt 0x0
	global_load_b64 v[6:7], v[0:1], off
	s_mov_b32 s23, -1
	s_mov_b32 s22, 0
	s_mov_b32 s24, 0
	s_wait_loadcnt 0x0
	v_cvt_f64_u32_e32 v[8:9], v7
	v_cvt_f64_u32_e32 v[6:7], v6
	s_delay_alu instid0(VALU_DEP_2) | instskip(NEXT) | instid1(VALU_DEP_1)
	v_ldexp_f64 v[8:9], v[8:9], 32
	v_add_f64_e32 v[6:7], v[8:9], v[6:7]
	s_branch .LBB9_464
.LBB9_462:
	s_mov_b32 s22, -1
                                        ; implicit-def: $vgpr6_vgpr7
.LBB9_463:
	s_mov_b32 s24, 0
.LBB9_464:
	s_delay_alu instid0(SALU_CYCLE_1)
	s_and_b32 vcc_lo, exec_lo, s24
	s_cbranch_vccz .LBB9_482
; %bb.465:
	s_cmp_lt_i32 s0, 27
	s_cbranch_scc1 .LBB9_468
; %bb.466:
	s_cmp_gt_i32 s0, 27
	s_cbranch_scc0 .LBB9_469
; %bb.467:
	global_load_b32 v3, v[0:1], off
	s_mov_b32 s23, 0
	s_wait_loadcnt 0x0
	v_cvt_f64_u32_e32 v[6:7], v3
	s_branch .LBB9_470
.LBB9_468:
	s_mov_b32 s23, -1
                                        ; implicit-def: $vgpr6_vgpr7
	s_branch .LBB9_473
.LBB9_469:
	s_mov_b32 s23, -1
                                        ; implicit-def: $vgpr6_vgpr7
.LBB9_470:
	s_delay_alu instid0(SALU_CYCLE_1)
	s_and_not1_b32 vcc_lo, exec_lo, s23
	s_cbranch_vccnz .LBB9_472
; %bb.471:
	global_load_u16 v3, v[0:1], off
	s_wait_loadcnt 0x0
	v_cvt_f64_u32_e32 v[6:7], v3
.LBB9_472:
	s_mov_b32 s23, 0
.LBB9_473:
	s_delay_alu instid0(SALU_CYCLE_1)
	s_and_not1_b32 vcc_lo, exec_lo, s23
	s_cbranch_vccnz .LBB9_481
; %bb.474:
	global_load_u8 v3, v[0:1], off
	s_mov_b32 s23, 0
	s_mov_b32 s24, exec_lo
	s_wait_loadcnt 0x0
	v_cmpx_lt_i16_e32 0x7f, v3
	s_xor_b32 s24, exec_lo, s24
	s_cbranch_execz .LBB9_495
; %bb.475:
	s_mov_b32 s23, -1
	s_mov_b32 s25, exec_lo
	v_cmpx_eq_u16_e32 0x80, v3
; %bb.476:
	s_xor_b32 s23, exec_lo, -1
; %bb.477:
	s_or_b32 exec_lo, exec_lo, s25
	s_delay_alu instid0(SALU_CYCLE_1)
	s_and_b32 s23, s23, exec_lo
	s_or_saveexec_b32 s24, s24
	v_mov_b64_e32 v[6:7], 0x7ff8000020000000
	s_xor_b32 exec_lo, exec_lo, s24
	s_cbranch_execnz .LBB9_496
.LBB9_478:
	s_or_b32 exec_lo, exec_lo, s24
	s_and_saveexec_b32 s24, s23
	s_cbranch_execz .LBB9_480
.LBB9_479:
	v_and_b32_e32 v5, 0xffff, v3
	s_delay_alu instid0(VALU_DEP_1) | instskip(SKIP_1) | instid1(VALU_DEP_2)
	v_and_b32_e32 v6, 7, v5
	v_bfe_u32 v9, v5, 3, 4
	v_clz_i32_u32_e32 v7, v6
	s_delay_alu instid0(VALU_DEP_2) | instskip(NEXT) | instid1(VALU_DEP_2)
	v_cmp_eq_u32_e32 vcc_lo, 0, v9
	v_min_u32_e32 v7, 32, v7
	s_delay_alu instid0(VALU_DEP_1) | instskip(NEXT) | instid1(VALU_DEP_1)
	v_subrev_nc_u32_e32 v8, 28, v7
	v_dual_lshlrev_b32 v5, v8, v5 :: v_dual_sub_nc_u32 v7, 29, v7
	s_delay_alu instid0(VALU_DEP_1) | instskip(NEXT) | instid1(VALU_DEP_1)
	v_dual_lshlrev_b32 v3, 24, v3 :: v_dual_bitop2_b32 v5, 7, v5 bitop3:0x40
	v_dual_cndmask_b32 v5, v6, v5, vcc_lo :: v_dual_cndmask_b32 v7, v9, v7, vcc_lo
	s_delay_alu instid0(VALU_DEP_2) | instskip(NEXT) | instid1(VALU_DEP_2)
	v_and_b32_e32 v3, 0x80000000, v3
	v_lshlrev_b32_e32 v5, 20, v5
	s_delay_alu instid0(VALU_DEP_3) | instskip(NEXT) | instid1(VALU_DEP_1)
	v_lshl_add_u32 v6, v7, 23, 0x3b800000
	v_or3_b32 v3, v3, v6, v5
	s_delay_alu instid0(VALU_DEP_1)
	v_cvt_f64_f32_e32 v[6:7], v3
.LBB9_480:
	s_or_b32 exec_lo, exec_lo, s24
.LBB9_481:
	s_mov_b32 s23, -1
.LBB9_482:
	s_mov_b32 s24, 0
.LBB9_483:
	s_delay_alu instid0(SALU_CYCLE_1)
	s_and_b32 vcc_lo, exec_lo, s24
	s_cbranch_vccz .LBB9_518
; %bb.484:
	s_cmp_gt_i32 s0, 22
	s_cbranch_scc0 .LBB9_494
; %bb.485:
	s_cmp_lt_i32 s0, 24
	s_cbranch_scc1 .LBB9_497
; %bb.486:
	s_cmp_gt_i32 s0, 24
	s_cbranch_scc0 .LBB9_498
; %bb.487:
	global_load_u8 v3, v[0:1], off
	s_mov_b32 s23, 0
	s_mov_b32 s24, exec_lo
	s_wait_loadcnt 0x0
	v_cmpx_lt_i16_e32 0x7f, v3
	s_xor_b32 s24, exec_lo, s24
	s_cbranch_execz .LBB9_510
; %bb.488:
	s_mov_b32 s23, -1
	s_mov_b32 s25, exec_lo
	v_cmpx_eq_u16_e32 0x80, v3
; %bb.489:
	s_xor_b32 s23, exec_lo, -1
; %bb.490:
	s_or_b32 exec_lo, exec_lo, s25
	s_delay_alu instid0(SALU_CYCLE_1)
	s_and_b32 s23, s23, exec_lo
	s_or_saveexec_b32 s24, s24
	v_mov_b64_e32 v[6:7], 0x7ff8000020000000
	s_xor_b32 exec_lo, exec_lo, s24
	s_cbranch_execnz .LBB9_511
.LBB9_491:
	s_or_b32 exec_lo, exec_lo, s24
	s_and_saveexec_b32 s24, s23
	s_cbranch_execz .LBB9_493
.LBB9_492:
	v_and_b32_e32 v5, 0xffff, v3
	s_delay_alu instid0(VALU_DEP_1) | instskip(SKIP_1) | instid1(VALU_DEP_2)
	v_and_b32_e32 v6, 3, v5
	v_bfe_u32 v9, v5, 2, 5
	v_clz_i32_u32_e32 v7, v6
	s_delay_alu instid0(VALU_DEP_2) | instskip(NEXT) | instid1(VALU_DEP_2)
	v_cmp_eq_u32_e32 vcc_lo, 0, v9
	v_min_u32_e32 v7, 32, v7
	s_delay_alu instid0(VALU_DEP_1) | instskip(NEXT) | instid1(VALU_DEP_1)
	v_subrev_nc_u32_e32 v8, 29, v7
	v_dual_lshlrev_b32 v5, v8, v5 :: v_dual_sub_nc_u32 v7, 30, v7
	s_delay_alu instid0(VALU_DEP_1) | instskip(NEXT) | instid1(VALU_DEP_1)
	v_dual_lshlrev_b32 v3, 24, v3 :: v_dual_bitop2_b32 v5, 3, v5 bitop3:0x40
	v_dual_cndmask_b32 v5, v6, v5, vcc_lo :: v_dual_cndmask_b32 v7, v9, v7, vcc_lo
	s_delay_alu instid0(VALU_DEP_2) | instskip(NEXT) | instid1(VALU_DEP_2)
	v_and_b32_e32 v3, 0x80000000, v3
	v_lshlrev_b32_e32 v5, 21, v5
	s_delay_alu instid0(VALU_DEP_3) | instskip(NEXT) | instid1(VALU_DEP_1)
	v_lshl_add_u32 v6, v7, 23, 0x37800000
	v_or3_b32 v3, v3, v6, v5
	s_delay_alu instid0(VALU_DEP_1)
	v_cvt_f64_f32_e32 v[6:7], v3
.LBB9_493:
	s_or_b32 exec_lo, exec_lo, s24
	s_mov_b32 s23, 0
	s_branch .LBB9_499
.LBB9_494:
	s_mov_b32 s24, -1
                                        ; implicit-def: $vgpr6_vgpr7
	s_branch .LBB9_505
.LBB9_495:
	s_or_saveexec_b32 s24, s24
	v_mov_b64_e32 v[6:7], 0x7ff8000020000000
	s_xor_b32 exec_lo, exec_lo, s24
	s_cbranch_execz .LBB9_478
.LBB9_496:
	v_cmp_ne_u16_e32 vcc_lo, 0, v3
	v_mov_b64_e32 v[6:7], 0
	s_and_not1_b32 s23, s23, exec_lo
	s_and_b32 s25, vcc_lo, exec_lo
	s_delay_alu instid0(SALU_CYCLE_1)
	s_or_b32 s23, s23, s25
	s_or_b32 exec_lo, exec_lo, s24
	s_and_saveexec_b32 s24, s23
	s_cbranch_execnz .LBB9_479
	s_branch .LBB9_480
.LBB9_497:
	s_mov_b32 s23, -1
                                        ; implicit-def: $vgpr6_vgpr7
	s_branch .LBB9_502
.LBB9_498:
	s_mov_b32 s23, -1
                                        ; implicit-def: $vgpr6_vgpr7
.LBB9_499:
	s_delay_alu instid0(SALU_CYCLE_1)
	s_and_b32 vcc_lo, exec_lo, s23
	s_cbranch_vccz .LBB9_501
; %bb.500:
	global_load_u8 v3, v[0:1], off
	s_wait_loadcnt 0x0
	v_lshlrev_b32_e32 v3, 24, v3
	s_delay_alu instid0(VALU_DEP_1) | instskip(NEXT) | instid1(VALU_DEP_1)
	v_and_b32_e32 v5, 0x7f000000, v3
	v_clz_i32_u32_e32 v6, v5
	v_cmp_ne_u32_e32 vcc_lo, 0, v5
	v_add_nc_u32_e32 v8, 0x1000000, v5
	s_delay_alu instid0(VALU_DEP_3) | instskip(NEXT) | instid1(VALU_DEP_1)
	v_min_u32_e32 v6, 32, v6
	v_sub_nc_u32_e64 v6, v6, 4 clamp
	s_delay_alu instid0(VALU_DEP_1) | instskip(NEXT) | instid1(VALU_DEP_1)
	v_dual_lshlrev_b32 v7, v6, v5 :: v_dual_lshlrev_b32 v6, 23, v6
	v_lshrrev_b32_e32 v7, 4, v7
	s_delay_alu instid0(VALU_DEP_1) | instskip(NEXT) | instid1(VALU_DEP_1)
	v_dual_sub_nc_u32 v6, v7, v6 :: v_dual_ashrrev_i32 v7, 8, v8
	v_add_nc_u32_e32 v6, 0x3c000000, v6
	s_delay_alu instid0(VALU_DEP_1) | instskip(NEXT) | instid1(VALU_DEP_1)
	v_and_or_b32 v6, 0x7f800000, v7, v6
	v_cndmask_b32_e32 v5, 0, v6, vcc_lo
	s_delay_alu instid0(VALU_DEP_1) | instskip(NEXT) | instid1(VALU_DEP_1)
	v_and_or_b32 v3, 0x80000000, v3, v5
	v_cvt_f64_f32_e32 v[6:7], v3
.LBB9_501:
	s_mov_b32 s23, 0
.LBB9_502:
	s_delay_alu instid0(SALU_CYCLE_1)
	s_and_not1_b32 vcc_lo, exec_lo, s23
	s_cbranch_vccnz .LBB9_504
; %bb.503:
	global_load_u8 v3, v[0:1], off
	s_wait_loadcnt 0x0
	v_lshlrev_b32_e32 v5, 25, v3
	v_lshlrev_b16 v3, 8, v3
	s_delay_alu instid0(VALU_DEP_1) | instskip(NEXT) | instid1(VALU_DEP_3)
	v_and_or_b32 v7, 0x7f00, v3, 0.5
	v_lshrrev_b32_e32 v6, 4, v5
	v_bfe_i32 v3, v3, 0, 16
	s_delay_alu instid0(VALU_DEP_3) | instskip(NEXT) | instid1(VALU_DEP_3)
	v_add_f32_e32 v7, -0.5, v7
	v_or_b32_e32 v6, 0x70000000, v6
	s_delay_alu instid0(VALU_DEP_1) | instskip(SKIP_1) | instid1(VALU_DEP_2)
	v_mul_f32_e32 v6, 0x7800000, v6
	v_cmp_gt_u32_e32 vcc_lo, 0x8000000, v5
	v_cndmask_b32_e32 v5, v6, v7, vcc_lo
	s_delay_alu instid0(VALU_DEP_1) | instskip(NEXT) | instid1(VALU_DEP_1)
	v_and_or_b32 v3, 0x80000000, v3, v5
	v_cvt_f64_f32_e32 v[6:7], v3
.LBB9_504:
	s_mov_b32 s24, 0
	s_mov_b32 s23, -1
.LBB9_505:
	s_and_not1_b32 vcc_lo, exec_lo, s24
	s_cbranch_vccnz .LBB9_518
; %bb.506:
	s_cmp_gt_i32 s0, 14
	s_cbranch_scc0 .LBB9_509
; %bb.507:
	s_cmp_eq_u32 s0, 15
	s_cbranch_scc0 .LBB9_512
; %bb.508:
	global_load_u16 v3, v[0:1], off
	s_mov_b32 s23, -1
	s_mov_b32 s22, 0
	s_wait_loadcnt 0x0
	v_lshlrev_b32_e32 v3, 16, v3
	s_delay_alu instid0(VALU_DEP_1)
	v_cvt_f64_f32_e32 v[6:7], v3
	s_branch .LBB9_513
.LBB9_509:
	s_mov_b32 s24, -1
                                        ; implicit-def: $vgpr6_vgpr7
	s_branch .LBB9_514
.LBB9_510:
	s_or_saveexec_b32 s24, s24
	v_mov_b64_e32 v[6:7], 0x7ff8000020000000
	s_xor_b32 exec_lo, exec_lo, s24
	s_cbranch_execz .LBB9_491
.LBB9_511:
	v_cmp_ne_u16_e32 vcc_lo, 0, v3
	v_mov_b64_e32 v[6:7], 0
	s_and_not1_b32 s23, s23, exec_lo
	s_and_b32 s25, vcc_lo, exec_lo
	s_delay_alu instid0(SALU_CYCLE_1)
	s_or_b32 s23, s23, s25
	s_or_b32 exec_lo, exec_lo, s24
	s_and_saveexec_b32 s24, s23
	s_cbranch_execnz .LBB9_492
	s_branch .LBB9_493
.LBB9_512:
	s_mov_b32 s22, -1
                                        ; implicit-def: $vgpr6_vgpr7
.LBB9_513:
	s_mov_b32 s24, 0
.LBB9_514:
	s_delay_alu instid0(SALU_CYCLE_1)
	s_and_b32 vcc_lo, exec_lo, s24
	s_cbranch_vccz .LBB9_518
; %bb.515:
	s_cmp_eq_u32 s0, 11
	s_cbranch_scc0 .LBB9_517
; %bb.516:
	global_load_u8 v3, v[0:1], off
	s_wait_loadcnt 0x1
	v_mov_b32_e32 v6, 0
	s_mov_b32 s22, 0
	s_mov_b32 s23, -1
	s_wait_loadcnt 0x0
	v_cmp_ne_u16_e32 vcc_lo, 0, v3
	v_cndmask_b32_e64 v7, 0, 0x3ff00000, vcc_lo
	s_branch .LBB9_518
.LBB9_517:
	s_mov_b32 s22, -1
                                        ; implicit-def: $vgpr6_vgpr7
.LBB9_518:
	s_branch .LBB9_308
.LBB9_519:
	s_cmp_lt_i32 s0, 5
	s_cbranch_scc1 .LBB9_524
; %bb.520:
	s_cmp_lt_i32 s0, 8
	s_cbranch_scc1 .LBB9_525
; %bb.521:
	;; [unrolled: 3-line block ×3, first 2 shown]
	s_cmp_gt_i32 s0, 9
	s_cbranch_scc0 .LBB9_527
; %bb.523:
	s_wait_loadcnt 0x0
	global_load_b64 v[6:7], v[0:1], off
	s_mov_b32 s23, 0
	s_branch .LBB9_528
.LBB9_524:
	s_mov_b32 s23, -1
                                        ; implicit-def: $vgpr6_vgpr7
	s_branch .LBB9_546
.LBB9_525:
	s_mov_b32 s23, -1
                                        ; implicit-def: $vgpr6_vgpr7
	s_branch .LBB9_534
.LBB9_526:
	s_mov_b32 s23, -1
                                        ; implicit-def: $vgpr6_vgpr7
	s_branch .LBB9_531
.LBB9_527:
	s_mov_b32 s23, -1
                                        ; implicit-def: $vgpr6_vgpr7
.LBB9_528:
	s_delay_alu instid0(SALU_CYCLE_1)
	s_and_not1_b32 vcc_lo, exec_lo, s23
	s_cbranch_vccnz .LBB9_530
; %bb.529:
	global_load_b32 v3, v[0:1], off
	s_wait_loadcnt 0x0
	v_cvt_f64_f32_e32 v[6:7], v3
.LBB9_530:
	s_mov_b32 s23, 0
.LBB9_531:
	s_delay_alu instid0(SALU_CYCLE_1)
	s_and_not1_b32 vcc_lo, exec_lo, s23
	s_cbranch_vccnz .LBB9_533
; %bb.532:
	global_load_b32 v3, v[0:1], off
	s_wait_loadcnt 0x0
	v_cvt_f32_f16_e32 v3, v3
	s_delay_alu instid0(VALU_DEP_1)
	v_cvt_f64_f32_e32 v[6:7], v3
.LBB9_533:
	s_mov_b32 s23, 0
.LBB9_534:
	s_delay_alu instid0(SALU_CYCLE_1)
	s_and_not1_b32 vcc_lo, exec_lo, s23
	s_cbranch_vccnz .LBB9_545
; %bb.535:
	s_cmp_lt_i32 s0, 6
	s_cbranch_scc1 .LBB9_538
; %bb.536:
	s_cmp_gt_i32 s0, 6
	s_cbranch_scc0 .LBB9_539
; %bb.537:
	s_wait_loadcnt 0x0
	global_load_b64 v[6:7], v[0:1], off
	s_mov_b32 s23, 0
	s_branch .LBB9_540
.LBB9_538:
	s_mov_b32 s23, -1
                                        ; implicit-def: $vgpr6_vgpr7
	s_branch .LBB9_543
.LBB9_539:
	s_mov_b32 s23, -1
                                        ; implicit-def: $vgpr6_vgpr7
.LBB9_540:
	s_delay_alu instid0(SALU_CYCLE_1)
	s_and_not1_b32 vcc_lo, exec_lo, s23
	s_cbranch_vccnz .LBB9_542
; %bb.541:
	global_load_b32 v3, v[0:1], off
	s_wait_loadcnt 0x0
	v_cvt_f64_f32_e32 v[6:7], v3
.LBB9_542:
	s_mov_b32 s23, 0
.LBB9_543:
	s_delay_alu instid0(SALU_CYCLE_1)
	s_and_not1_b32 vcc_lo, exec_lo, s23
	s_cbranch_vccnz .LBB9_545
; %bb.544:
	global_load_u16 v3, v[0:1], off
	s_wait_loadcnt 0x0
	v_cvt_f32_f16_e32 v3, v3
	s_delay_alu instid0(VALU_DEP_1)
	v_cvt_f64_f32_e32 v[6:7], v3
.LBB9_545:
	s_mov_b32 s23, 0
.LBB9_546:
	s_delay_alu instid0(SALU_CYCLE_1)
	s_and_not1_b32 vcc_lo, exec_lo, s23
	s_cbranch_vccnz .LBB9_566
; %bb.547:
	s_cmp_lt_i32 s0, 2
	s_cbranch_scc1 .LBB9_551
; %bb.548:
	s_cmp_lt_i32 s0, 3
	s_cbranch_scc1 .LBB9_552
; %bb.549:
	s_cmp_gt_i32 s0, 3
	s_cbranch_scc0 .LBB9_553
; %bb.550:
	s_wait_loadcnt 0x0
	global_load_b64 v[6:7], v[0:1], off
	s_mov_b32 s23, 0
	s_wait_loadcnt 0x0
	v_cvt_f64_i32_e32 v[8:9], v7
	v_cvt_f64_u32_e32 v[6:7], v6
	s_delay_alu instid0(VALU_DEP_2) | instskip(NEXT) | instid1(VALU_DEP_1)
	v_ldexp_f64 v[8:9], v[8:9], 32
	v_add_f64_e32 v[6:7], v[8:9], v[6:7]
	s_branch .LBB9_554
.LBB9_551:
	s_mov_b32 s23, -1
                                        ; implicit-def: $vgpr6_vgpr7
	s_branch .LBB9_560
.LBB9_552:
	s_mov_b32 s23, -1
                                        ; implicit-def: $vgpr6_vgpr7
	s_branch .LBB9_557
.LBB9_553:
	s_mov_b32 s23, -1
                                        ; implicit-def: $vgpr6_vgpr7
.LBB9_554:
	s_delay_alu instid0(SALU_CYCLE_1)
	s_and_not1_b32 vcc_lo, exec_lo, s23
	s_cbranch_vccnz .LBB9_556
; %bb.555:
	global_load_b32 v3, v[0:1], off
	s_wait_loadcnt 0x0
	v_cvt_f64_i32_e32 v[6:7], v3
.LBB9_556:
	s_mov_b32 s23, 0
.LBB9_557:
	s_delay_alu instid0(SALU_CYCLE_1)
	s_and_not1_b32 vcc_lo, exec_lo, s23
	s_cbranch_vccnz .LBB9_559
; %bb.558:
	global_load_i16 v3, v[0:1], off
	s_wait_loadcnt 0x0
	v_cvt_f64_i32_e32 v[6:7], v3
.LBB9_559:
	s_mov_b32 s23, 0
.LBB9_560:
	s_delay_alu instid0(SALU_CYCLE_1)
	s_and_not1_b32 vcc_lo, exec_lo, s23
	s_cbranch_vccnz .LBB9_566
; %bb.561:
	s_cmp_gt_i32 s0, 0
	s_mov_b32 s0, 0
	s_cbranch_scc0 .LBB9_563
; %bb.562:
	global_load_i8 v3, v[0:1], off
	s_wait_loadcnt 0x0
	v_cvt_f64_i32_e32 v[6:7], v3
	s_branch .LBB9_564
.LBB9_563:
	s_mov_b32 s0, -1
                                        ; implicit-def: $vgpr6_vgpr7
.LBB9_564:
	s_delay_alu instid0(SALU_CYCLE_1)
	s_and_not1_b32 vcc_lo, exec_lo, s0
	s_cbranch_vccnz .LBB9_566
; %bb.565:
	global_load_u8 v0, v[0:1], off
	s_wait_loadcnt 0x0
	v_cvt_f64_u32_e32 v[6:7], v0
.LBB9_566:
	s_branch .LBB9_309
.LBB9_567:
	s_mov_b32 s23, 0
	s_mov_b32 s0, s39
.LBB9_568:
                                        ; implicit-def: $vgpr4
.LBB9_569:
	s_and_not1_b32 s24, s39, exec_lo
	s_and_b32 s0, s0, exec_lo
	s_and_not1_b32 s25, s40, exec_lo
	s_and_b32 s22, s22, exec_lo
	s_or_b32 s43, s24, s0
	s_or_b32 s42, s25, s22
	s_or_not1_b32 s0, s23, exec_lo
.LBB9_570:
	s_wait_xcnt 0x0
	s_or_b32 exec_lo, exec_lo, s44
	s_mov_b32 s23, 0
	s_mov_b32 s22, 0
	;; [unrolled: 1-line block ×3, first 2 shown]
                                        ; implicit-def: $vgpr0_vgpr1
                                        ; implicit-def: $vgpr2
                                        ; implicit-def: $vgpr6_vgpr7
	s_and_saveexec_b32 s44, s0
	s_cbranch_execz .LBB9_963
; %bb.571:
	s_mov_b32 s25, -1
	s_mov_b32 s0, s42
	s_mov_b32 s26, s43
	s_mov_b32 s45, exec_lo
	v_cmpx_gt_i32_e64 s36, v4
	s_cbranch_execz .LBB9_860
; %bb.572:
	s_and_not1_b32 vcc_lo, exec_lo, s31
	s_cbranch_vccnz .LBB9_578
; %bb.573:
	s_and_not1_b32 vcc_lo, exec_lo, s38
	s_cbranch_vccnz .LBB9_579
; %bb.574:
	s_add_co_i32 s0, s37, 1
	s_cmp_eq_u32 s29, 2
	s_cbranch_scc1 .LBB9_580
; %bb.575:
	v_dual_mov_b32 v2, 0 :: v_dual_mov_b32 v0, 0
	v_mov_b32_e32 v1, v4
	s_and_b32 s22, s0, 28
	s_mov_b64 s[24:25], s[2:3]
	s_mov_b64 s[26:27], s[20:21]
.LBB9_576:                              ; =>This Inner Loop Header: Depth=1
	s_clause 0x1
	s_load_b256 s[48:55], s[24:25], 0x4
	s_load_b128 s[64:67], s[24:25], 0x24
	s_load_b256 s[56:63], s[26:27], 0x0
	s_add_co_i32 s23, s23, 4
	s_wait_xcnt 0x0
	s_add_nc_u64 s[24:25], s[24:25], 48
	s_cmp_eq_u32 s22, s23
	s_add_nc_u64 s[26:27], s[26:27], 32
	s_wait_kmcnt 0x0
	v_mul_hi_u32 v3, s49, v1
	s_delay_alu instid0(VALU_DEP_1) | instskip(NEXT) | instid1(VALU_DEP_1)
	v_add_nc_u32_e32 v3, v1, v3
	v_lshrrev_b32_e32 v3, s50, v3
	s_delay_alu instid0(VALU_DEP_1) | instskip(NEXT) | instid1(VALU_DEP_1)
	v_mul_hi_u32 v5, s52, v3
	v_add_nc_u32_e32 v5, v3, v5
	s_delay_alu instid0(VALU_DEP_1) | instskip(SKIP_1) | instid1(VALU_DEP_1)
	v_lshrrev_b32_e32 v5, s53, v5
	s_wait_loadcnt 0x0
	v_mul_hi_u32 v6, s55, v5
	s_delay_alu instid0(VALU_DEP_1) | instskip(SKIP_1) | instid1(VALU_DEP_1)
	v_add_nc_u32_e32 v6, v5, v6
	v_mul_lo_u32 v7, v3, s48
	v_sub_nc_u32_e32 v1, v1, v7
	v_mul_lo_u32 v7, v5, s51
	s_delay_alu instid0(VALU_DEP_4) | instskip(NEXT) | instid1(VALU_DEP_3)
	v_lshrrev_b32_e32 v6, s64, v6
	v_mad_u32 v0, v1, s57, v0
	v_mad_u32 v1, v1, s56, v2
	s_delay_alu instid0(VALU_DEP_4) | instskip(NEXT) | instid1(VALU_DEP_4)
	v_sub_nc_u32_e32 v2, v3, v7
	v_mul_hi_u32 v8, s66, v6
	v_mul_lo_u32 v3, v6, s54
	s_delay_alu instid0(VALU_DEP_3) | instskip(SKIP_1) | instid1(VALU_DEP_3)
	v_mad_u32 v0, v2, s59, v0
	v_mad_u32 v2, v2, s58, v1
	v_dual_add_nc_u32 v7, v6, v8 :: v_dual_sub_nc_u32 v3, v5, v3
	s_delay_alu instid0(VALU_DEP_1) | instskip(NEXT) | instid1(VALU_DEP_2)
	v_lshrrev_b32_e32 v1, s67, v7
	v_mad_u32 v0, v3, s61, v0
	s_delay_alu instid0(VALU_DEP_4) | instskip(NEXT) | instid1(VALU_DEP_3)
	v_mad_u32 v2, v3, s60, v2
	v_mul_lo_u32 v5, v1, s65
	s_delay_alu instid0(VALU_DEP_1) | instskip(NEXT) | instid1(VALU_DEP_1)
	v_sub_nc_u32_e32 v3, v6, v5
	v_mad_u32 v0, v3, s63, v0
	s_delay_alu instid0(VALU_DEP_4)
	v_mad_u32 v2, v3, s62, v2
	s_cbranch_scc0 .LBB9_576
; %bb.577:
	s_delay_alu instid0(VALU_DEP_2)
	v_mov_b32_e32 v3, v0
	s_branch .LBB9_581
.LBB9_578:
	s_mov_b32 s0, -1
                                        ; implicit-def: $vgpr0
                                        ; implicit-def: $vgpr2
	s_branch .LBB9_586
.LBB9_579:
	v_dual_mov_b32 v0, 0 :: v_dual_mov_b32 v2, 0
	s_branch .LBB9_585
.LBB9_580:
	v_mov_b64_e32 v[2:3], 0
	v_mov_b32_e32 v1, v4
                                        ; implicit-def: $vgpr0
.LBB9_581:
	s_and_b32 s0, s0, 3
	s_mov_b32 s23, 0
	s_cmp_eq_u32 s0, 0
	s_cbranch_scc1 .LBB9_585
; %bb.582:
	s_lshl_b32 s24, s22, 3
	s_mov_b32 s25, s23
	s_mul_u64 s[26:27], s[22:23], 12
	s_add_nc_u64 s[24:25], s[2:3], s[24:25]
	s_delay_alu instid0(SALU_CYCLE_1)
	s_add_nc_u64 s[22:23], s[24:25], 0xc4
	s_add_nc_u64 s[24:25], s[2:3], s[26:27]
.LBB9_583:                              ; =>This Inner Loop Header: Depth=1
	s_load_b96 s[48:50], s[24:25], 0x4
	s_load_b64 s[26:27], s[22:23], 0x0
	s_add_co_i32 s0, s0, -1
	s_wait_xcnt 0x0
	s_add_nc_u64 s[24:25], s[24:25], 12
	s_cmp_lg_u32 s0, 0
	s_add_nc_u64 s[22:23], s[22:23], 8
	s_wait_kmcnt 0x0
	v_mul_hi_u32 v0, s49, v1
	s_delay_alu instid0(VALU_DEP_1) | instskip(NEXT) | instid1(VALU_DEP_1)
	v_add_nc_u32_e32 v0, v1, v0
	v_lshrrev_b32_e32 v0, s50, v0
	s_delay_alu instid0(VALU_DEP_1) | instskip(NEXT) | instid1(VALU_DEP_1)
	v_mul_lo_u32 v5, v0, s48
	v_sub_nc_u32_e32 v1, v1, v5
	s_delay_alu instid0(VALU_DEP_1)
	v_mad_u32 v3, v1, s27, v3
	v_mad_u32 v2, v1, s26, v2
	v_mov_b32_e32 v1, v0
	s_cbranch_scc1 .LBB9_583
; %bb.584:
	s_delay_alu instid0(VALU_DEP_3)
	v_mov_b32_e32 v0, v3
.LBB9_585:
	s_mov_b32 s0, 0
.LBB9_586:
	s_delay_alu instid0(SALU_CYCLE_1)
	s_and_not1_b32 vcc_lo, exec_lo, s0
	s_cbranch_vccnz .LBB9_589
; %bb.587:
	v_mov_b32_e32 v5, 0
	s_and_not1_b32 vcc_lo, exec_lo, s35
	s_delay_alu instid0(VALU_DEP_1) | instskip(NEXT) | instid1(VALU_DEP_1)
	v_mul_u64_e32 v[0:1], s[16:17], v[4:5]
	v_add_nc_u32_e32 v0, v4, v1
	s_wait_loadcnt 0x0
	s_delay_alu instid0(VALU_DEP_1) | instskip(NEXT) | instid1(VALU_DEP_1)
	v_lshrrev_b32_e32 v6, s14, v0
	v_mul_lo_u32 v0, v6, s12
	s_delay_alu instid0(VALU_DEP_1) | instskip(NEXT) | instid1(VALU_DEP_1)
	v_sub_nc_u32_e32 v1, v4, v0
	v_mul_lo_u32 v0, v1, s9
	v_mul_lo_u32 v2, v1, s8
	s_cbranch_vccnz .LBB9_589
; %bb.588:
	v_mov_b32_e32 v7, v5
	s_delay_alu instid0(VALU_DEP_1) | instskip(NEXT) | instid1(VALU_DEP_1)
	v_mul_u64_e32 v[8:9], s[18:19], v[6:7]
	v_add_nc_u32_e32 v1, v6, v9
	s_delay_alu instid0(VALU_DEP_1) | instskip(NEXT) | instid1(VALU_DEP_1)
	v_lshrrev_b32_e32 v1, s1, v1
	v_mul_lo_u32 v1, v1, s15
	s_delay_alu instid0(VALU_DEP_1) | instskip(NEXT) | instid1(VALU_DEP_1)
	v_sub_nc_u32_e32 v1, v6, v1
	v_mad_u32 v2, v1, s10, v2
	v_mad_u32 v0, v1, s11, v0
.LBB9_589:
	v_mov_b32_e32 v1, 0
	s_and_b32 s0, 0xffff, s13
	s_delay_alu instid0(SALU_CYCLE_1) | instskip(NEXT) | instid1(VALU_DEP_1)
	s_cmp_lt_i32 s0, 11
	v_add_nc_u64_e32 v[0:1], s[6:7], v[0:1]
	s_cbranch_scc1 .LBB9_596
; %bb.590:
	s_cmp_gt_i32 s0, 25
	s_cbranch_scc0 .LBB9_597
; %bb.591:
	s_cmp_gt_i32 s0, 28
	s_cbranch_scc0 .LBB9_598
	;; [unrolled: 3-line block ×4, first 2 shown]
; %bb.594:
	s_cmp_eq_u32 s0, 46
	s_mov_b32 s24, 0
	s_cbranch_scc0 .LBB9_605
; %bb.595:
	global_load_b32 v3, v[0:1], off
	s_mov_b32 s23, -1
	s_mov_b32 s22, 0
	s_wait_loadcnt 0x0
	v_lshlrev_b32_e32 v3, 16, v3
	s_delay_alu instid0(VALU_DEP_1)
	v_cvt_f64_f32_e32 v[6:7], v3
	s_branch .LBB9_607
.LBB9_596:
	s_mov_b32 s24, -1
	s_mov_b32 s23, 0
	s_mov_b32 s22, s42
                                        ; implicit-def: $vgpr6_vgpr7
	s_branch .LBB9_672
.LBB9_597:
	s_mov_b32 s24, -1
	s_mov_b32 s23, 0
	s_mov_b32 s22, s42
                                        ; implicit-def: $vgpr6_vgpr7
	s_branch .LBB9_636
.LBB9_598:
	s_mov_b32 s24, -1
	s_mov_b32 s23, 0
	s_mov_b32 s22, s42
                                        ; implicit-def: $vgpr6_vgpr7
	s_branch .LBB9_617
.LBB9_599:
	s_mov_b32 s24, -1
	s_mov_b32 s23, 0
	s_mov_b32 s22, s42
                                        ; implicit-def: $vgpr6_vgpr7
	s_branch .LBB9_612
.LBB9_600:
	s_and_not1_saveexec_b32 s27, s27
	s_cbranch_execz .LBB9_367
.LBB9_601:
	v_add_f32_e64 v3, 0x46000000, |v2|
	s_and_not1_b32 s26, s26, exec_lo
	s_delay_alu instid0(VALU_DEP_1) | instskip(NEXT) | instid1(VALU_DEP_1)
	v_and_b32_e32 v3, 0xff, v3
	v_cmp_ne_u32_e32 vcc_lo, 0, v3
	s_and_b32 s42, vcc_lo, exec_lo
	s_delay_alu instid0(SALU_CYCLE_1)
	s_or_b32 s26, s26, s42
	s_or_b32 exec_lo, exec_lo, s27
	v_mov_b32_e32 v5, 0
	s_and_saveexec_b32 s27, s26
	s_cbranch_execnz .LBB9_368
	s_branch .LBB9_369
.LBB9_602:
	s_mov_b32 s24, -1
	s_mov_b32 s23, 0
	s_mov_b32 s22, s42
	s_branch .LBB9_606
.LBB9_603:
	s_and_not1_saveexec_b32 s27, s27
	s_cbranch_execz .LBB9_380
.LBB9_604:
	v_add_f32_e64 v3, 0x42800000, |v2|
	s_and_not1_b32 s26, s26, exec_lo
	s_delay_alu instid0(VALU_DEP_1) | instskip(NEXT) | instid1(VALU_DEP_1)
	v_and_b32_e32 v3, 0xff, v3
	v_cmp_ne_u32_e32 vcc_lo, 0, v3
	s_and_b32 s42, vcc_lo, exec_lo
	s_delay_alu instid0(SALU_CYCLE_1)
	s_or_b32 s26, s26, s42
	s_or_b32 exec_lo, exec_lo, s27
	v_mov_b32_e32 v5, 0
	s_and_saveexec_b32 s27, s26
	s_cbranch_execnz .LBB9_381
	s_branch .LBB9_382
.LBB9_605:
	s_mov_b32 s22, -1
	s_mov_b32 s23, 0
.LBB9_606:
                                        ; implicit-def: $vgpr6_vgpr7
.LBB9_607:
	s_and_b32 vcc_lo, exec_lo, s24
	s_cbranch_vccz .LBB9_611
; %bb.608:
	s_cmp_eq_u32 s0, 44
	s_cbranch_scc0 .LBB9_610
; %bb.609:
	global_load_u8 v3, v[0:1], off
	s_mov_b32 s22, 0
	s_mov_b32 s23, -1
	s_wait_loadcnt 0x0
	v_lshlrev_b32_e32 v5, 23, v3
	v_cmp_ne_u32_e32 vcc_lo, 0xff, v3
	s_delay_alu instid0(VALU_DEP_2) | instskip(NEXT) | instid1(VALU_DEP_1)
	v_cvt_f64_f32_e32 v[6:7], v5
	v_cndmask_b32_e32 v5, 0x20000000, v6, vcc_lo
	s_delay_alu instid0(VALU_DEP_2) | instskip(SKIP_1) | instid1(VALU_DEP_2)
	v_cndmask_b32_e32 v6, 0x7ff80000, v7, vcc_lo
	v_cmp_ne_u32_e32 vcc_lo, 0, v3
	v_cndmask_b32_e32 v7, 0x38000000, v6, vcc_lo
	s_delay_alu instid0(VALU_DEP_4)
	v_cndmask_b32_e32 v6, 0, v5, vcc_lo
	s_branch .LBB9_611
.LBB9_610:
	s_mov_b32 s22, -1
                                        ; implicit-def: $vgpr6_vgpr7
.LBB9_611:
	s_mov_b32 s24, 0
.LBB9_612:
	s_delay_alu instid0(SALU_CYCLE_1)
	s_and_b32 vcc_lo, exec_lo, s24
	s_cbranch_vccz .LBB9_616
; %bb.613:
	s_cmp_eq_u32 s0, 29
	s_cbranch_scc0 .LBB9_615
; %bb.614:
	s_wait_loadcnt 0x0
	global_load_b64 v[6:7], v[0:1], off
	s_mov_b32 s23, -1
	s_mov_b32 s22, 0
	s_mov_b32 s24, 0
	s_wait_loadcnt 0x0
	v_cvt_f64_u32_e32 v[8:9], v7
	v_cvt_f64_u32_e32 v[6:7], v6
	s_delay_alu instid0(VALU_DEP_2) | instskip(NEXT) | instid1(VALU_DEP_1)
	v_ldexp_f64 v[8:9], v[8:9], 32
	v_add_f64_e32 v[6:7], v[8:9], v[6:7]
	s_branch .LBB9_617
.LBB9_615:
	s_mov_b32 s22, -1
                                        ; implicit-def: $vgpr6_vgpr7
.LBB9_616:
	s_mov_b32 s24, 0
.LBB9_617:
	s_delay_alu instid0(SALU_CYCLE_1)
	s_and_b32 vcc_lo, exec_lo, s24
	s_cbranch_vccz .LBB9_635
; %bb.618:
	s_cmp_lt_i32 s0, 27
	s_cbranch_scc1 .LBB9_621
; %bb.619:
	s_cmp_gt_i32 s0, 27
	s_cbranch_scc0 .LBB9_622
; %bb.620:
	global_load_b32 v3, v[0:1], off
	s_mov_b32 s23, 0
	s_wait_loadcnt 0x0
	v_cvt_f64_u32_e32 v[6:7], v3
	s_branch .LBB9_623
.LBB9_621:
	s_mov_b32 s23, -1
                                        ; implicit-def: $vgpr6_vgpr7
	s_branch .LBB9_626
.LBB9_622:
	s_mov_b32 s23, -1
                                        ; implicit-def: $vgpr6_vgpr7
.LBB9_623:
	s_delay_alu instid0(SALU_CYCLE_1)
	s_and_not1_b32 vcc_lo, exec_lo, s23
	s_cbranch_vccnz .LBB9_625
; %bb.624:
	global_load_u16 v3, v[0:1], off
	s_wait_loadcnt 0x0
	v_cvt_f64_u32_e32 v[6:7], v3
.LBB9_625:
	s_mov_b32 s23, 0
.LBB9_626:
	s_delay_alu instid0(SALU_CYCLE_1)
	s_and_not1_b32 vcc_lo, exec_lo, s23
	s_cbranch_vccnz .LBB9_634
; %bb.627:
	global_load_u8 v3, v[0:1], off
	s_mov_b32 s23, 0
	s_mov_b32 s24, exec_lo
	s_wait_loadcnt 0x0
	v_cmpx_lt_i16_e32 0x7f, v3
	s_xor_b32 s24, exec_lo, s24
	s_cbranch_execz .LBB9_648
; %bb.628:
	s_mov_b32 s23, -1
	s_mov_b32 s25, exec_lo
	v_cmpx_eq_u16_e32 0x80, v3
; %bb.629:
	s_xor_b32 s23, exec_lo, -1
; %bb.630:
	s_or_b32 exec_lo, exec_lo, s25
	s_delay_alu instid0(SALU_CYCLE_1)
	s_and_b32 s23, s23, exec_lo
	s_or_saveexec_b32 s24, s24
	v_mov_b64_e32 v[6:7], 0x7ff8000020000000
	s_xor_b32 exec_lo, exec_lo, s24
	s_cbranch_execnz .LBB9_649
.LBB9_631:
	s_or_b32 exec_lo, exec_lo, s24
	s_and_saveexec_b32 s24, s23
	s_cbranch_execz .LBB9_633
.LBB9_632:
	v_and_b32_e32 v5, 0xffff, v3
	s_delay_alu instid0(VALU_DEP_1) | instskip(SKIP_1) | instid1(VALU_DEP_2)
	v_and_b32_e32 v6, 7, v5
	v_bfe_u32 v9, v5, 3, 4
	v_clz_i32_u32_e32 v7, v6
	s_delay_alu instid0(VALU_DEP_2) | instskip(NEXT) | instid1(VALU_DEP_2)
	v_cmp_eq_u32_e32 vcc_lo, 0, v9
	v_min_u32_e32 v7, 32, v7
	s_delay_alu instid0(VALU_DEP_1) | instskip(NEXT) | instid1(VALU_DEP_1)
	v_subrev_nc_u32_e32 v8, 28, v7
	v_dual_lshlrev_b32 v5, v8, v5 :: v_dual_sub_nc_u32 v7, 29, v7
	s_delay_alu instid0(VALU_DEP_1) | instskip(NEXT) | instid1(VALU_DEP_1)
	v_dual_lshlrev_b32 v3, 24, v3 :: v_dual_bitop2_b32 v5, 7, v5 bitop3:0x40
	v_dual_cndmask_b32 v5, v6, v5, vcc_lo :: v_dual_cndmask_b32 v7, v9, v7, vcc_lo
	s_delay_alu instid0(VALU_DEP_2) | instskip(NEXT) | instid1(VALU_DEP_2)
	v_and_b32_e32 v3, 0x80000000, v3
	v_lshlrev_b32_e32 v5, 20, v5
	s_delay_alu instid0(VALU_DEP_3) | instskip(NEXT) | instid1(VALU_DEP_1)
	v_lshl_add_u32 v6, v7, 23, 0x3b800000
	v_or3_b32 v3, v3, v6, v5
	s_delay_alu instid0(VALU_DEP_1)
	v_cvt_f64_f32_e32 v[6:7], v3
.LBB9_633:
	s_or_b32 exec_lo, exec_lo, s24
.LBB9_634:
	s_mov_b32 s23, -1
.LBB9_635:
	s_mov_b32 s24, 0
.LBB9_636:
	s_delay_alu instid0(SALU_CYCLE_1)
	s_and_b32 vcc_lo, exec_lo, s24
	s_cbranch_vccz .LBB9_671
; %bb.637:
	s_cmp_gt_i32 s0, 22
	s_cbranch_scc0 .LBB9_647
; %bb.638:
	s_cmp_lt_i32 s0, 24
	s_cbranch_scc1 .LBB9_650
; %bb.639:
	s_cmp_gt_i32 s0, 24
	s_cbranch_scc0 .LBB9_651
; %bb.640:
	global_load_u8 v3, v[0:1], off
	s_mov_b32 s23, 0
	s_mov_b32 s24, exec_lo
	s_wait_loadcnt 0x0
	v_cmpx_lt_i16_e32 0x7f, v3
	s_xor_b32 s24, exec_lo, s24
	s_cbranch_execz .LBB9_663
; %bb.641:
	s_mov_b32 s23, -1
	s_mov_b32 s25, exec_lo
	v_cmpx_eq_u16_e32 0x80, v3
; %bb.642:
	s_xor_b32 s23, exec_lo, -1
; %bb.643:
	s_or_b32 exec_lo, exec_lo, s25
	s_delay_alu instid0(SALU_CYCLE_1)
	s_and_b32 s23, s23, exec_lo
	s_or_saveexec_b32 s24, s24
	v_mov_b64_e32 v[6:7], 0x7ff8000020000000
	s_xor_b32 exec_lo, exec_lo, s24
	s_cbranch_execnz .LBB9_664
.LBB9_644:
	s_or_b32 exec_lo, exec_lo, s24
	s_and_saveexec_b32 s24, s23
	s_cbranch_execz .LBB9_646
.LBB9_645:
	v_and_b32_e32 v5, 0xffff, v3
	s_delay_alu instid0(VALU_DEP_1) | instskip(SKIP_1) | instid1(VALU_DEP_2)
	v_and_b32_e32 v6, 3, v5
	v_bfe_u32 v9, v5, 2, 5
	v_clz_i32_u32_e32 v7, v6
	s_delay_alu instid0(VALU_DEP_2) | instskip(NEXT) | instid1(VALU_DEP_2)
	v_cmp_eq_u32_e32 vcc_lo, 0, v9
	v_min_u32_e32 v7, 32, v7
	s_delay_alu instid0(VALU_DEP_1) | instskip(NEXT) | instid1(VALU_DEP_1)
	v_subrev_nc_u32_e32 v8, 29, v7
	v_dual_lshlrev_b32 v5, v8, v5 :: v_dual_sub_nc_u32 v7, 30, v7
	s_delay_alu instid0(VALU_DEP_1) | instskip(NEXT) | instid1(VALU_DEP_1)
	v_dual_lshlrev_b32 v3, 24, v3 :: v_dual_bitop2_b32 v5, 3, v5 bitop3:0x40
	v_dual_cndmask_b32 v5, v6, v5, vcc_lo :: v_dual_cndmask_b32 v7, v9, v7, vcc_lo
	s_delay_alu instid0(VALU_DEP_2) | instskip(NEXT) | instid1(VALU_DEP_2)
	v_and_b32_e32 v3, 0x80000000, v3
	v_lshlrev_b32_e32 v5, 21, v5
	s_delay_alu instid0(VALU_DEP_3) | instskip(NEXT) | instid1(VALU_DEP_1)
	v_lshl_add_u32 v6, v7, 23, 0x37800000
	v_or3_b32 v3, v3, v6, v5
	s_delay_alu instid0(VALU_DEP_1)
	v_cvt_f64_f32_e32 v[6:7], v3
.LBB9_646:
	s_or_b32 exec_lo, exec_lo, s24
	s_mov_b32 s23, 0
	s_branch .LBB9_652
.LBB9_647:
	s_mov_b32 s24, -1
                                        ; implicit-def: $vgpr6_vgpr7
	s_branch .LBB9_658
.LBB9_648:
	s_or_saveexec_b32 s24, s24
	v_mov_b64_e32 v[6:7], 0x7ff8000020000000
	s_xor_b32 exec_lo, exec_lo, s24
	s_cbranch_execz .LBB9_631
.LBB9_649:
	v_cmp_ne_u16_e32 vcc_lo, 0, v3
	v_mov_b64_e32 v[6:7], 0
	s_and_not1_b32 s23, s23, exec_lo
	s_and_b32 s25, vcc_lo, exec_lo
	s_delay_alu instid0(SALU_CYCLE_1)
	s_or_b32 s23, s23, s25
	s_or_b32 exec_lo, exec_lo, s24
	s_and_saveexec_b32 s24, s23
	s_cbranch_execnz .LBB9_632
	s_branch .LBB9_633
.LBB9_650:
	s_mov_b32 s23, -1
                                        ; implicit-def: $vgpr6_vgpr7
	s_branch .LBB9_655
.LBB9_651:
	s_mov_b32 s23, -1
                                        ; implicit-def: $vgpr6_vgpr7
.LBB9_652:
	s_delay_alu instid0(SALU_CYCLE_1)
	s_and_b32 vcc_lo, exec_lo, s23
	s_cbranch_vccz .LBB9_654
; %bb.653:
	global_load_u8 v3, v[0:1], off
	s_wait_loadcnt 0x0
	v_lshlrev_b32_e32 v3, 24, v3
	s_delay_alu instid0(VALU_DEP_1) | instskip(NEXT) | instid1(VALU_DEP_1)
	v_and_b32_e32 v5, 0x7f000000, v3
	v_clz_i32_u32_e32 v6, v5
	v_cmp_ne_u32_e32 vcc_lo, 0, v5
	v_add_nc_u32_e32 v8, 0x1000000, v5
	s_delay_alu instid0(VALU_DEP_3) | instskip(NEXT) | instid1(VALU_DEP_1)
	v_min_u32_e32 v6, 32, v6
	v_sub_nc_u32_e64 v6, v6, 4 clamp
	s_delay_alu instid0(VALU_DEP_1) | instskip(NEXT) | instid1(VALU_DEP_1)
	v_dual_lshlrev_b32 v7, v6, v5 :: v_dual_lshlrev_b32 v6, 23, v6
	v_lshrrev_b32_e32 v7, 4, v7
	s_delay_alu instid0(VALU_DEP_1) | instskip(NEXT) | instid1(VALU_DEP_1)
	v_dual_sub_nc_u32 v6, v7, v6 :: v_dual_ashrrev_i32 v7, 8, v8
	v_add_nc_u32_e32 v6, 0x3c000000, v6
	s_delay_alu instid0(VALU_DEP_1) | instskip(NEXT) | instid1(VALU_DEP_1)
	v_and_or_b32 v6, 0x7f800000, v7, v6
	v_cndmask_b32_e32 v5, 0, v6, vcc_lo
	s_delay_alu instid0(VALU_DEP_1) | instskip(NEXT) | instid1(VALU_DEP_1)
	v_and_or_b32 v3, 0x80000000, v3, v5
	v_cvt_f64_f32_e32 v[6:7], v3
.LBB9_654:
	s_mov_b32 s23, 0
.LBB9_655:
	s_delay_alu instid0(SALU_CYCLE_1)
	s_and_not1_b32 vcc_lo, exec_lo, s23
	s_cbranch_vccnz .LBB9_657
; %bb.656:
	global_load_u8 v3, v[0:1], off
	s_wait_loadcnt 0x0
	v_lshlrev_b32_e32 v5, 25, v3
	v_lshlrev_b16 v3, 8, v3
	s_delay_alu instid0(VALU_DEP_1) | instskip(NEXT) | instid1(VALU_DEP_3)
	v_and_or_b32 v7, 0x7f00, v3, 0.5
	v_lshrrev_b32_e32 v6, 4, v5
	v_bfe_i32 v3, v3, 0, 16
	s_delay_alu instid0(VALU_DEP_3) | instskip(NEXT) | instid1(VALU_DEP_3)
	v_add_f32_e32 v7, -0.5, v7
	v_or_b32_e32 v6, 0x70000000, v6
	s_delay_alu instid0(VALU_DEP_1) | instskip(SKIP_1) | instid1(VALU_DEP_2)
	v_mul_f32_e32 v6, 0x7800000, v6
	v_cmp_gt_u32_e32 vcc_lo, 0x8000000, v5
	v_cndmask_b32_e32 v5, v6, v7, vcc_lo
	s_delay_alu instid0(VALU_DEP_1) | instskip(NEXT) | instid1(VALU_DEP_1)
	v_and_or_b32 v3, 0x80000000, v3, v5
	v_cvt_f64_f32_e32 v[6:7], v3
.LBB9_657:
	s_mov_b32 s24, 0
	s_mov_b32 s23, -1
.LBB9_658:
	s_and_not1_b32 vcc_lo, exec_lo, s24
	s_cbranch_vccnz .LBB9_671
; %bb.659:
	s_cmp_gt_i32 s0, 14
	s_cbranch_scc0 .LBB9_662
; %bb.660:
	s_cmp_eq_u32 s0, 15
	s_cbranch_scc0 .LBB9_665
; %bb.661:
	global_load_u16 v3, v[0:1], off
	s_mov_b32 s23, -1
	s_mov_b32 s22, 0
	s_wait_loadcnt 0x0
	v_lshlrev_b32_e32 v3, 16, v3
	s_delay_alu instid0(VALU_DEP_1)
	v_cvt_f64_f32_e32 v[6:7], v3
	s_branch .LBB9_666
.LBB9_662:
	s_mov_b32 s24, -1
                                        ; implicit-def: $vgpr6_vgpr7
	s_branch .LBB9_667
.LBB9_663:
	s_or_saveexec_b32 s24, s24
	v_mov_b64_e32 v[6:7], 0x7ff8000020000000
	s_xor_b32 exec_lo, exec_lo, s24
	s_cbranch_execz .LBB9_644
.LBB9_664:
	v_cmp_ne_u16_e32 vcc_lo, 0, v3
	v_mov_b64_e32 v[6:7], 0
	s_and_not1_b32 s23, s23, exec_lo
	s_and_b32 s25, vcc_lo, exec_lo
	s_delay_alu instid0(SALU_CYCLE_1)
	s_or_b32 s23, s23, s25
	s_or_b32 exec_lo, exec_lo, s24
	s_and_saveexec_b32 s24, s23
	s_cbranch_execnz .LBB9_645
	s_branch .LBB9_646
.LBB9_665:
	s_mov_b32 s22, -1
                                        ; implicit-def: $vgpr6_vgpr7
.LBB9_666:
	s_mov_b32 s24, 0
.LBB9_667:
	s_delay_alu instid0(SALU_CYCLE_1)
	s_and_b32 vcc_lo, exec_lo, s24
	s_cbranch_vccz .LBB9_671
; %bb.668:
	s_cmp_eq_u32 s0, 11
	s_cbranch_scc0 .LBB9_670
; %bb.669:
	global_load_u8 v3, v[0:1], off
	s_wait_loadcnt 0x1
	v_mov_b32_e32 v6, 0
	s_mov_b32 s22, 0
	s_mov_b32 s23, -1
	s_wait_loadcnt 0x0
	v_cmp_ne_u16_e32 vcc_lo, 0, v3
	v_cndmask_b32_e64 v7, 0, 0x3ff00000, vcc_lo
	s_branch .LBB9_671
.LBB9_670:
	s_mov_b32 s22, -1
                                        ; implicit-def: $vgpr6_vgpr7
.LBB9_671:
	s_mov_b32 s24, 0
.LBB9_672:
	s_delay_alu instid0(SALU_CYCLE_1)
	s_and_b32 vcc_lo, exec_lo, s24
	s_cbranch_vccz .LBB9_721
; %bb.673:
	s_cmp_lt_i32 s0, 5
	s_cbranch_scc1 .LBB9_678
; %bb.674:
	s_cmp_lt_i32 s0, 8
	s_cbranch_scc1 .LBB9_679
; %bb.675:
	s_cmp_lt_i32 s0, 9
	s_cbranch_scc1 .LBB9_680
; %bb.676:
	s_cmp_gt_i32 s0, 9
	s_cbranch_scc0 .LBB9_681
; %bb.677:
	s_wait_loadcnt 0x0
	global_load_b64 v[6:7], v[0:1], off
	s_mov_b32 s23, 0
	s_branch .LBB9_682
.LBB9_678:
	s_mov_b32 s23, -1
                                        ; implicit-def: $vgpr6_vgpr7
	s_branch .LBB9_700
.LBB9_679:
	s_mov_b32 s23, -1
                                        ; implicit-def: $vgpr6_vgpr7
	s_branch .LBB9_688
.LBB9_680:
	s_mov_b32 s23, -1
                                        ; implicit-def: $vgpr6_vgpr7
	s_branch .LBB9_685
.LBB9_681:
	s_mov_b32 s23, -1
                                        ; implicit-def: $vgpr6_vgpr7
.LBB9_682:
	s_delay_alu instid0(SALU_CYCLE_1)
	s_and_not1_b32 vcc_lo, exec_lo, s23
	s_cbranch_vccnz .LBB9_684
; %bb.683:
	global_load_b32 v3, v[0:1], off
	s_wait_loadcnt 0x0
	v_cvt_f64_f32_e32 v[6:7], v3
.LBB9_684:
	s_mov_b32 s23, 0
.LBB9_685:
	s_delay_alu instid0(SALU_CYCLE_1)
	s_and_not1_b32 vcc_lo, exec_lo, s23
	s_cbranch_vccnz .LBB9_687
; %bb.686:
	global_load_b32 v3, v[0:1], off
	s_wait_loadcnt 0x0
	v_cvt_f32_f16_e32 v3, v3
	s_delay_alu instid0(VALU_DEP_1)
	v_cvt_f64_f32_e32 v[6:7], v3
.LBB9_687:
	s_mov_b32 s23, 0
.LBB9_688:
	s_delay_alu instid0(SALU_CYCLE_1)
	s_and_not1_b32 vcc_lo, exec_lo, s23
	s_cbranch_vccnz .LBB9_699
; %bb.689:
	s_cmp_lt_i32 s0, 6
	s_cbranch_scc1 .LBB9_692
; %bb.690:
	s_cmp_gt_i32 s0, 6
	s_cbranch_scc0 .LBB9_693
; %bb.691:
	s_wait_loadcnt 0x0
	global_load_b64 v[6:7], v[0:1], off
	s_mov_b32 s23, 0
	s_branch .LBB9_694
.LBB9_692:
	s_mov_b32 s23, -1
                                        ; implicit-def: $vgpr6_vgpr7
	s_branch .LBB9_697
.LBB9_693:
	s_mov_b32 s23, -1
                                        ; implicit-def: $vgpr6_vgpr7
.LBB9_694:
	s_delay_alu instid0(SALU_CYCLE_1)
	s_and_not1_b32 vcc_lo, exec_lo, s23
	s_cbranch_vccnz .LBB9_696
; %bb.695:
	global_load_b32 v3, v[0:1], off
	s_wait_loadcnt 0x0
	v_cvt_f64_f32_e32 v[6:7], v3
.LBB9_696:
	s_mov_b32 s23, 0
.LBB9_697:
	s_delay_alu instid0(SALU_CYCLE_1)
	s_and_not1_b32 vcc_lo, exec_lo, s23
	s_cbranch_vccnz .LBB9_699
; %bb.698:
	global_load_u16 v3, v[0:1], off
	s_wait_loadcnt 0x0
	v_cvt_f32_f16_e32 v3, v3
	s_delay_alu instid0(VALU_DEP_1)
	v_cvt_f64_f32_e32 v[6:7], v3
.LBB9_699:
	s_mov_b32 s23, 0
.LBB9_700:
	s_delay_alu instid0(SALU_CYCLE_1)
	s_and_not1_b32 vcc_lo, exec_lo, s23
	s_cbranch_vccnz .LBB9_720
; %bb.701:
	s_cmp_lt_i32 s0, 2
	s_cbranch_scc1 .LBB9_705
; %bb.702:
	s_cmp_lt_i32 s0, 3
	s_cbranch_scc1 .LBB9_706
; %bb.703:
	s_cmp_gt_i32 s0, 3
	s_cbranch_scc0 .LBB9_707
; %bb.704:
	s_wait_loadcnt 0x0
	global_load_b64 v[6:7], v[0:1], off
	s_mov_b32 s23, 0
	s_wait_loadcnt 0x0
	v_cvt_f64_i32_e32 v[8:9], v7
	v_cvt_f64_u32_e32 v[6:7], v6
	s_delay_alu instid0(VALU_DEP_2) | instskip(NEXT) | instid1(VALU_DEP_1)
	v_ldexp_f64 v[8:9], v[8:9], 32
	v_add_f64_e32 v[6:7], v[8:9], v[6:7]
	s_branch .LBB9_708
.LBB9_705:
	s_mov_b32 s23, -1
                                        ; implicit-def: $vgpr6_vgpr7
	s_branch .LBB9_714
.LBB9_706:
	s_mov_b32 s23, -1
                                        ; implicit-def: $vgpr6_vgpr7
	s_branch .LBB9_711
.LBB9_707:
	s_mov_b32 s23, -1
                                        ; implicit-def: $vgpr6_vgpr7
.LBB9_708:
	s_delay_alu instid0(SALU_CYCLE_1)
	s_and_not1_b32 vcc_lo, exec_lo, s23
	s_cbranch_vccnz .LBB9_710
; %bb.709:
	global_load_b32 v3, v[0:1], off
	s_wait_loadcnt 0x0
	v_cvt_f64_i32_e32 v[6:7], v3
.LBB9_710:
	s_mov_b32 s23, 0
.LBB9_711:
	s_delay_alu instid0(SALU_CYCLE_1)
	s_and_not1_b32 vcc_lo, exec_lo, s23
	s_cbranch_vccnz .LBB9_713
; %bb.712:
	global_load_i16 v3, v[0:1], off
	s_wait_loadcnt 0x0
	v_cvt_f64_i32_e32 v[6:7], v3
.LBB9_713:
	s_mov_b32 s23, 0
.LBB9_714:
	s_delay_alu instid0(SALU_CYCLE_1)
	s_and_not1_b32 vcc_lo, exec_lo, s23
	s_cbranch_vccnz .LBB9_720
; %bb.715:
	s_cmp_gt_i32 s0, 0
	s_mov_b32 s0, 0
	s_cbranch_scc0 .LBB9_717
; %bb.716:
	global_load_i8 v3, v[0:1], off
	s_wait_loadcnt 0x0
	v_cvt_f64_i32_e32 v[6:7], v3
	s_branch .LBB9_718
.LBB9_717:
	s_mov_b32 s0, -1
                                        ; implicit-def: $vgpr6_vgpr7
.LBB9_718:
	s_delay_alu instid0(SALU_CYCLE_1)
	s_and_not1_b32 vcc_lo, exec_lo, s0
	s_cbranch_vccnz .LBB9_720
; %bb.719:
	global_load_u8 v0, v[0:1], off
	s_wait_loadcnt 0x0
	v_cvt_f64_u32_e32 v[6:7], v0
.LBB9_720:
	s_mov_b32 s23, -1
.LBB9_721:
	s_delay_alu instid0(SALU_CYCLE_1)
	s_and_not1_b32 vcc_lo, exec_lo, s23
	s_cbranch_vccnz .LBB9_741
; %bb.722:
	s_wait_loadcnt 0x0
	s_delay_alu instid0(VALU_DEP_1) | instskip(SKIP_2) | instid1(SALU_CYCLE_1)
	v_cmp_ge_f64_e64 s0, 0x40200000, |v[6:7]|
                                        ; implicit-def: $vgpr0_vgpr1
	s_wait_xcnt 0x0
	s_and_saveexec_b32 s23, s0
	s_xor_b32 s0, exec_lo, s23
	s_cbranch_execz .LBB9_728
; %bb.723:
	v_fma_f64 v[0:1], |v[6:7]|, 0.5, -2.0
	s_mov_b64 s[24:25], 0x3c499f2a0c3c4014
	s_mov_b32 s23, exec_lo
	s_delay_alu instid0(VALU_DEP_1) | instskip(SKIP_1) | instid1(SALU_CYCLE_1)
	v_fmaak_f64 v[8:9], s[24:25], v[0:1], 0xbc7857d0c38a0576
	s_mov_b64 s[24:25], 0x3ff71547652b82fe
	v_mul_f64_e64 v[12:13], |v[6:7]|, s[24:25]
	s_mov_b64 s[24:25], 0xbfe62e42fefa39ef
	s_delay_alu instid0(VALU_DEP_2) | instskip(NEXT) | instid1(VALU_DEP_1)
	v_fmaak_f64 v[10:11], v[0:1], v[8:9], 0xbc499f2a0c3c4014
	v_add_f64_e32 v[10:11], 0x3ca663e3e593bfac, v[10:11]
	s_delay_alu instid0(VALU_DEP_3) | instskip(NEXT) | instid1(VALU_DEP_2)
	v_rndne_f64_e32 v[12:13], v[12:13]
	v_fma_f64 v[8:9], v[0:1], v[10:11], -v[8:9]
	s_delay_alu instid0(VALU_DEP_2) | instskip(SKIP_2) | instid1(VALU_DEP_3)
	v_fma_f64 v[14:15], v[12:13], s[24:25], |v[6:7]|
	s_mov_b64 s[24:25], 0x3e5ade156a5dcb37
	v_cvt_i32_f64_e32 v3, v[12:13]
	v_add_f64_e32 v[8:9], 0xbcd3eaaa7e0d1573, v[8:9]
	s_delay_alu instid0(VALU_DEP_1) | instskip(NEXT) | instid1(VALU_DEP_1)
	v_fma_f64 v[10:11], v[0:1], v[8:9], -v[10:11]
	v_add_f64_e32 v[10:11], 0x3d011d7f0615290c, v[10:11]
	s_delay_alu instid0(VALU_DEP_1) | instskip(NEXT) | instid1(VALU_DEP_1)
	v_fma_f64 v[8:9], v[0:1], v[10:11], -v[8:9]
	;; [unrolled: 3-line block ×24, first 2 shown]
	v_add_f64_e32 v[8:9], 0xbfc694d10469192e, v[8:9]
	s_delay_alu instid0(VALU_DEP_1) | instskip(SKIP_1) | instid1(VALU_DEP_1)
	v_fma_f64 v[0:1], v[0:1], v[8:9], -v[10:11]
	v_fmamk_f64 v[8:9], v[12:13], 0xbc7abc9e3b39803f, v[14:15]
	v_fmaak_f64 v[14:15], s[24:25], v[8:9], 0x3e928af3fca7ab0c
	s_delay_alu instid0(VALU_DEP_1) | instskip(NEXT) | instid1(VALU_DEP_1)
	v_fmaak_f64 v[14:15], v[8:9], v[14:15], 0x3ec71dee623fde64
	v_fmaak_f64 v[14:15], v[8:9], v[14:15], 0x3efa01997c89e6b0
	s_delay_alu instid0(VALU_DEP_1) | instskip(SKIP_1) | instid1(VALU_DEP_2)
	v_fmaak_f64 v[14:15], v[8:9], v[14:15], 0x3f2a01a014761f6e
	v_add_f64_e32 v[0:1], 0x3fd02a63724a7ffa, v[0:1]
	v_fmaak_f64 v[14:15], v[8:9], v[14:15], 0x3f56c16c1852b7b0
	s_delay_alu instid0(VALU_DEP_2) | instskip(NEXT) | instid1(VALU_DEP_2)
	v_add_f64_e64 v[0:1], v[0:1], -v[10:11]
	v_fmaak_f64 v[10:11], v[8:9], v[14:15], 0x3f81111111122322
	s_delay_alu instid0(VALU_DEP_1) | instskip(NEXT) | instid1(VALU_DEP_1)
	v_fmaak_f64 v[10:11], v[8:9], v[10:11], 0x3fa55555555502a1
	v_fmaak_f64 v[10:11], v[8:9], v[10:11], 0x3fc5555555555511
	s_delay_alu instid0(VALU_DEP_1) | instskip(NEXT) | instid1(VALU_DEP_1)
	v_fmaak_f64 v[10:11], v[8:9], v[10:11], 0x3fe000000000000b
	v_fma_f64 v[10:11], v[8:9], v[10:11], 1.0
	v_mul_f64_e32 v[0:1], 0.5, v[0:1]
	s_delay_alu instid0(VALU_DEP_2) | instskip(NEXT) | instid1(VALU_DEP_2)
	v_fma_f64 v[10:11], v[8:9], v[10:11], 1.0
	v_mul_f64_e64 v[8:9], |v[6:7]|, v[0:1]
                                        ; implicit-def: $vgpr0_vgpr1
	v_cmpx_ngt_f64_e32 0, v[6:7]
	s_xor_b32 s23, exec_lo, s23
	s_cbranch_execz .LBB9_725
; %bb.724:
	s_delay_alu instid0(VALU_DEP_3) | instskip(SKIP_1) | instid1(VALU_DEP_2)
	v_ldexp_f64 v[0:1], v[10:11], v3
	v_cmp_nlt_f64_e64 vcc_lo, 0x40900000, |v[6:7]|
                                        ; implicit-def: $vgpr10_vgpr11
                                        ; implicit-def: $vgpr3
                                        ; implicit-def: $vgpr6_vgpr7
	v_cndmask_b32_e32 v1, 0x7ff00000, v1, vcc_lo
	s_delay_alu instid0(VALU_DEP_3) | instskip(NEXT) | instid1(VALU_DEP_1)
	v_cndmask_b32_e32 v0, 0, v0, vcc_lo
	v_mul_f64_e32 v[0:1], v[0:1], v[8:9]
                                        ; implicit-def: $vgpr8_vgpr9
.LBB9_725:
	s_and_not1_saveexec_b32 s23, s23
	s_cbranch_execz .LBB9_727
; %bb.726:
	s_delay_alu instid0(VALU_DEP_3) | instskip(SKIP_1) | instid1(VALU_DEP_2)
	v_ldexp_f64 v[0:1], -v[10:11], v3
	v_cmp_nlt_f64_e64 vcc_lo, 0x40900000, |v[6:7]|
	v_cndmask_b32_e32 v1, 0xfff00000, v1, vcc_lo
	s_delay_alu instid0(VALU_DEP_3) | instskip(NEXT) | instid1(VALU_DEP_1)
	v_cndmask_b32_e32 v0, 0, v0, vcc_lo
	v_mul_f64_e32 v[0:1], v[0:1], v[8:9]
.LBB9_727:
	s_or_b32 exec_lo, exec_lo, s23
                                        ; implicit-def: $vgpr6_vgpr7
.LBB9_728:
	s_and_not1_saveexec_b32 s23, s0
	s_cbranch_execz .LBB9_734
; %bb.729:
	v_and_b32_e32 v1, 0x7fffffff, v7
	v_mov_b32_e32 v0, v6
	s_mov_b64 s[24:25], 0x3c61556db352e8e6
	v_cmp_ngt_f64_e64 s0, 0, v[6:7]
	s_delay_alu instid0(VALU_DEP_2) | instskip(SKIP_1) | instid1(VALU_DEP_2)
	v_div_scale_f64 v[8:9], null, v[0:1], v[0:1], 0x40400000
	v_div_scale_f64 v[0:1], vcc_lo, 0x40400000, v[0:1], 0x40400000
	v_rcp_f64_e32 v[10:11], v[8:9]
	v_nop
	s_delay_alu instid0(TRANS32_DEP_1) | instskip(NEXT) | instid1(VALU_DEP_1)
	v_fma_f64 v[12:13], -v[8:9], v[10:11], 1.0
	v_fmac_f64_e32 v[10:11], v[10:11], v[12:13]
	s_delay_alu instid0(VALU_DEP_1) | instskip(NEXT) | instid1(VALU_DEP_1)
	v_fma_f64 v[12:13], -v[8:9], v[10:11], 1.0
	v_fmac_f64_e32 v[10:11], v[10:11], v[12:13]
	s_delay_alu instid0(VALU_DEP_1) | instskip(NEXT) | instid1(VALU_DEP_1)
	v_mul_f64_e32 v[12:13], v[0:1], v[10:11]
	v_fma_f64 v[0:1], -v[8:9], v[12:13], v[0:1]
	s_delay_alu instid0(VALU_DEP_1) | instskip(SKIP_1) | instid1(VALU_DEP_2)
	v_div_fmas_f64 v[0:1], v[0:1], v[10:11], v[12:13]
	v_cmp_nlt_f64_e64 vcc_lo, 0x40900000, |v[6:7]|
	v_div_fixup_f64 v[0:1], v[0:1], |v[6:7]|, 0x40400000
	s_delay_alu instid0(VALU_DEP_1) | instskip(NEXT) | instid1(VALU_DEP_1)
	v_add_f64_e32 v[0:1], -2.0, v[0:1]
	v_fmaak_f64 v[8:9], s[24:25], v[0:1], 0x3c545b8aea87b950
	s_mov_b64 s[24:25], 0x3ff71547652b82fe
	s_delay_alu instid0(SALU_CYCLE_1) | instskip(SKIP_1) | instid1(VALU_DEP_2)
	v_mul_f64_e64 v[12:13], |v[6:7]|, s[24:25]
	s_mov_b64 s[24:25], 0xbfe62e42fefa39ef
	v_fmaak_f64 v[10:11], v[0:1], v[8:9], 0xbc61556db352e8e6
	s_delay_alu instid0(VALU_DEP_1) | instskip(NEXT) | instid1(VALU_DEP_3)
	v_add_f64_e32 v[10:11], 0xbc8acea3b2532277, v[10:11]
	v_rndne_f64_e32 v[12:13], v[12:13]
	s_delay_alu instid0(VALU_DEP_2) | instskip(NEXT) | instid1(VALU_DEP_2)
	v_fma_f64 v[8:9], v[0:1], v[10:11], -v[8:9]
	v_fma_f64 v[14:15], v[12:13], s[24:25], |v[6:7]|
	s_mov_b64 s[24:25], 0x3e5ade156a5dcb37
	v_cvt_i32_f64_e32 v3, v[12:13]
	s_delay_alu instid0(VALU_DEP_3) | instskip(NEXT) | instid1(VALU_DEP_3)
	v_add_f64_e32 v[8:9], 0xbc82806c9c773320, v[8:9]
	v_fmamk_f64 v[14:15], v[12:13], 0xbc7abc9e3b39803f, v[14:15]
	s_delay_alu instid0(VALU_DEP_1) | instskip(NEXT) | instid1(VALU_DEP_3)
	v_fmaak_f64 v[16:17], s[24:25], v[14:15], 0x3e928af3fca7ab0c
	v_fma_f64 v[10:11], v[0:1], v[8:9], -v[10:11]
	s_delay_alu instid0(VALU_DEP_2) | instskip(NEXT) | instid1(VALU_DEP_1)
	v_fmaak_f64 v[16:17], v[14:15], v[16:17], 0x3ec71dee623fde64
	v_fmaak_f64 v[16:17], v[14:15], v[16:17], 0x3efa01997c89e6b0
	s_delay_alu instid0(VALU_DEP_1) | instskip(NEXT) | instid1(VALU_DEP_1)
	v_fmaak_f64 v[16:17], v[14:15], v[16:17], 0x3f2a01a014761f6e
	v_fmaak_f64 v[16:17], v[14:15], v[16:17], 0x3f56c16c1852b7b0
	s_delay_alu instid0(VALU_DEP_1) | instskip(SKIP_1) | instid1(VALU_DEP_2)
	v_fmaak_f64 v[16:17], v[14:15], v[16:17], 0x3f81111111122322
	v_add_f64_e32 v[10:11], 0x3cb55915fceb588a, v[10:11]
	v_fmaak_f64 v[16:17], v[14:15], v[16:17], 0x3fa55555555502a1
	s_delay_alu instid0(VALU_DEP_1) | instskip(NEXT) | instid1(VALU_DEP_1)
	v_fmaak_f64 v[16:17], v[14:15], v[16:17], 0x3fc5555555555511
	v_fmaak_f64 v[16:17], v[14:15], v[16:17], 0x3fe000000000000b
	s_delay_alu instid0(VALU_DEP_1) | instskip(SKIP_1) | instid1(VALU_DEP_1)
	v_fma_f64 v[16:17], v[14:15], v[16:17], 1.0
	v_fma_f64 v[8:9], v[0:1], v[10:11], -v[8:9]
	v_add_f64_e32 v[8:9], 0x3cb7d68e5f04a2d1, v[8:9]
	s_delay_alu instid0(VALU_DEP_1) | instskip(NEXT) | instid1(VALU_DEP_1)
	v_fma_f64 v[10:11], v[0:1], v[8:9], -v[10:11]
	v_add_f64_e32 v[10:11], 0xbce0efcd8bc4d22a, v[10:11]
	s_delay_alu instid0(VALU_DEP_1) | instskip(NEXT) | instid1(VALU_DEP_1)
	;; [unrolled: 3-line block ×18, first 2 shown]
	v_fma_f64 v[8:9], v[0:1], v[10:11], -v[8:9]
	v_add_f64_e32 v[8:9], 0xbf83fda053fcdb4c, v[8:9]
	s_delay_alu instid0(VALU_DEP_1) | instskip(SKIP_1) | instid1(VALU_DEP_2)
	v_fma_f64 v[0:1], v[0:1], v[8:9], -v[10:11]
	v_fma_f64 v[8:9], v[14:15], v[16:17], 1.0
	v_add_f64_e32 v[0:1], 0x3fe8ea18b55b1514, v[0:1]
	s_delay_alu instid0(VALU_DEP_2) | instskip(NEXT) | instid1(VALU_DEP_2)
	v_ldexp_f64 v[8:9], v[8:9], v3
	v_add_f64_e64 v[10:11], v[0:1], -v[10:11]
	s_delay_alu instid0(VALU_DEP_2) | instskip(NEXT) | instid1(VALU_DEP_3)
	v_cndmask_b32_e32 v9, 0x7ff00000, v9, vcc_lo
	v_cndmask_b32_e32 v8, 0, v8, vcc_lo
                                        ; implicit-def: $vgpr0_vgpr1
	s_and_saveexec_b32 s24, s0
	s_delay_alu instid0(SALU_CYCLE_1)
	s_xor_b32 s0, exec_lo, s24
	s_cbranch_execz .LBB9_731
; %bb.730:
	v_cmp_gt_f64_e64 s24, 0x10000000, |v[6:7]|
	s_delay_alu instid0(VALU_DEP_1) | instskip(SKIP_1) | instid1(VALU_DEP_2)
	v_cndmask_b32_e64 v0, 0, 0x100, s24
	v_cndmask_b32_e64 v3, 0, 0xffffff80, s24
	v_ldexp_f64 v[0:1], |v[6:7]|, v0
	s_delay_alu instid0(VALU_DEP_1) | instskip(SKIP_1) | instid1(TRANS32_DEP_1)
	v_rsq_f64_e32 v[6:7], v[0:1]
	v_cmp_class_f64_e64 vcc_lo, v[0:1], 0x260
	v_mul_f64_e32 v[12:13], v[0:1], v[6:7]
	v_mul_f64_e32 v[6:7], 0.5, v[6:7]
	s_delay_alu instid0(VALU_DEP_1) | instskip(NEXT) | instid1(VALU_DEP_1)
	v_fma_f64 v[14:15], -v[6:7], v[12:13], 0.5
	v_fmac_f64_e32 v[12:13], v[12:13], v[14:15]
	v_fmac_f64_e32 v[6:7], v[6:7], v[14:15]
	s_delay_alu instid0(VALU_DEP_2) | instskip(NEXT) | instid1(VALU_DEP_1)
	v_fma_f64 v[14:15], -v[12:13], v[12:13], v[0:1]
	v_fmac_f64_e32 v[12:13], v[14:15], v[6:7]
	s_delay_alu instid0(VALU_DEP_1) | instskip(NEXT) | instid1(VALU_DEP_1)
	v_fma_f64 v[14:15], -v[12:13], v[12:13], v[0:1]
	v_fmac_f64_e32 v[12:13], v[14:15], v[6:7]
	v_mul_f64_e32 v[6:7], 0.5, v[10:11]
	s_delay_alu instid0(VALU_DEP_2) | instskip(NEXT) | instid1(VALU_DEP_1)
	v_ldexp_f64 v[10:11], v[12:13], v3
	v_dual_mul_f64 v[6:7], v[8:9], v[6:7] :: v_dual_cndmask_b32 v1, v11, v1, vcc_lo
	s_delay_alu instid0(VALU_DEP_2) | instskip(NEXT) | instid1(VALU_DEP_1)
	v_cndmask_b32_e32 v0, v10, v0, vcc_lo
	v_div_scale_f64 v[8:9], null, v[0:1], v[0:1], v[6:7]
	s_delay_alu instid0(VALU_DEP_1) | instskip(SKIP_1) | instid1(TRANS32_DEP_1)
	v_rcp_f64_e32 v[10:11], v[8:9]
	v_nop
	v_fma_f64 v[12:13], -v[8:9], v[10:11], 1.0
	s_delay_alu instid0(VALU_DEP_1) | instskip(NEXT) | instid1(VALU_DEP_1)
	v_fmac_f64_e32 v[10:11], v[10:11], v[12:13]
	v_fma_f64 v[12:13], -v[8:9], v[10:11], 1.0
	s_delay_alu instid0(VALU_DEP_1) | instskip(SKIP_1) | instid1(VALU_DEP_1)
	v_fmac_f64_e32 v[10:11], v[10:11], v[12:13]
	v_div_scale_f64 v[12:13], vcc_lo, v[6:7], v[0:1], v[6:7]
	v_mul_f64_e32 v[14:15], v[12:13], v[10:11]
	s_delay_alu instid0(VALU_DEP_1) | instskip(NEXT) | instid1(VALU_DEP_1)
	v_fma_f64 v[8:9], -v[8:9], v[14:15], v[12:13]
	v_div_fmas_f64 v[8:9], v[8:9], v[10:11], v[14:15]
                                        ; implicit-def: $vgpr10_vgpr11
	s_delay_alu instid0(VALU_DEP_1)
	v_div_fixup_f64 v[0:1], v[8:9], v[0:1], v[6:7]
                                        ; implicit-def: $vgpr6_vgpr7
                                        ; implicit-def: $vgpr8_vgpr9
.LBB9_731:
	s_and_not1_saveexec_b32 s0, s0
	s_cbranch_execz .LBB9_733
; %bb.732:
	v_cmp_gt_f64_e64 s24, 0x10000000, |v[6:7]|
	s_delay_alu instid0(VALU_DEP_1) | instskip(SKIP_1) | instid1(VALU_DEP_2)
	v_cndmask_b32_e64 v0, 0, 0x100, s24
	v_cndmask_b32_e64 v3, 0, 0xffffff80, s24
	v_ldexp_f64 v[0:1], |v[6:7]|, v0
	s_delay_alu instid0(VALU_DEP_1) | instskip(SKIP_1) | instid1(TRANS32_DEP_1)
	v_rsq_f64_e32 v[6:7], v[0:1]
	v_cmp_class_f64_e64 vcc_lo, v[0:1], 0x260
	v_mul_f64_e32 v[12:13], v[0:1], v[6:7]
	v_mul_f64_e32 v[6:7], 0.5, v[6:7]
	s_delay_alu instid0(VALU_DEP_1) | instskip(NEXT) | instid1(VALU_DEP_1)
	v_fma_f64 v[14:15], -v[6:7], v[12:13], 0.5
	v_fmac_f64_e32 v[12:13], v[12:13], v[14:15]
	v_fmac_f64_e32 v[6:7], v[6:7], v[14:15]
	s_delay_alu instid0(VALU_DEP_2) | instskip(NEXT) | instid1(VALU_DEP_1)
	v_fma_f64 v[14:15], -v[12:13], v[12:13], v[0:1]
	v_fmac_f64_e32 v[12:13], v[14:15], v[6:7]
	s_delay_alu instid0(VALU_DEP_1) | instskip(NEXT) | instid1(VALU_DEP_1)
	v_fma_f64 v[14:15], -v[12:13], v[12:13], v[0:1]
	v_fmac_f64_e32 v[12:13], v[14:15], v[6:7]
	v_mul_f64_e32 v[6:7], -0.5, v[10:11]
	s_delay_alu instid0(VALU_DEP_2) | instskip(NEXT) | instid1(VALU_DEP_1)
	v_ldexp_f64 v[10:11], v[12:13], v3
	v_dual_mul_f64 v[6:7], v[8:9], v[6:7] :: v_dual_cndmask_b32 v1, v11, v1, vcc_lo
	s_delay_alu instid0(VALU_DEP_2) | instskip(NEXT) | instid1(VALU_DEP_1)
	v_cndmask_b32_e32 v0, v10, v0, vcc_lo
	v_div_scale_f64 v[8:9], null, v[0:1], v[0:1], v[6:7]
	s_delay_alu instid0(VALU_DEP_1) | instskip(SKIP_1) | instid1(TRANS32_DEP_1)
	v_rcp_f64_e32 v[10:11], v[8:9]
	v_nop
	v_fma_f64 v[12:13], -v[8:9], v[10:11], 1.0
	s_delay_alu instid0(VALU_DEP_1) | instskip(NEXT) | instid1(VALU_DEP_1)
	v_fmac_f64_e32 v[10:11], v[10:11], v[12:13]
	v_fma_f64 v[12:13], -v[8:9], v[10:11], 1.0
	s_delay_alu instid0(VALU_DEP_1) | instskip(SKIP_1) | instid1(VALU_DEP_1)
	v_fmac_f64_e32 v[10:11], v[10:11], v[12:13]
	v_div_scale_f64 v[12:13], vcc_lo, v[6:7], v[0:1], v[6:7]
	v_mul_f64_e32 v[14:15], v[12:13], v[10:11]
	s_delay_alu instid0(VALU_DEP_1) | instskip(NEXT) | instid1(VALU_DEP_1)
	v_fma_f64 v[8:9], -v[8:9], v[14:15], v[12:13]
	v_div_fmas_f64 v[8:9], v[8:9], v[10:11], v[14:15]
	s_delay_alu instid0(VALU_DEP_1)
	v_div_fixup_f64 v[0:1], v[8:9], v[0:1], v[6:7]
.LBB9_733:
	s_or_b32 exec_lo, exec_lo, s0
.LBB9_734:
	s_delay_alu instid0(SALU_CYCLE_1) | instskip(SKIP_2) | instid1(SALU_CYCLE_1)
	s_or_b32 exec_lo, exec_lo, s23
	v_mov_b32_e32 v3, 0
	s_and_b32 s23, s34, 0xff
	s_cmp_lt_i32 s23, 11
	s_delay_alu instid0(VALU_DEP_1)
	v_add_nc_u64_e32 v[6:7], s[4:5], v[2:3]
	s_cbranch_scc1 .LBB9_742
; %bb.735:
	s_and_b32 s24, 0xffff, s23
	s_delay_alu instid0(SALU_CYCLE_1)
	s_cmp_gt_i32 s24, 25
	s_cbranch_scc0 .LBB9_743
; %bb.736:
	s_cmp_gt_i32 s24, 28
	s_cbranch_scc0 .LBB9_744
; %bb.737:
	;; [unrolled: 3-line block ×4, first 2 shown]
	s_mov_b32 s26, 0
	s_mov_b32 s0, -1
	s_cmp_eq_u32 s24, 46
	s_mov_b32 s25, 0
	s_cbranch_scc0 .LBB9_747
; %bb.740:
	s_delay_alu instid0(VALU_DEP_3) | instskip(SKIP_2) | instid1(VALU_DEP_1)
	v_cvt_f32_f64_e32 v2, v[0:1]
	s_mov_b32 s25, -1
	s_mov_b32 s0, 0
	v_bfe_u32 v3, v2, 16, 1
	v_cmp_o_f32_e32 vcc_lo, v2, v2
	s_delay_alu instid0(VALU_DEP_2) | instskip(NEXT) | instid1(VALU_DEP_1)
	v_add3_u32 v3, v2, v3, 0x7fff
	v_lshrrev_b32_e32 v3, 16, v3
	s_delay_alu instid0(VALU_DEP_1)
	v_cndmask_b32_e32 v2, 0x7fc0, v3, vcc_lo
	global_store_b32 v[6:7], v2, off
	s_branch .LBB9_747
.LBB9_741:
	s_mov_b32 s23, 0
	s_mov_b32 s0, s43
	s_branch .LBB9_858
.LBB9_742:
	s_mov_b32 s24, -1
	s_mov_b32 s25, 0
	s_mov_b32 s0, s43
	s_branch .LBB9_816
.LBB9_743:
	s_mov_b32 s26, -1
	s_mov_b32 s25, 0
	s_mov_b32 s0, s43
	s_branch .LBB9_774
.LBB9_744:
	s_mov_b32 s26, -1
	s_mov_b32 s25, 0
	s_mov_b32 s0, s43
	s_branch .LBB9_757
.LBB9_745:
	s_mov_b32 s26, -1
	s_mov_b32 s25, 0
	s_mov_b32 s0, s43
	s_branch .LBB9_753
.LBB9_746:
	s_mov_b32 s26, -1
	s_mov_b32 s25, 0
	s_mov_b32 s0, s43
.LBB9_747:
	s_and_b32 vcc_lo, exec_lo, s26
	s_cbranch_vccz .LBB9_752
; %bb.748:
	s_cmp_eq_u32 s24, 44
	s_mov_b32 s0, -1
	s_cbranch_scc0 .LBB9_752
; %bb.749:
	s_wait_xcnt 0x0
	s_delay_alu instid0(VALU_DEP_3) | instskip(SKIP_2) | instid1(VALU_DEP_2)
	v_cvt_f32_f64_e32 v2, v[0:1]
	v_mov_b32_e32 v3, 0xff
	s_mov_b32 s25, exec_lo
	v_bfe_u32 v5, v2, 23, 8
	s_delay_alu instid0(VALU_DEP_1)
	v_cmpx_ne_u32_e32 0xff, v5
	s_cbranch_execz .LBB9_751
; %bb.750:
	v_and_b32_e32 v3, 0x400000, v2
	v_and_or_b32 v5, 0x3fffff, v2, v5
	v_lshrrev_b32_e32 v2, 23, v2
	s_delay_alu instid0(VALU_DEP_3) | instskip(NEXT) | instid1(VALU_DEP_3)
	v_cmp_ne_u32_e32 vcc_lo, 0, v3
	v_cmp_ne_u32_e64 s0, 0, v5
	s_and_b32 s0, vcc_lo, s0
	s_delay_alu instid0(SALU_CYCLE_1) | instskip(NEXT) | instid1(VALU_DEP_1)
	v_cndmask_b32_e64 v3, 0, 1, s0
	v_add_nc_u32_e32 v3, v2, v3
.LBB9_751:
	s_or_b32 exec_lo, exec_lo, s25
	s_mov_b32 s25, -1
	s_mov_b32 s0, 0
	global_store_b8 v[6:7], v3, off
.LBB9_752:
	s_mov_b32 s26, 0
.LBB9_753:
	s_delay_alu instid0(SALU_CYCLE_1)
	s_and_b32 vcc_lo, exec_lo, s26
	s_cbranch_vccz .LBB9_756
; %bb.754:
	s_cmp_eq_u32 s24, 29
	s_mov_b32 s0, -1
	s_cbranch_scc0 .LBB9_756
; %bb.755:
	s_wait_xcnt 0x0
	s_delay_alu instid0(VALU_DEP_3) | instskip(SKIP_3) | instid1(VALU_DEP_1)
	v_trunc_f64_e32 v[2:3], v[0:1]
	s_mov_b32 s25, -1
	s_mov_b32 s0, 0
	s_mov_b32 s26, 0
	v_ldexp_f64 v[8:9], v[2:3], 0xffffffe0
	s_delay_alu instid0(VALU_DEP_1) | instskip(NEXT) | instid1(VALU_DEP_1)
	v_floor_f64_e32 v[8:9], v[8:9]
	v_fmamk_f64 v[2:3], v[8:9], 0xc1f00000, v[2:3]
	v_cvt_u32_f64_e32 v9, v[8:9]
	s_delay_alu instid0(VALU_DEP_2)
	v_cvt_u32_f64_e32 v8, v[2:3]
	global_store_b64 v[6:7], v[8:9], off
	s_branch .LBB9_757
.LBB9_756:
	s_mov_b32 s26, 0
.LBB9_757:
	s_delay_alu instid0(SALU_CYCLE_1)
	s_and_b32 vcc_lo, exec_lo, s26
	s_cbranch_vccz .LBB9_773
; %bb.758:
	s_cmp_lt_i32 s24, 27
	s_mov_b32 s25, -1
	s_cbranch_scc1 .LBB9_764
; %bb.759:
	s_wait_xcnt 0x0
	s_delay_alu instid0(VALU_DEP_3)
	v_cvt_u32_f64_e32 v2, v[0:1]
	s_cmp_gt_i32 s24, 27
	s_cbranch_scc0 .LBB9_761
; %bb.760:
	s_mov_b32 s25, 0
	global_store_b32 v[6:7], v2, off
.LBB9_761:
	s_and_not1_b32 vcc_lo, exec_lo, s25
	s_cbranch_vccnz .LBB9_763
; %bb.762:
	global_store_b16 v[6:7], v2, off
.LBB9_763:
	s_mov_b32 s25, 0
.LBB9_764:
	s_delay_alu instid0(SALU_CYCLE_1)
	s_and_not1_b32 vcc_lo, exec_lo, s25
	s_cbranch_vccnz .LBB9_772
; %bb.765:
	s_wait_xcnt 0x0
	s_delay_alu instid0(VALU_DEP_3) | instskip(SKIP_2) | instid1(VALU_DEP_2)
	v_cvt_f32_f64_e32 v2, v[0:1]
	v_mov_b32_e32 v5, 0x80
	s_mov_b32 s25, exec_lo
	v_and_b32_e32 v3, 0x7fffffff, v2
	s_delay_alu instid0(VALU_DEP_1)
	v_cmpx_gt_u32_e32 0x43800000, v3
	s_cbranch_execz .LBB9_771
; %bb.766:
	v_cmp_lt_u32_e32 vcc_lo, 0x3bffffff, v3
	s_mov_b32 s26, 0
                                        ; implicit-def: $vgpr3
	s_and_saveexec_b32 s27, vcc_lo
	s_delay_alu instid0(SALU_CYCLE_1)
	s_xor_b32 s27, exec_lo, s27
	s_cbranch_execz .LBB9_890
; %bb.767:
	v_bfe_u32 v3, v2, 20, 1
	s_mov_b32 s26, exec_lo
	s_delay_alu instid0(VALU_DEP_1) | instskip(NEXT) | instid1(VALU_DEP_1)
	v_add3_u32 v3, v2, v3, 0x487ffff
	v_lshrrev_b32_e32 v3, 20, v3
	s_and_not1_saveexec_b32 s27, s27
	s_cbranch_execnz .LBB9_891
.LBB9_768:
	s_or_b32 exec_lo, exec_lo, s27
	v_mov_b32_e32 v5, 0
	s_and_saveexec_b32 s27, s26
.LBB9_769:
	v_lshrrev_b32_e32 v2, 24, v2
	s_delay_alu instid0(VALU_DEP_1)
	v_and_or_b32 v5, 0x80, v2, v3
.LBB9_770:
	s_or_b32 exec_lo, exec_lo, s27
.LBB9_771:
	s_delay_alu instid0(SALU_CYCLE_1)
	s_or_b32 exec_lo, exec_lo, s25
	global_store_b8 v[6:7], v5, off
.LBB9_772:
	s_mov_b32 s25, -1
.LBB9_773:
	s_mov_b32 s26, 0
.LBB9_774:
	s_delay_alu instid0(SALU_CYCLE_1)
	s_and_b32 vcc_lo, exec_lo, s26
	s_cbranch_vccz .LBB9_815
; %bb.775:
	s_cmp_gt_i32 s24, 22
	s_mov_b32 s26, -1
	s_cbranch_scc0 .LBB9_807
; %bb.776:
	s_cmp_lt_i32 s24, 24
	s_mov_b32 s25, -1
	s_cbranch_scc1 .LBB9_796
; %bb.777:
	s_cmp_gt_i32 s24, 24
	s_cbranch_scc0 .LBB9_785
; %bb.778:
	s_wait_xcnt 0x0
	s_delay_alu instid0(VALU_DEP_3) | instskip(SKIP_2) | instid1(VALU_DEP_2)
	v_cvt_f32_f64_e32 v2, v[0:1]
	v_mov_b32_e32 v5, 0x80
	s_mov_b32 s25, exec_lo
	v_and_b32_e32 v3, 0x7fffffff, v2
	s_delay_alu instid0(VALU_DEP_1)
	v_cmpx_gt_u32_e32 0x47800000, v3
	s_cbranch_execz .LBB9_784
; %bb.779:
	v_cmp_lt_u32_e32 vcc_lo, 0x37ffffff, v3
	s_mov_b32 s26, 0
                                        ; implicit-def: $vgpr3
	s_and_saveexec_b32 s27, vcc_lo
	s_delay_alu instid0(SALU_CYCLE_1)
	s_xor_b32 s27, exec_lo, s27
	s_cbranch_execz .LBB9_893
; %bb.780:
	v_bfe_u32 v3, v2, 21, 1
	s_mov_b32 s26, exec_lo
	s_delay_alu instid0(VALU_DEP_1) | instskip(NEXT) | instid1(VALU_DEP_1)
	v_add3_u32 v3, v2, v3, 0x88fffff
	v_lshrrev_b32_e32 v3, 21, v3
	s_and_not1_saveexec_b32 s27, s27
	s_cbranch_execnz .LBB9_894
.LBB9_781:
	s_or_b32 exec_lo, exec_lo, s27
	v_mov_b32_e32 v5, 0
	s_and_saveexec_b32 s27, s26
.LBB9_782:
	v_lshrrev_b32_e32 v2, 24, v2
	s_delay_alu instid0(VALU_DEP_1)
	v_and_or_b32 v5, 0x80, v2, v3
.LBB9_783:
	s_or_b32 exec_lo, exec_lo, s27
.LBB9_784:
	s_delay_alu instid0(SALU_CYCLE_1)
	s_or_b32 exec_lo, exec_lo, s25
	s_mov_b32 s25, 0
	global_store_b8 v[6:7], v5, off
.LBB9_785:
	s_and_b32 vcc_lo, exec_lo, s25
	s_cbranch_vccz .LBB9_795
; %bb.786:
	s_wait_xcnt 0x0
	s_delay_alu instid0(VALU_DEP_3) | instskip(SKIP_1) | instid1(VALU_DEP_1)
	v_cvt_f32_f64_e32 v2, v[0:1]
	s_mov_b32 s25, exec_lo
                                        ; implicit-def: $vgpr3
	v_and_b32_e32 v5, 0x7fffffff, v2
	s_delay_alu instid0(VALU_DEP_1)
	v_cmpx_gt_u32_e32 0x43f00000, v5
	s_xor_b32 s25, exec_lo, s25
	s_cbranch_execz .LBB9_792
; %bb.787:
	s_mov_b32 s26, exec_lo
                                        ; implicit-def: $vgpr3
	v_cmpx_lt_u32_e32 0x3c7fffff, v5
	s_xor_b32 s26, exec_lo, s26
; %bb.788:
	v_bfe_u32 v3, v2, 20, 1
	s_delay_alu instid0(VALU_DEP_1) | instskip(NEXT) | instid1(VALU_DEP_1)
	v_add3_u32 v3, v2, v3, 0x407ffff
	v_and_b32_e32 v5, 0xff00000, v3
	v_lshrrev_b32_e32 v3, 20, v3
	s_delay_alu instid0(VALU_DEP_2) | instskip(NEXT) | instid1(VALU_DEP_2)
	v_cmp_ne_u32_e32 vcc_lo, 0x7f00000, v5
	v_cndmask_b32_e32 v3, 0x7e, v3, vcc_lo
; %bb.789:
	s_and_not1_saveexec_b32 s26, s26
; %bb.790:
	v_add_f32_e64 v3, 0x46800000, |v2|
; %bb.791:
	s_or_b32 exec_lo, exec_lo, s26
                                        ; implicit-def: $vgpr5
.LBB9_792:
	s_and_not1_saveexec_b32 s25, s25
; %bb.793:
	v_mov_b32_e32 v3, 0x7f
	v_cmp_lt_u32_e32 vcc_lo, 0x7f800000, v5
	s_delay_alu instid0(VALU_DEP_2)
	v_cndmask_b32_e32 v3, 0x7e, v3, vcc_lo
; %bb.794:
	s_or_b32 exec_lo, exec_lo, s25
	v_lshrrev_b32_e32 v2, 24, v2
	s_delay_alu instid0(VALU_DEP_1)
	v_and_or_b32 v2, 0x80, v2, v3
	global_store_b8 v[6:7], v2, off
.LBB9_795:
	s_mov_b32 s25, 0
.LBB9_796:
	s_delay_alu instid0(SALU_CYCLE_1)
	s_and_not1_b32 vcc_lo, exec_lo, s25
	s_cbranch_vccnz .LBB9_806
; %bb.797:
	s_wait_xcnt 0x0
	s_delay_alu instid0(VALU_DEP_3) | instskip(SKIP_1) | instid1(VALU_DEP_1)
	v_cvt_f32_f64_e32 v2, v[0:1]
	s_mov_b32 s25, exec_lo
                                        ; implicit-def: $vgpr3
	v_and_b32_e32 v5, 0x7fffffff, v2
	s_delay_alu instid0(VALU_DEP_1)
	v_cmpx_gt_u32_e32 0x47800000, v5
	s_xor_b32 s25, exec_lo, s25
	s_cbranch_execz .LBB9_803
; %bb.798:
	s_mov_b32 s26, exec_lo
                                        ; implicit-def: $vgpr3
	v_cmpx_lt_u32_e32 0x387fffff, v5
	s_xor_b32 s26, exec_lo, s26
; %bb.799:
	v_bfe_u32 v3, v2, 21, 1
	s_delay_alu instid0(VALU_DEP_1) | instskip(NEXT) | instid1(VALU_DEP_1)
	v_add3_u32 v3, v2, v3, 0x80fffff
	v_lshrrev_b32_e32 v3, 21, v3
; %bb.800:
	s_and_not1_saveexec_b32 s26, s26
; %bb.801:
	v_add_f32_e64 v3, 0x43000000, |v2|
; %bb.802:
	s_or_b32 exec_lo, exec_lo, s26
                                        ; implicit-def: $vgpr5
.LBB9_803:
	s_and_not1_saveexec_b32 s25, s25
; %bb.804:
	v_mov_b32_e32 v3, 0x7f
	v_cmp_lt_u32_e32 vcc_lo, 0x7f800000, v5
	s_delay_alu instid0(VALU_DEP_2)
	v_cndmask_b32_e32 v3, 0x7c, v3, vcc_lo
; %bb.805:
	s_or_b32 exec_lo, exec_lo, s25
	v_lshrrev_b32_e32 v2, 24, v2
	s_delay_alu instid0(VALU_DEP_1)
	v_and_or_b32 v2, 0x80, v2, v3
	global_store_b8 v[6:7], v2, off
.LBB9_806:
	s_mov_b32 s26, 0
	s_mov_b32 s25, -1
.LBB9_807:
	s_and_not1_b32 vcc_lo, exec_lo, s26
	s_cbranch_vccnz .LBB9_815
; %bb.808:
	s_cmp_gt_i32 s24, 14
	s_mov_b32 s26, -1
	s_cbranch_scc0 .LBB9_812
; %bb.809:
	s_cmp_eq_u32 s24, 15
	s_mov_b32 s0, -1
	s_cbranch_scc0 .LBB9_811
; %bb.810:
	s_wait_xcnt 0x0
	s_delay_alu instid0(VALU_DEP_3) | instskip(SKIP_2) | instid1(VALU_DEP_1)
	v_cvt_f32_f64_e32 v2, v[0:1]
	s_mov_b32 s25, -1
	s_mov_b32 s0, 0
	v_bfe_u32 v3, v2, 16, 1
	v_cmp_o_f32_e32 vcc_lo, v2, v2
	s_delay_alu instid0(VALU_DEP_2) | instskip(NEXT) | instid1(VALU_DEP_1)
	v_add3_u32 v3, v2, v3, 0x7fff
	v_lshrrev_b32_e32 v3, 16, v3
	s_delay_alu instid0(VALU_DEP_1)
	v_cndmask_b32_e32 v2, 0x7fc0, v3, vcc_lo
	global_store_b16 v[6:7], v2, off
.LBB9_811:
	s_mov_b32 s26, 0
.LBB9_812:
	s_delay_alu instid0(SALU_CYCLE_1)
	s_and_b32 vcc_lo, exec_lo, s26
	s_cbranch_vccz .LBB9_815
; %bb.813:
	s_cmp_eq_u32 s24, 11
	s_mov_b32 s0, -1
	s_cbranch_scc0 .LBB9_815
; %bb.814:
	s_delay_alu instid0(VALU_DEP_3)
	v_cmp_neq_f64_e32 vcc_lo, 0, v[0:1]
	s_mov_b32 s25, -1
	s_mov_b32 s0, 0
	s_wait_xcnt 0x0
	v_cndmask_b32_e64 v2, 0, 1, vcc_lo
	global_store_b8 v[6:7], v2, off
.LBB9_815:
	s_mov_b32 s24, 0
.LBB9_816:
	s_delay_alu instid0(SALU_CYCLE_1)
	s_and_b32 vcc_lo, exec_lo, s24
	s_cbranch_vccz .LBB9_855
; %bb.817:
	s_and_b32 s23, 0xffff, s23
	s_mov_b32 s24, -1
	s_cmp_lt_i32 s23, 5
	s_cbranch_scc1 .LBB9_838
; %bb.818:
	s_cmp_lt_i32 s23, 8
	s_cbranch_scc1 .LBB9_828
; %bb.819:
	;; [unrolled: 3-line block ×3, first 2 shown]
	s_cmp_gt_i32 s23, 9
	s_cbranch_scc0 .LBB9_822
; %bb.821:
	s_wait_xcnt 0x0
	v_mov_b32_e32 v2, 0
	s_mov_b32 s24, 0
	s_delay_alu instid0(VALU_DEP_1)
	v_mov_b32_e32 v3, v2
	global_store_b128 v[6:7], v[0:3], off
.LBB9_822:
	s_and_not1_b32 vcc_lo, exec_lo, s24
	s_cbranch_vccnz .LBB9_824
; %bb.823:
	s_wait_xcnt 0x0
	s_delay_alu instid0(VALU_DEP_3)
	v_cvt_f32_f64_e32 v2, v[0:1]
	v_mov_b32_e32 v3, 0
	global_store_b64 v[6:7], v[2:3], off
.LBB9_824:
	s_mov_b32 s24, 0
.LBB9_825:
	s_delay_alu instid0(SALU_CYCLE_1)
	s_and_not1_b32 vcc_lo, exec_lo, s24
	s_cbranch_vccnz .LBB9_827
; %bb.826:
	s_wait_xcnt 0x0
	s_delay_alu instid0(VALU_DEP_3) | instskip(SKIP_2) | instid1(VALU_DEP_3)
	v_and_or_b32 v2, 0x1ff, v1, v0
	v_lshrrev_b32_e32 v3, 8, v1
	v_bfe_u32 v5, v1, 20, 11
	v_cmp_ne_u32_e32 vcc_lo, 0, v2
	s_delay_alu instid0(VALU_DEP_2) | instskip(SKIP_2) | instid1(VALU_DEP_1)
	v_sub_nc_u32_e32 v8, 0x3f1, v5
	v_add_nc_u32_e32 v5, 0xfffffc10, v5
	v_cndmask_b32_e64 v2, 0, 1, vcc_lo
	v_and_or_b32 v2, 0xffe, v3, v2
	s_delay_alu instid0(VALU_DEP_4) | instskip(NEXT) | instid1(VALU_DEP_2)
	v_med3_i32 v3, v8, 0, 13
	v_or_b32_e32 v8, 0x1000, v2
	s_delay_alu instid0(VALU_DEP_1) | instskip(NEXT) | instid1(VALU_DEP_1)
	v_lshrrev_b32_e32 v9, v3, v8
	v_lshlrev_b32_e32 v3, v3, v9
	s_delay_alu instid0(VALU_DEP_1) | instskip(SKIP_3) | instid1(VALU_DEP_2)
	v_cmp_ne_u32_e32 vcc_lo, v3, v8
	v_lshl_or_b32 v8, v5, 12, v2
	v_cndmask_b32_e64 v3, 0, 1, vcc_lo
	v_cmp_gt_i32_e32 vcc_lo, 1, v5
	v_or_b32_e32 v3, v9, v3
	s_delay_alu instid0(VALU_DEP_1) | instskip(NEXT) | instid1(VALU_DEP_1)
	v_cndmask_b32_e32 v3, v8, v3, vcc_lo
	v_dual_lshrrev_b32 v3, 2, v3 :: v_dual_bitop2_b32 v8, 7, v3 bitop3:0x40
	s_delay_alu instid0(VALU_DEP_1) | instskip(SKIP_4) | instid1(VALU_DEP_2)
	v_cmp_lt_i32_e32 vcc_lo, 5, v8
	v_cndmask_b32_e64 v9, 0, 1, vcc_lo
	v_cmp_eq_u32_e32 vcc_lo, 3, v8
	v_cndmask_b32_e64 v8, 0, 1, vcc_lo
	v_cmp_ne_u32_e32 vcc_lo, 0, v2
	v_or_b32_e32 v8, v8, v9
	v_mov_b32_e32 v9, 0x7e00
	s_delay_alu instid0(VALU_DEP_1) | instskip(SKIP_1) | instid1(VALU_DEP_2)
	v_dual_cndmask_b32 v2, 0x7c00, v9 :: v_dual_add_nc_u32 v3, v3, v8
	v_cmp_gt_i32_e32 vcc_lo, 31, v5
	v_dual_cndmask_b32 v3, 0x7c00, v3 :: v_dual_lshrrev_b32 v8, 16, v1
	v_cmp_eq_u32_e32 vcc_lo, 0x40f, v5
	s_delay_alu instid0(VALU_DEP_2) | instskip(NEXT) | instid1(VALU_DEP_3)
	v_cndmask_b32_e32 v2, v3, v2, vcc_lo
	v_and_b32_e32 v3, 0x8000, v8
	s_delay_alu instid0(VALU_DEP_1)
	v_bitop3_b32 v2, v3, 0xffff, v2 bitop3:0xc8
	global_store_b32 v[6:7], v2, off
.LBB9_827:
	s_mov_b32 s24, 0
.LBB9_828:
	s_delay_alu instid0(SALU_CYCLE_1)
	s_and_not1_b32 vcc_lo, exec_lo, s24
	s_cbranch_vccnz .LBB9_837
; %bb.829:
	s_cmp_lt_i32 s23, 6
	s_mov_b32 s24, -1
	s_cbranch_scc1 .LBB9_835
; %bb.830:
	s_cmp_gt_i32 s23, 6
	s_cbranch_scc0 .LBB9_832
; %bb.831:
	s_mov_b32 s24, 0
	global_store_b64 v[6:7], v[0:1], off
.LBB9_832:
	s_and_not1_b32 vcc_lo, exec_lo, s24
	s_cbranch_vccnz .LBB9_834
; %bb.833:
	s_wait_xcnt 0x0
	s_delay_alu instid0(VALU_DEP_3)
	v_cvt_f32_f64_e32 v2, v[0:1]
	global_store_b32 v[6:7], v2, off
.LBB9_834:
	s_mov_b32 s24, 0
.LBB9_835:
	s_delay_alu instid0(SALU_CYCLE_1)
	s_and_not1_b32 vcc_lo, exec_lo, s24
	s_cbranch_vccnz .LBB9_837
; %bb.836:
	s_wait_xcnt 0x0
	s_delay_alu instid0(VALU_DEP_3) | instskip(SKIP_2) | instid1(VALU_DEP_3)
	v_and_or_b32 v2, 0x1ff, v1, v0
	v_lshrrev_b32_e32 v3, 8, v1
	v_bfe_u32 v5, v1, 20, 11
	v_cmp_ne_u32_e32 vcc_lo, 0, v2
	s_delay_alu instid0(VALU_DEP_2) | instskip(SKIP_2) | instid1(VALU_DEP_1)
	v_sub_nc_u32_e32 v8, 0x3f1, v5
	v_add_nc_u32_e32 v5, 0xfffffc10, v5
	v_cndmask_b32_e64 v2, 0, 1, vcc_lo
	v_and_or_b32 v2, 0xffe, v3, v2
	s_delay_alu instid0(VALU_DEP_4) | instskip(NEXT) | instid1(VALU_DEP_2)
	v_med3_i32 v3, v8, 0, 13
	v_or_b32_e32 v8, 0x1000, v2
	s_delay_alu instid0(VALU_DEP_1) | instskip(NEXT) | instid1(VALU_DEP_1)
	v_lshrrev_b32_e32 v9, v3, v8
	v_lshlrev_b32_e32 v3, v3, v9
	s_delay_alu instid0(VALU_DEP_1) | instskip(SKIP_3) | instid1(VALU_DEP_2)
	v_cmp_ne_u32_e32 vcc_lo, v3, v8
	v_lshl_or_b32 v8, v5, 12, v2
	v_cndmask_b32_e64 v3, 0, 1, vcc_lo
	v_cmp_gt_i32_e32 vcc_lo, 1, v5
	v_or_b32_e32 v3, v9, v3
	s_delay_alu instid0(VALU_DEP_1) | instskip(NEXT) | instid1(VALU_DEP_1)
	v_cndmask_b32_e32 v3, v8, v3, vcc_lo
	v_dual_lshrrev_b32 v3, 2, v3 :: v_dual_bitop2_b32 v8, 7, v3 bitop3:0x40
	s_delay_alu instid0(VALU_DEP_1) | instskip(SKIP_4) | instid1(VALU_DEP_2)
	v_cmp_lt_i32_e32 vcc_lo, 5, v8
	v_cndmask_b32_e64 v9, 0, 1, vcc_lo
	v_cmp_eq_u32_e32 vcc_lo, 3, v8
	v_cndmask_b32_e64 v8, 0, 1, vcc_lo
	v_cmp_ne_u32_e32 vcc_lo, 0, v2
	v_or_b32_e32 v8, v8, v9
	v_mov_b32_e32 v9, 0x7e00
	s_delay_alu instid0(VALU_DEP_1) | instskip(SKIP_1) | instid1(VALU_DEP_2)
	v_dual_cndmask_b32 v2, 0x7c00, v9 :: v_dual_add_nc_u32 v3, v3, v8
	v_cmp_gt_i32_e32 vcc_lo, 31, v5
	v_cndmask_b32_e32 v3, 0x7c00, v3, vcc_lo
	v_cmp_eq_u32_e32 vcc_lo, 0x40f, v5
	s_delay_alu instid0(VALU_DEP_2) | instskip(NEXT) | instid1(VALU_DEP_1)
	v_dual_cndmask_b32 v2, v3, v2 :: v_dual_lshrrev_b32 v3, 16, v1
	v_and_or_b32 v2, 0x8000, v3, v2
	global_store_b16 v[6:7], v2, off
.LBB9_837:
	s_mov_b32 s24, 0
.LBB9_838:
	s_delay_alu instid0(SALU_CYCLE_1)
	s_and_not1_b32 vcc_lo, exec_lo, s24
	s_cbranch_vccnz .LBB9_854
; %bb.839:
	s_cmp_lt_i32 s23, 2
	s_mov_b32 s24, -1
	s_cbranch_scc1 .LBB9_849
; %bb.840:
	s_cmp_lt_i32 s23, 3
	s_cbranch_scc1 .LBB9_846
; %bb.841:
	s_cmp_gt_i32 s23, 3
	s_cbranch_scc0 .LBB9_843
; %bb.842:
	s_wait_xcnt 0x0
	s_delay_alu instid0(VALU_DEP_3) | instskip(SKIP_1) | instid1(VALU_DEP_1)
	v_trunc_f64_e32 v[2:3], v[0:1]
	s_mov_b32 s24, 0
	v_ldexp_f64 v[8:9], v[2:3], 0xffffffe0
	s_delay_alu instid0(VALU_DEP_1) | instskip(NEXT) | instid1(VALU_DEP_1)
	v_floor_f64_e32 v[8:9], v[8:9]
	v_fmamk_f64 v[2:3], v[8:9], 0xc1f00000, v[2:3]
	v_cvt_i32_f64_e32 v9, v[8:9]
	s_delay_alu instid0(VALU_DEP_2)
	v_cvt_u32_f64_e32 v8, v[2:3]
	global_store_b64 v[6:7], v[8:9], off
.LBB9_843:
	s_and_not1_b32 vcc_lo, exec_lo, s24
	s_cbranch_vccnz .LBB9_845
; %bb.844:
	s_wait_xcnt 0x0
	s_delay_alu instid0(VALU_DEP_3)
	v_cvt_i32_f64_e32 v2, v[0:1]
	global_store_b32 v[6:7], v2, off
.LBB9_845:
	s_mov_b32 s24, 0
.LBB9_846:
	s_delay_alu instid0(SALU_CYCLE_1)
	s_and_not1_b32 vcc_lo, exec_lo, s24
	s_cbranch_vccnz .LBB9_848
; %bb.847:
	s_wait_xcnt 0x0
	s_delay_alu instid0(VALU_DEP_3)
	v_cvt_i32_f64_e32 v2, v[0:1]
	global_store_b16 v[6:7], v2, off
.LBB9_848:
	s_mov_b32 s24, 0
.LBB9_849:
	s_delay_alu instid0(SALU_CYCLE_1)
	s_and_not1_b32 vcc_lo, exec_lo, s24
	s_cbranch_vccnz .LBB9_854
; %bb.850:
	s_cmp_gt_i32 s23, 0
	s_mov_b32 s23, -1
	s_cbranch_scc0 .LBB9_852
; %bb.851:
	s_wait_xcnt 0x0
	s_delay_alu instid0(VALU_DEP_3)
	v_cvt_i32_f64_e32 v2, v[0:1]
	s_mov_b32 s23, 0
	global_store_b8 v[6:7], v2, off
.LBB9_852:
	s_and_not1_b32 vcc_lo, exec_lo, s23
	s_cbranch_vccnz .LBB9_854
; %bb.853:
	s_wait_xcnt 0x0
	s_delay_alu instid0(VALU_DEP_3) | instskip(NEXT) | instid1(VALU_DEP_1)
	v_trunc_f64_e32 v[0:1], v[0:1]
	v_ldexp_f64 v[2:3], v[0:1], 0xffffffe0
	s_delay_alu instid0(VALU_DEP_1) | instskip(NEXT) | instid1(VALU_DEP_1)
	v_floor_f64_e32 v[2:3], v[2:3]
	v_fmamk_f64 v[0:1], v[2:3], 0xc1f00000, v[0:1]
	s_delay_alu instid0(VALU_DEP_1)
	v_cvt_u32_f64_e32 v0, v[0:1]
	global_store_b8 v[6:7], v0, off
.LBB9_854:
	s_mov_b32 s25, -1
.LBB9_855:
	s_delay_alu instid0(SALU_CYCLE_1)
	s_and_not1_b32 vcc_lo, exec_lo, s25
	s_cbranch_vccnz .LBB9_857
; %bb.856:
	v_add_nc_u32_e32 v4, 0x80, v4
	s_mov_b32 s23, -1
	s_branch .LBB9_859
.LBB9_857:
	s_mov_b32 s23, 0
.LBB9_858:
                                        ; implicit-def: $vgpr4
.LBB9_859:
	s_and_not1_b32 s24, s43, exec_lo
	s_and_b32 s0, s0, exec_lo
	s_and_not1_b32 s25, s42, exec_lo
	s_and_b32 s22, s22, exec_lo
	s_or_b32 s26, s24, s0
	s_or_b32 s0, s25, s22
	s_or_not1_b32 s25, s23, exec_lo
.LBB9_860:
	s_wait_xcnt 0x0
	s_or_b32 exec_lo, exec_lo, s45
	s_mov_b32 s23, 0
	s_mov_b32 s22, 0
	;; [unrolled: 1-line block ×3, first 2 shown]
                                        ; implicit-def: $vgpr0_vgpr1
                                        ; implicit-def: $vgpr2
                                        ; implicit-def: $vgpr6_vgpr7
	s_and_saveexec_b32 s27, s25
	s_cbranch_execz .LBB9_962
; %bb.861:
	v_cmp_gt_i32_e32 vcc_lo, s36, v4
	s_mov_b32 s25, s0
                                        ; implicit-def: $vgpr0_vgpr1
                                        ; implicit-def: $vgpr2
                                        ; implicit-def: $vgpr6_vgpr7
	s_and_saveexec_b32 s36, vcc_lo
	s_cbranch_execz .LBB9_961
; %bb.862:
	s_and_not1_b32 vcc_lo, exec_lo, s31
	s_cbranch_vccnz .LBB9_868
; %bb.863:
	s_and_not1_b32 vcc_lo, exec_lo, s38
	s_cbranch_vccnz .LBB9_869
; %bb.864:
	s_add_co_i32 s37, s37, 1
	s_cmp_eq_u32 s29, 2
	s_cbranch_scc1 .LBB9_870
; %bb.865:
	v_dual_mov_b32 v2, 0 :: v_dual_mov_b32 v0, 0
	v_mov_b32_e32 v1, v4
	s_and_b32 s22, s37, 28
	s_mov_b64 s[24:25], s[2:3]
.LBB9_866:                              ; =>This Inner Loop Header: Depth=1
	s_clause 0x1
	s_load_b256 s[48:55], s[24:25], 0x4
	s_load_b128 s[64:67], s[24:25], 0x24
	s_load_b256 s[56:63], s[20:21], 0x0
	s_add_co_i32 s23, s23, 4
	s_wait_xcnt 0x0
	s_add_nc_u64 s[24:25], s[24:25], 48
	s_cmp_eq_u32 s22, s23
	s_add_nc_u64 s[20:21], s[20:21], 32
	s_wait_kmcnt 0x0
	v_mul_hi_u32 v3, s49, v1
	s_delay_alu instid0(VALU_DEP_1) | instskip(NEXT) | instid1(VALU_DEP_1)
	v_add_nc_u32_e32 v3, v1, v3
	v_lshrrev_b32_e32 v3, s50, v3
	s_delay_alu instid0(VALU_DEP_1) | instskip(NEXT) | instid1(VALU_DEP_1)
	v_mul_hi_u32 v5, s52, v3
	v_add_nc_u32_e32 v5, v3, v5
	s_delay_alu instid0(VALU_DEP_1) | instskip(SKIP_1) | instid1(VALU_DEP_1)
	v_lshrrev_b32_e32 v5, s53, v5
	s_wait_loadcnt 0x0
	v_mul_hi_u32 v6, s55, v5
	s_delay_alu instid0(VALU_DEP_1) | instskip(SKIP_1) | instid1(VALU_DEP_1)
	v_add_nc_u32_e32 v6, v5, v6
	v_mul_lo_u32 v7, v3, s48
	v_sub_nc_u32_e32 v1, v1, v7
	v_mul_lo_u32 v7, v5, s51
	s_delay_alu instid0(VALU_DEP_4) | instskip(NEXT) | instid1(VALU_DEP_3)
	v_lshrrev_b32_e32 v6, s64, v6
	v_mad_u32 v0, v1, s57, v0
	v_mad_u32 v1, v1, s56, v2
	s_delay_alu instid0(VALU_DEP_4) | instskip(NEXT) | instid1(VALU_DEP_4)
	v_sub_nc_u32_e32 v2, v3, v7
	v_mul_hi_u32 v8, s66, v6
	v_mul_lo_u32 v3, v6, s54
	s_delay_alu instid0(VALU_DEP_3) | instskip(SKIP_1) | instid1(VALU_DEP_3)
	v_mad_u32 v0, v2, s59, v0
	v_mad_u32 v2, v2, s58, v1
	v_dual_add_nc_u32 v7, v6, v8 :: v_dual_sub_nc_u32 v3, v5, v3
	s_delay_alu instid0(VALU_DEP_1) | instskip(NEXT) | instid1(VALU_DEP_2)
	v_lshrrev_b32_e32 v1, s67, v7
	v_mad_u32 v0, v3, s61, v0
	s_delay_alu instid0(VALU_DEP_4) | instskip(NEXT) | instid1(VALU_DEP_3)
	v_mad_u32 v2, v3, s60, v2
	v_mul_lo_u32 v5, v1, s65
	s_delay_alu instid0(VALU_DEP_1) | instskip(NEXT) | instid1(VALU_DEP_1)
	v_sub_nc_u32_e32 v3, v6, v5
	v_mad_u32 v0, v3, s63, v0
	s_delay_alu instid0(VALU_DEP_4)
	v_mad_u32 v2, v3, s62, v2
	s_cbranch_scc0 .LBB9_866
; %bb.867:
	s_delay_alu instid0(VALU_DEP_2)
	v_mov_b32_e32 v3, v0
	s_branch .LBB9_871
.LBB9_868:
	s_mov_b32 s20, -1
                                        ; implicit-def: $vgpr0
                                        ; implicit-def: $vgpr2
	s_branch .LBB9_876
.LBB9_869:
	v_dual_mov_b32 v0, 0 :: v_dual_mov_b32 v2, 0
	s_branch .LBB9_875
.LBB9_870:
	v_mov_b64_e32 v[2:3], 0
	v_mov_b32_e32 v1, v4
                                        ; implicit-def: $vgpr0
.LBB9_871:
	s_and_b32 s24, s37, 3
	s_mov_b32 s23, 0
	s_cmp_eq_u32 s24, 0
	s_cbranch_scc1 .LBB9_875
; %bb.872:
	s_lshl_b32 s20, s22, 3
	s_mov_b32 s21, s23
	s_mul_u64 s[22:23], s[22:23], 12
	s_add_nc_u64 s[20:21], s[2:3], s[20:21]
	s_add_nc_u64 s[22:23], s[2:3], s[22:23]
	;; [unrolled: 1-line block ×3, first 2 shown]
.LBB9_873:                              ; =>This Inner Loop Header: Depth=1
	s_load_b96 s[48:50], s[22:23], 0x4
	s_load_b64 s[46:47], s[20:21], 0x0
	s_add_co_i32 s24, s24, -1
	s_wait_xcnt 0x0
	s_add_nc_u64 s[22:23], s[22:23], 12
	s_cmp_lg_u32 s24, 0
	s_add_nc_u64 s[20:21], s[20:21], 8
	s_wait_kmcnt 0x0
	v_mul_hi_u32 v0, s49, v1
	s_delay_alu instid0(VALU_DEP_1) | instskip(NEXT) | instid1(VALU_DEP_1)
	v_add_nc_u32_e32 v0, v1, v0
	v_lshrrev_b32_e32 v0, s50, v0
	s_delay_alu instid0(VALU_DEP_1) | instskip(NEXT) | instid1(VALU_DEP_1)
	v_mul_lo_u32 v5, v0, s48
	v_sub_nc_u32_e32 v1, v1, v5
	s_delay_alu instid0(VALU_DEP_1)
	v_mad_u32 v3, v1, s47, v3
	v_mad_u32 v2, v1, s46, v2
	v_mov_b32_e32 v1, v0
	s_cbranch_scc1 .LBB9_873
; %bb.874:
	s_delay_alu instid0(VALU_DEP_3)
	v_mov_b32_e32 v0, v3
.LBB9_875:
	s_mov_b32 s20, 0
.LBB9_876:
	s_delay_alu instid0(SALU_CYCLE_1)
	s_and_not1_b32 vcc_lo, exec_lo, s20
	s_cbranch_vccnz .LBB9_879
; %bb.877:
	v_mov_b32_e32 v5, 0
	s_and_not1_b32 vcc_lo, exec_lo, s35
	s_delay_alu instid0(VALU_DEP_1) | instskip(NEXT) | instid1(VALU_DEP_1)
	v_mul_u64_e32 v[0:1], s[16:17], v[4:5]
	v_add_nc_u32_e32 v0, v4, v1
	s_wait_loadcnt 0x0
	s_delay_alu instid0(VALU_DEP_1) | instskip(NEXT) | instid1(VALU_DEP_1)
	v_lshrrev_b32_e32 v6, s14, v0
	v_mul_lo_u32 v0, v6, s12
	s_delay_alu instid0(VALU_DEP_1) | instskip(NEXT) | instid1(VALU_DEP_1)
	v_sub_nc_u32_e32 v1, v4, v0
	v_mul_lo_u32 v0, v1, s9
	v_mul_lo_u32 v2, v1, s8
	s_cbranch_vccnz .LBB9_879
; %bb.878:
	v_mov_b32_e32 v7, v5
	s_delay_alu instid0(VALU_DEP_1) | instskip(NEXT) | instid1(VALU_DEP_1)
	v_mul_u64_e32 v[4:5], s[18:19], v[6:7]
	v_add_nc_u32_e32 v1, v6, v5
	s_delay_alu instid0(VALU_DEP_1) | instskip(NEXT) | instid1(VALU_DEP_1)
	v_lshrrev_b32_e32 v1, s1, v1
	v_mul_lo_u32 v1, v1, s15
	s_delay_alu instid0(VALU_DEP_1) | instskip(NEXT) | instid1(VALU_DEP_1)
	v_sub_nc_u32_e32 v1, v6, v1
	v_mad_u32 v2, v1, s10, v2
	v_mad_u32 v0, v1, s11, v0
.LBB9_879:
	v_mov_b32_e32 v1, 0
	s_and_b32 s1, 0xffff, s13
	s_delay_alu instid0(SALU_CYCLE_1) | instskip(NEXT) | instid1(VALU_DEP_1)
	s_cmp_lt_i32 s1, 11
	v_add_nc_u64_e32 v[0:1], s[6:7], v[0:1]
	s_cbranch_scc1 .LBB9_886
; %bb.880:
	s_cmp_gt_i32 s1, 25
	s_mov_b32 s7, 0
	s_cbranch_scc0 .LBB9_887
; %bb.881:
	s_cmp_gt_i32 s1, 28
	s_cbranch_scc0 .LBB9_888
; %bb.882:
	s_cmp_gt_i32 s1, 43
	;; [unrolled: 3-line block ×3, first 2 shown]
	s_cbranch_scc0 .LBB9_892
; %bb.884:
	s_cmp_eq_u32 s1, 46
	s_mov_b32 s9, 0
	s_cbranch_scc0 .LBB9_895
; %bb.885:
	global_load_b32 v3, v[0:1], off
	s_mov_b32 s6, 0
	s_mov_b32 s8, -1
	s_wait_loadcnt 0x0
	v_lshlrev_b32_e32 v3, 16, v3
	s_delay_alu instid0(VALU_DEP_1)
	v_cvt_f64_f32_e32 v[6:7], v3
	s_branch .LBB9_897
.LBB9_886:
	s_mov_b32 s1, -1
	s_mov_b32 s8, 0
	s_mov_b32 s7, 0
	s_mov_b32 s6, s0
                                        ; implicit-def: $vgpr6_vgpr7
	s_branch .LBB9_960
.LBB9_887:
	s_mov_b32 s9, -1
	s_mov_b32 s8, 0
	s_mov_b32 s6, s0
                                        ; implicit-def: $vgpr6_vgpr7
	s_branch .LBB9_926
.LBB9_888:
	s_mov_b32 s9, -1
	s_mov_b32 s8, 0
	s_mov_b32 s6, s0
                                        ; implicit-def: $vgpr6_vgpr7
	s_branch .LBB9_907
.LBB9_889:
	s_mov_b32 s9, -1
	s_mov_b32 s8, 0
	s_mov_b32 s6, s0
                                        ; implicit-def: $vgpr6_vgpr7
	s_branch .LBB9_902
.LBB9_890:
	s_and_not1_saveexec_b32 s27, s27
	s_cbranch_execz .LBB9_768
.LBB9_891:
	v_add_f32_e64 v3, 0x46000000, |v2|
	s_and_not1_b32 s26, s26, exec_lo
	s_delay_alu instid0(VALU_DEP_1) | instskip(NEXT) | instid1(VALU_DEP_1)
	v_and_b32_e32 v3, 0xff, v3
	v_cmp_ne_u32_e32 vcc_lo, 0, v3
	s_and_b32 s46, vcc_lo, exec_lo
	s_delay_alu instid0(SALU_CYCLE_1)
	s_or_b32 s26, s26, s46
	s_or_b32 exec_lo, exec_lo, s27
	v_mov_b32_e32 v5, 0
	s_and_saveexec_b32 s27, s26
	s_cbranch_execnz .LBB9_769
	s_branch .LBB9_770
.LBB9_892:
	s_mov_b32 s9, -1
	s_mov_b32 s8, 0
	s_mov_b32 s6, s0
	s_branch .LBB9_896
.LBB9_893:
	s_and_not1_saveexec_b32 s27, s27
	s_cbranch_execz .LBB9_781
.LBB9_894:
	v_add_f32_e64 v3, 0x42800000, |v2|
	s_and_not1_b32 s26, s26, exec_lo
	s_delay_alu instid0(VALU_DEP_1) | instskip(NEXT) | instid1(VALU_DEP_1)
	v_and_b32_e32 v3, 0xff, v3
	v_cmp_ne_u32_e32 vcc_lo, 0, v3
	s_and_b32 s46, vcc_lo, exec_lo
	s_delay_alu instid0(SALU_CYCLE_1)
	s_or_b32 s26, s26, s46
	s_or_b32 exec_lo, exec_lo, s27
	v_mov_b32_e32 v5, 0
	s_and_saveexec_b32 s27, s26
	s_cbranch_execnz .LBB9_782
	s_branch .LBB9_783
.LBB9_895:
	s_mov_b32 s6, -1
	s_mov_b32 s8, 0
.LBB9_896:
                                        ; implicit-def: $vgpr6_vgpr7
.LBB9_897:
	s_and_b32 vcc_lo, exec_lo, s9
	s_cbranch_vccz .LBB9_901
; %bb.898:
	s_cmp_eq_u32 s1, 44
	s_cbranch_scc0 .LBB9_900
; %bb.899:
	global_load_u8 v3, v[0:1], off
	s_mov_b32 s6, 0
	s_mov_b32 s8, -1
	s_wait_loadcnt 0x0
	v_cmp_ne_u32_e32 vcc_lo, 0xff, v3
	v_lshlrev_b32_e32 v4, 23, v3
	s_delay_alu instid0(VALU_DEP_1) | instskip(NEXT) | instid1(VALU_DEP_1)
	v_cvt_f64_f32_e32 v[4:5], v4
	v_cndmask_b32_e32 v4, 0x20000000, v4, vcc_lo
	s_delay_alu instid0(VALU_DEP_2) | instskip(SKIP_1) | instid1(VALU_DEP_2)
	v_cndmask_b32_e32 v5, 0x7ff80000, v5, vcc_lo
	v_cmp_ne_u32_e32 vcc_lo, 0, v3
	v_cndmask_b32_e32 v7, 0x38000000, v5, vcc_lo
	s_delay_alu instid0(VALU_DEP_4)
	v_cndmask_b32_e32 v6, 0, v4, vcc_lo
	s_branch .LBB9_901
.LBB9_900:
	s_mov_b32 s6, -1
                                        ; implicit-def: $vgpr6_vgpr7
.LBB9_901:
	s_mov_b32 s9, 0
.LBB9_902:
	s_delay_alu instid0(SALU_CYCLE_1)
	s_and_b32 vcc_lo, exec_lo, s9
	s_cbranch_vccz .LBB9_906
; %bb.903:
	s_cmp_eq_u32 s1, 29
	s_cbranch_scc0 .LBB9_905
; %bb.904:
	global_load_b64 v[4:5], v[0:1], off
	s_mov_b32 s6, 0
	s_mov_b32 s8, -1
	s_mov_b32 s9, 0
	s_wait_loadcnt 0x0
	v_cvt_f64_u32_e32 v[6:7], v5
	v_cvt_f64_u32_e32 v[4:5], v4
	s_delay_alu instid0(VALU_DEP_2) | instskip(NEXT) | instid1(VALU_DEP_1)
	v_ldexp_f64 v[6:7], v[6:7], 32
	v_add_f64_e32 v[6:7], v[6:7], v[4:5]
	s_branch .LBB9_907
.LBB9_905:
	s_mov_b32 s6, -1
                                        ; implicit-def: $vgpr6_vgpr7
.LBB9_906:
	s_mov_b32 s9, 0
.LBB9_907:
	s_delay_alu instid0(SALU_CYCLE_1)
	s_and_b32 vcc_lo, exec_lo, s9
	s_cbranch_vccz .LBB9_925
; %bb.908:
	s_cmp_lt_i32 s1, 27
	s_cbranch_scc1 .LBB9_911
; %bb.909:
	s_cmp_gt_i32 s1, 27
	s_cbranch_scc0 .LBB9_912
; %bb.910:
	global_load_b32 v3, v[0:1], off
	s_mov_b32 s8, 0
	s_wait_loadcnt 0x0
	v_cvt_f64_u32_e32 v[6:7], v3
	s_branch .LBB9_913
.LBB9_911:
	s_mov_b32 s8, -1
                                        ; implicit-def: $vgpr6_vgpr7
	s_branch .LBB9_916
.LBB9_912:
	s_mov_b32 s8, -1
                                        ; implicit-def: $vgpr6_vgpr7
.LBB9_913:
	s_delay_alu instid0(SALU_CYCLE_1)
	s_and_not1_b32 vcc_lo, exec_lo, s8
	s_cbranch_vccnz .LBB9_915
; %bb.914:
	global_load_u16 v3, v[0:1], off
	s_wait_loadcnt 0x0
	v_cvt_f64_u32_e32 v[6:7], v3
.LBB9_915:
	s_mov_b32 s8, 0
.LBB9_916:
	s_delay_alu instid0(SALU_CYCLE_1)
	s_and_not1_b32 vcc_lo, exec_lo, s8
	s_cbranch_vccnz .LBB9_924
; %bb.917:
	global_load_u8 v3, v[0:1], off
	s_mov_b32 s8, 0
	s_mov_b32 s9, exec_lo
	s_wait_loadcnt 0x0
	v_cmpx_lt_i16_e32 0x7f, v3
	s_xor_b32 s9, exec_lo, s9
	s_cbranch_execz .LBB9_938
; %bb.918:
	s_mov_b32 s8, -1
	s_mov_b32 s10, exec_lo
	v_cmpx_eq_u16_e32 0x80, v3
; %bb.919:
	s_xor_b32 s8, exec_lo, -1
; %bb.920:
	s_or_b32 exec_lo, exec_lo, s10
	s_delay_alu instid0(SALU_CYCLE_1)
	s_and_b32 s8, s8, exec_lo
	s_or_saveexec_b32 s9, s9
	v_mov_b64_e32 v[6:7], 0x7ff8000020000000
	s_xor_b32 exec_lo, exec_lo, s9
	s_cbranch_execnz .LBB9_939
.LBB9_921:
	s_or_b32 exec_lo, exec_lo, s9
	s_and_saveexec_b32 s9, s8
	s_cbranch_execz .LBB9_923
.LBB9_922:
	v_and_b32_e32 v4, 0xffff, v3
	s_delay_alu instid0(VALU_DEP_1) | instskip(SKIP_1) | instid1(VALU_DEP_2)
	v_and_b32_e32 v5, 7, v4
	v_bfe_u32 v8, v4, 3, 4
	v_clz_i32_u32_e32 v6, v5
	s_delay_alu instid0(VALU_DEP_2) | instskip(NEXT) | instid1(VALU_DEP_2)
	v_cmp_eq_u32_e32 vcc_lo, 0, v8
	v_min_u32_e32 v6, 32, v6
	s_delay_alu instid0(VALU_DEP_1) | instskip(NEXT) | instid1(VALU_DEP_1)
	v_subrev_nc_u32_e32 v7, 28, v6
	v_dual_lshlrev_b32 v4, v7, v4 :: v_dual_sub_nc_u32 v6, 29, v6
	s_delay_alu instid0(VALU_DEP_1) | instskip(NEXT) | instid1(VALU_DEP_1)
	v_dual_lshlrev_b32 v3, 24, v3 :: v_dual_bitop2_b32 v4, 7, v4 bitop3:0x40
	v_dual_cndmask_b32 v6, v8, v6, vcc_lo :: v_dual_cndmask_b32 v4, v5, v4, vcc_lo
	s_delay_alu instid0(VALU_DEP_2) | instskip(NEXT) | instid1(VALU_DEP_2)
	v_and_b32_e32 v3, 0x80000000, v3
	v_lshl_add_u32 v5, v6, 23, 0x3b800000
	s_delay_alu instid0(VALU_DEP_3) | instskip(NEXT) | instid1(VALU_DEP_1)
	v_lshlrev_b32_e32 v4, 20, v4
	v_or3_b32 v3, v3, v5, v4
	s_delay_alu instid0(VALU_DEP_1)
	v_cvt_f64_f32_e32 v[6:7], v3
.LBB9_923:
	s_or_b32 exec_lo, exec_lo, s9
.LBB9_924:
	s_mov_b32 s8, -1
.LBB9_925:
	s_mov_b32 s9, 0
.LBB9_926:
	s_delay_alu instid0(SALU_CYCLE_1)
	s_and_b32 vcc_lo, exec_lo, s9
	s_cbranch_vccz .LBB9_959
; %bb.927:
	s_cmp_gt_i32 s1, 22
	s_cbranch_scc0 .LBB9_937
; %bb.928:
	s_cmp_lt_i32 s1, 24
	s_cbranch_scc1 .LBB9_940
; %bb.929:
	s_cmp_gt_i32 s1, 24
	s_cbranch_scc0 .LBB9_941
; %bb.930:
	global_load_u8 v3, v[0:1], off
	s_mov_b32 s8, exec_lo
	s_wait_loadcnt 0x0
	v_cmpx_lt_i16_e32 0x7f, v3
	s_xor_b32 s8, exec_lo, s8
	s_cbranch_execz .LBB9_953
; %bb.931:
	s_mov_b32 s7, -1
	s_mov_b32 s9, exec_lo
	v_cmpx_eq_u16_e32 0x80, v3
; %bb.932:
	s_xor_b32 s7, exec_lo, -1
; %bb.933:
	s_or_b32 exec_lo, exec_lo, s9
	s_delay_alu instid0(SALU_CYCLE_1)
	s_and_b32 s7, s7, exec_lo
	s_or_saveexec_b32 s8, s8
	v_mov_b64_e32 v[6:7], 0x7ff8000020000000
	s_xor_b32 exec_lo, exec_lo, s8
	s_cbranch_execnz .LBB9_954
.LBB9_934:
	s_or_b32 exec_lo, exec_lo, s8
	s_and_saveexec_b32 s8, s7
	s_cbranch_execz .LBB9_936
.LBB9_935:
	v_and_b32_e32 v4, 0xffff, v3
	s_delay_alu instid0(VALU_DEP_1) | instskip(SKIP_1) | instid1(VALU_DEP_2)
	v_and_b32_e32 v5, 3, v4
	v_bfe_u32 v8, v4, 2, 5
	v_clz_i32_u32_e32 v6, v5
	s_delay_alu instid0(VALU_DEP_2) | instskip(NEXT) | instid1(VALU_DEP_2)
	v_cmp_eq_u32_e32 vcc_lo, 0, v8
	v_min_u32_e32 v6, 32, v6
	s_delay_alu instid0(VALU_DEP_1) | instskip(NEXT) | instid1(VALU_DEP_1)
	v_subrev_nc_u32_e32 v7, 29, v6
	v_dual_lshlrev_b32 v4, v7, v4 :: v_dual_sub_nc_u32 v6, 30, v6
	s_delay_alu instid0(VALU_DEP_1) | instskip(NEXT) | instid1(VALU_DEP_1)
	v_dual_lshlrev_b32 v3, 24, v3 :: v_dual_bitop2_b32 v4, 3, v4 bitop3:0x40
	v_dual_cndmask_b32 v6, v8, v6, vcc_lo :: v_dual_cndmask_b32 v4, v5, v4, vcc_lo
	s_delay_alu instid0(VALU_DEP_2) | instskip(NEXT) | instid1(VALU_DEP_2)
	v_and_b32_e32 v3, 0x80000000, v3
	v_lshl_add_u32 v5, v6, 23, 0x37800000
	s_delay_alu instid0(VALU_DEP_3) | instskip(NEXT) | instid1(VALU_DEP_1)
	v_lshlrev_b32_e32 v4, 21, v4
	v_or3_b32 v3, v3, v5, v4
	s_delay_alu instid0(VALU_DEP_1)
	v_cvt_f64_f32_e32 v[6:7], v3
.LBB9_936:
	s_or_b32 exec_lo, exec_lo, s8
	s_mov_b32 s7, 0
	s_branch .LBB9_942
.LBB9_937:
	s_mov_b32 s7, -1
                                        ; implicit-def: $vgpr6_vgpr7
	s_branch .LBB9_948
.LBB9_938:
	s_or_saveexec_b32 s9, s9
	v_mov_b64_e32 v[6:7], 0x7ff8000020000000
	s_xor_b32 exec_lo, exec_lo, s9
	s_cbranch_execz .LBB9_921
.LBB9_939:
	v_cmp_ne_u16_e32 vcc_lo, 0, v3
	v_mov_b64_e32 v[6:7], 0
	s_and_not1_b32 s8, s8, exec_lo
	s_and_b32 s10, vcc_lo, exec_lo
	s_delay_alu instid0(SALU_CYCLE_1)
	s_or_b32 s8, s8, s10
	s_or_b32 exec_lo, exec_lo, s9
	s_and_saveexec_b32 s9, s8
	s_cbranch_execnz .LBB9_922
	s_branch .LBB9_923
.LBB9_940:
	s_mov_b32 s7, -1
                                        ; implicit-def: $vgpr6_vgpr7
	s_branch .LBB9_945
.LBB9_941:
	s_mov_b32 s7, -1
                                        ; implicit-def: $vgpr6_vgpr7
.LBB9_942:
	s_delay_alu instid0(SALU_CYCLE_1)
	s_and_b32 vcc_lo, exec_lo, s7
	s_cbranch_vccz .LBB9_944
; %bb.943:
	global_load_u8 v3, v[0:1], off
	s_wait_loadcnt 0x0
	v_lshlrev_b32_e32 v3, 24, v3
	s_delay_alu instid0(VALU_DEP_1) | instskip(NEXT) | instid1(VALU_DEP_1)
	v_and_b32_e32 v4, 0x7f000000, v3
	v_clz_i32_u32_e32 v5, v4
	v_cmp_ne_u32_e32 vcc_lo, 0, v4
	v_add_nc_u32_e32 v7, 0x1000000, v4
	s_delay_alu instid0(VALU_DEP_3) | instskip(NEXT) | instid1(VALU_DEP_1)
	v_min_u32_e32 v5, 32, v5
	v_sub_nc_u32_e64 v5, v5, 4 clamp
	s_delay_alu instid0(VALU_DEP_1) | instskip(NEXT) | instid1(VALU_DEP_1)
	v_dual_lshlrev_b32 v6, v5, v4 :: v_dual_lshlrev_b32 v5, 23, v5
	v_lshrrev_b32_e32 v6, 4, v6
	s_delay_alu instid0(VALU_DEP_1) | instskip(NEXT) | instid1(VALU_DEP_1)
	v_dual_sub_nc_u32 v5, v6, v5 :: v_dual_ashrrev_i32 v6, 8, v7
	v_add_nc_u32_e32 v5, 0x3c000000, v5
	s_delay_alu instid0(VALU_DEP_1) | instskip(NEXT) | instid1(VALU_DEP_1)
	v_and_or_b32 v5, 0x7f800000, v6, v5
	v_cndmask_b32_e32 v4, 0, v5, vcc_lo
	s_delay_alu instid0(VALU_DEP_1) | instskip(NEXT) | instid1(VALU_DEP_1)
	v_and_or_b32 v3, 0x80000000, v3, v4
	v_cvt_f64_f32_e32 v[6:7], v3
.LBB9_944:
	s_mov_b32 s7, 0
.LBB9_945:
	s_delay_alu instid0(SALU_CYCLE_1)
	s_and_not1_b32 vcc_lo, exec_lo, s7
	s_cbranch_vccnz .LBB9_947
; %bb.946:
	global_load_u8 v3, v[0:1], off
	s_wait_loadcnt 0x0
	v_lshlrev_b32_e32 v4, 25, v3
	v_lshlrev_b16 v3, 8, v3
	s_delay_alu instid0(VALU_DEP_1) | instskip(SKIP_1) | instid1(VALU_DEP_2)
	v_and_or_b32 v6, 0x7f00, v3, 0.5
	v_bfe_i32 v3, v3, 0, 16
	v_dual_add_f32 v6, -0.5, v6 :: v_dual_lshrrev_b32 v5, 4, v4
	v_cmp_gt_u32_e32 vcc_lo, 0x8000000, v4
	s_delay_alu instid0(VALU_DEP_2) | instskip(NEXT) | instid1(VALU_DEP_1)
	v_or_b32_e32 v5, 0x70000000, v5
	v_mul_f32_e32 v5, 0x7800000, v5
	s_delay_alu instid0(VALU_DEP_1) | instskip(NEXT) | instid1(VALU_DEP_1)
	v_cndmask_b32_e32 v4, v5, v6, vcc_lo
	v_and_or_b32 v3, 0x80000000, v3, v4
	s_delay_alu instid0(VALU_DEP_1)
	v_cvt_f64_f32_e32 v[6:7], v3
.LBB9_947:
	s_mov_b32 s7, 0
	s_mov_b32 s8, -1
.LBB9_948:
	s_and_not1_b32 vcc_lo, exec_lo, s7
	s_mov_b32 s7, 0
	s_cbranch_vccnz .LBB9_959
; %bb.949:
	s_cmp_gt_i32 s1, 14
	s_cbranch_scc0 .LBB9_952
; %bb.950:
	s_cmp_eq_u32 s1, 15
	s_cbranch_scc0 .LBB9_955
; %bb.951:
	global_load_u16 v3, v[0:1], off
	s_mov_b32 s6, 0
	s_mov_b32 s8, -1
	s_wait_loadcnt 0x0
	v_lshlrev_b32_e32 v3, 16, v3
	s_delay_alu instid0(VALU_DEP_1)
	v_cvt_f64_f32_e32 v[6:7], v3
	s_branch .LBB9_957
.LBB9_952:
	s_mov_b32 s7, -1
	s_branch .LBB9_956
.LBB9_953:
	s_or_saveexec_b32 s8, s8
	v_mov_b64_e32 v[6:7], 0x7ff8000020000000
	s_xor_b32 exec_lo, exec_lo, s8
	s_cbranch_execz .LBB9_934
.LBB9_954:
	v_cmp_ne_u16_e32 vcc_lo, 0, v3
	v_mov_b64_e32 v[6:7], 0
	s_and_not1_b32 s7, s7, exec_lo
	s_and_b32 s9, vcc_lo, exec_lo
	s_delay_alu instid0(SALU_CYCLE_1)
	s_or_b32 s7, s7, s9
	s_or_b32 exec_lo, exec_lo, s8
	s_and_saveexec_b32 s8, s7
	s_cbranch_execnz .LBB9_935
	s_branch .LBB9_936
.LBB9_955:
	s_mov_b32 s6, -1
.LBB9_956:
                                        ; implicit-def: $vgpr6_vgpr7
.LBB9_957:
	s_and_b32 vcc_lo, exec_lo, s7
	s_mov_b32 s7, 0
	s_cbranch_vccz .LBB9_959
; %bb.958:
	s_cmp_lg_u32 s1, 11
	s_mov_b32 s7, -1
	s_cselect_b32 s1, -1, 0
	s_and_not1_b32 s6, s6, exec_lo
	s_and_b32 s1, s1, exec_lo
	s_delay_alu instid0(SALU_CYCLE_1)
	s_or_b32 s6, s6, s1
.LBB9_959:
	s_mov_b32 s1, 0
.LBB9_960:
	s_delay_alu instid0(SALU_CYCLE_1)
	s_and_b32 s22, s1, exec_lo
	s_and_not1_b32 s1, s0, exec_lo
	s_and_b32 s6, s6, exec_lo
	s_and_b32 s24, s8, exec_lo
	;; [unrolled: 1-line block ×3, first 2 shown]
	s_or_b32 s25, s1, s6
.LBB9_961:
	s_wait_xcnt 0x0
	s_or_b32 exec_lo, exec_lo, s36
	s_delay_alu instid0(SALU_CYCLE_1)
	s_and_not1_b32 s0, s0, exec_lo
	s_and_b32 s1, s25, exec_lo
	s_and_b32 s24, s24, exec_lo
	;; [unrolled: 1-line block ×4, first 2 shown]
	s_or_b32 s0, s0, s1
.LBB9_962:
	s_or_b32 exec_lo, exec_lo, s27
	s_delay_alu instid0(SALU_CYCLE_1)
	s_and_not1_b32 s1, s43, exec_lo
	s_and_b32 s6, s26, exec_lo
	s_and_b32 s0, s0, exec_lo
	s_or_b32 s43, s1, s6
	s_and_not1_b32 s1, s42, exec_lo
	s_and_b32 s24, s24, exec_lo
	s_and_b32 s22, s22, exec_lo
	;; [unrolled: 1-line block ×3, first 2 shown]
	s_or_b32 s42, s1, s0
.LBB9_963:
	s_or_b32 exec_lo, exec_lo, s44
	s_delay_alu instid0(SALU_CYCLE_1)
	s_and_not1_b32 s0, s39, exec_lo
	s_and_b32 s1, s43, exec_lo
	s_and_b32 s6, s42, exec_lo
	s_or_b32 s39, s0, s1
	s_and_not1_b32 s1, s40, exec_lo
	s_and_b32 s0, s24, exec_lo
	s_and_b32 s22, s22, exec_lo
	;; [unrolled: 1-line block ×3, first 2 shown]
	s_or_b32 s40, s1, s6
	s_or_b32 exec_lo, exec_lo, s41
	s_mov_b32 s1, 0
	s_and_saveexec_b32 s6, s40
	s_cbranch_execz .LBB9_288
.LBB9_964:
	s_mov_b32 s1, exec_lo
	s_and_not1_b32 s17, s17, exec_lo
	s_trap 2
	s_or_b32 exec_lo, exec_lo, s6
	s_and_saveexec_b32 s6, s17
	s_delay_alu instid0(SALU_CYCLE_1)
	s_xor_b32 s6, exec_lo, s6
	s_cbranch_execnz .LBB9_289
.LBB9_965:
	s_or_b32 exec_lo, exec_lo, s6
	s_and_saveexec_b32 s6, s22
	s_cbranch_execz .LBB9_1011
.LBB9_966:
	s_sext_i32_i16 s7, s13
	s_delay_alu instid0(SALU_CYCLE_1)
	s_cmp_lt_i32 s7, 5
	s_cbranch_scc1 .LBB9_971
; %bb.967:
	s_cmp_lt_i32 s7, 8
	s_cbranch_scc1 .LBB9_972
; %bb.968:
	;; [unrolled: 3-line block ×3, first 2 shown]
	s_cmp_gt_i32 s7, 9
	s_cbranch_scc0 .LBB9_974
; %bb.970:
	s_wait_loadcnt 0x0
	global_load_b64 v[6:7], v[0:1], off
	s_mov_b32 s7, 0
	s_branch .LBB9_975
.LBB9_971:
                                        ; implicit-def: $vgpr6_vgpr7
	s_branch .LBB9_992
.LBB9_972:
                                        ; implicit-def: $vgpr6_vgpr7
	s_branch .LBB9_981
.LBB9_973:
	s_mov_b32 s7, -1
                                        ; implicit-def: $vgpr6_vgpr7
	s_branch .LBB9_978
.LBB9_974:
	s_mov_b32 s7, -1
                                        ; implicit-def: $vgpr6_vgpr7
.LBB9_975:
	s_delay_alu instid0(SALU_CYCLE_1)
	s_and_not1_b32 vcc_lo, exec_lo, s7
	s_cbranch_vccnz .LBB9_977
; %bb.976:
	global_load_b32 v3, v[0:1], off
	s_wait_loadcnt 0x0
	v_cvt_f64_f32_e32 v[6:7], v3
.LBB9_977:
	s_mov_b32 s7, 0
.LBB9_978:
	s_delay_alu instid0(SALU_CYCLE_1)
	s_and_not1_b32 vcc_lo, exec_lo, s7
	s_cbranch_vccnz .LBB9_980
; %bb.979:
	global_load_b32 v3, v[0:1], off
	s_wait_loadcnt 0x0
	v_cvt_f32_f16_e32 v3, v3
	s_delay_alu instid0(VALU_DEP_1)
	v_cvt_f64_f32_e32 v[6:7], v3
.LBB9_980:
	s_cbranch_execnz .LBB9_991
.LBB9_981:
	s_sext_i32_i16 s7, s13
	s_delay_alu instid0(SALU_CYCLE_1)
	s_cmp_lt_i32 s7, 6
	s_cbranch_scc1 .LBB9_984
; %bb.982:
	s_cmp_gt_i32 s7, 6
	s_cbranch_scc0 .LBB9_985
; %bb.983:
	s_wait_loadcnt 0x0
	global_load_b64 v[6:7], v[0:1], off
	s_mov_b32 s7, 0
	s_branch .LBB9_986
.LBB9_984:
	s_mov_b32 s7, -1
                                        ; implicit-def: $vgpr6_vgpr7
	s_branch .LBB9_989
.LBB9_985:
	s_mov_b32 s7, -1
                                        ; implicit-def: $vgpr6_vgpr7
.LBB9_986:
	s_delay_alu instid0(SALU_CYCLE_1)
	s_and_not1_b32 vcc_lo, exec_lo, s7
	s_cbranch_vccnz .LBB9_988
; %bb.987:
	global_load_b32 v3, v[0:1], off
	s_wait_loadcnt 0x0
	v_cvt_f64_f32_e32 v[6:7], v3
.LBB9_988:
	s_mov_b32 s7, 0
.LBB9_989:
	s_delay_alu instid0(SALU_CYCLE_1)
	s_and_not1_b32 vcc_lo, exec_lo, s7
	s_cbranch_vccnz .LBB9_991
; %bb.990:
	global_load_u16 v3, v[0:1], off
	s_wait_loadcnt 0x0
	v_cvt_f32_f16_e32 v3, v3
	s_delay_alu instid0(VALU_DEP_1)
	v_cvt_f64_f32_e32 v[6:7], v3
.LBB9_991:
	s_cbranch_execnz .LBB9_1010
.LBB9_992:
	s_sext_i32_i16 s7, s13
	s_delay_alu instid0(SALU_CYCLE_1)
	s_cmp_lt_i32 s7, 2
	s_cbranch_scc1 .LBB9_996
; %bb.993:
	s_cmp_lt_i32 s7, 3
	s_cbranch_scc1 .LBB9_997
; %bb.994:
	s_cmp_gt_i32 s7, 3
	s_cbranch_scc0 .LBB9_998
; %bb.995:
	global_load_b64 v[4:5], v[0:1], off
	s_mov_b32 s7, 0
	s_wait_loadcnt 0x0
	v_cvt_f64_i32_e32 v[6:7], v5
	v_cvt_f64_u32_e32 v[4:5], v4
	s_delay_alu instid0(VALU_DEP_2) | instskip(NEXT) | instid1(VALU_DEP_1)
	v_ldexp_f64 v[6:7], v[6:7], 32
	v_add_f64_e32 v[6:7], v[6:7], v[4:5]
	s_branch .LBB9_999
.LBB9_996:
                                        ; implicit-def: $vgpr6_vgpr7
	s_branch .LBB9_1005
.LBB9_997:
	s_mov_b32 s7, -1
                                        ; implicit-def: $vgpr6_vgpr7
	s_branch .LBB9_1002
.LBB9_998:
	s_mov_b32 s7, -1
                                        ; implicit-def: $vgpr6_vgpr7
.LBB9_999:
	s_delay_alu instid0(SALU_CYCLE_1)
	s_and_not1_b32 vcc_lo, exec_lo, s7
	s_cbranch_vccnz .LBB9_1001
; %bb.1000:
	global_load_b32 v3, v[0:1], off
	s_wait_loadcnt 0x0
	v_cvt_f64_i32_e32 v[6:7], v3
.LBB9_1001:
	s_mov_b32 s7, 0
.LBB9_1002:
	s_delay_alu instid0(SALU_CYCLE_1)
	s_and_not1_b32 vcc_lo, exec_lo, s7
	s_cbranch_vccnz .LBB9_1004
; %bb.1003:
	global_load_i16 v3, v[0:1], off
	s_wait_loadcnt 0x0
	v_cvt_f64_i32_e32 v[6:7], v3
.LBB9_1004:
	s_cbranch_execnz .LBB9_1010
.LBB9_1005:
	s_sext_i32_i16 s7, s13
	s_delay_alu instid0(SALU_CYCLE_1)
	s_cmp_gt_i32 s7, 0
	s_mov_b32 s7, 0
	s_cbranch_scc0 .LBB9_1007
; %bb.1006:
	global_load_i8 v3, v[0:1], off
	s_wait_loadcnt 0x0
	v_cvt_f64_i32_e32 v[6:7], v3
	s_branch .LBB9_1008
.LBB9_1007:
	s_mov_b32 s7, -1
                                        ; implicit-def: $vgpr6_vgpr7
.LBB9_1008:
	s_delay_alu instid0(SALU_CYCLE_1)
	s_and_not1_b32 vcc_lo, exec_lo, s7
	s_cbranch_vccnz .LBB9_1010
; %bb.1009:
	global_load_u8 v0, v[0:1], off
	s_wait_loadcnt 0x0
	v_cvt_f64_u32_e32 v[6:7], v0
.LBB9_1010:
	s_or_b32 s0, s0, exec_lo
.LBB9_1011:
	s_wait_xcnt 0x0
	s_or_b32 exec_lo, exec_lo, s6
	s_mov_b32 s9, 0
	s_mov_b32 s8, 0
                                        ; implicit-def: $sgpr6
                                        ; implicit-def: $vgpr4_vgpr5
                                        ; implicit-def: $vgpr0_vgpr1
	s_and_saveexec_b32 s7, s0
	s_cbranch_execz .LBB9_1031
; %bb.1012:
	s_wait_loadcnt 0x0
	s_delay_alu instid0(VALU_DEP_1) | instskip(SKIP_1) | instid1(SALU_CYCLE_1)
	v_cmp_ge_f64_e64 s0, 0x40200000, |v[6:7]|
                                        ; implicit-def: $vgpr0_vgpr1
	s_and_saveexec_b32 s6, s0
	s_xor_b32 s0, exec_lo, s6
	s_cbranch_execz .LBB9_1018
; %bb.1013:
	v_fma_f64 v[0:1], |v[6:7]|, 0.5, -2.0
	s_mov_b64 s[8:9], 0x3c499f2a0c3c4014
	s_mov_b32 s6, exec_lo
	s_delay_alu instid0(VALU_DEP_1) | instskip(SKIP_1) | instid1(SALU_CYCLE_1)
	v_fmaak_f64 v[4:5], s[8:9], v[0:1], 0xbc7857d0c38a0576
	s_mov_b64 s[8:9], 0x3ff71547652b82fe
	v_mul_f64_e64 v[10:11], |v[6:7]|, s[8:9]
	s_mov_b64 s[8:9], 0xbfe62e42fefa39ef
	s_delay_alu instid0(VALU_DEP_2) | instskip(NEXT) | instid1(VALU_DEP_1)
	v_fmaak_f64 v[8:9], v[0:1], v[4:5], 0xbc499f2a0c3c4014
	v_add_f64_e32 v[8:9], 0x3ca663e3e593bfac, v[8:9]
	s_delay_alu instid0(VALU_DEP_3) | instskip(NEXT) | instid1(VALU_DEP_2)
	v_rndne_f64_e32 v[10:11], v[10:11]
	v_fma_f64 v[4:5], v[0:1], v[8:9], -v[4:5]
	s_delay_alu instid0(VALU_DEP_2) | instskip(SKIP_2) | instid1(VALU_DEP_3)
	v_fma_f64 v[12:13], v[10:11], s[8:9], |v[6:7]|
	s_mov_b64 s[8:9], 0x3e5ade156a5dcb37
	v_cvt_i32_f64_e32 v3, v[10:11]
	v_add_f64_e32 v[4:5], 0xbcd3eaaa7e0d1573, v[4:5]
	s_delay_alu instid0(VALU_DEP_1) | instskip(NEXT) | instid1(VALU_DEP_1)
	v_fma_f64 v[8:9], v[0:1], v[4:5], -v[8:9]
	v_add_f64_e32 v[8:9], 0x3d011d7f0615290c, v[8:9]
	s_delay_alu instid0(VALU_DEP_1) | instskip(NEXT) | instid1(VALU_DEP_1)
	v_fma_f64 v[4:5], v[0:1], v[8:9], -v[4:5]
	;; [unrolled: 3-line block ×24, first 2 shown]
	v_add_f64_e32 v[4:5], 0xbfc694d10469192e, v[4:5]
	s_delay_alu instid0(VALU_DEP_1) | instskip(SKIP_1) | instid1(VALU_DEP_1)
	v_fma_f64 v[0:1], v[0:1], v[4:5], -v[8:9]
	v_fmamk_f64 v[4:5], v[10:11], 0xbc7abc9e3b39803f, v[12:13]
	v_fmaak_f64 v[12:13], s[8:9], v[4:5], 0x3e928af3fca7ab0c
	s_delay_alu instid0(VALU_DEP_1) | instskip(NEXT) | instid1(VALU_DEP_1)
	v_fmaak_f64 v[12:13], v[4:5], v[12:13], 0x3ec71dee623fde64
	v_fmaak_f64 v[12:13], v[4:5], v[12:13], 0x3efa01997c89e6b0
	s_delay_alu instid0(VALU_DEP_1) | instskip(SKIP_1) | instid1(VALU_DEP_2)
	v_fmaak_f64 v[12:13], v[4:5], v[12:13], 0x3f2a01a014761f6e
	v_add_f64_e32 v[0:1], 0x3fd02a63724a7ffa, v[0:1]
	v_fmaak_f64 v[12:13], v[4:5], v[12:13], 0x3f56c16c1852b7b0
	s_delay_alu instid0(VALU_DEP_2) | instskip(NEXT) | instid1(VALU_DEP_2)
	v_add_f64_e64 v[0:1], v[0:1], -v[8:9]
	v_fmaak_f64 v[8:9], v[4:5], v[12:13], 0x3f81111111122322
	s_delay_alu instid0(VALU_DEP_1) | instskip(NEXT) | instid1(VALU_DEP_1)
	v_fmaak_f64 v[8:9], v[4:5], v[8:9], 0x3fa55555555502a1
	v_fmaak_f64 v[8:9], v[4:5], v[8:9], 0x3fc5555555555511
	s_delay_alu instid0(VALU_DEP_1) | instskip(NEXT) | instid1(VALU_DEP_1)
	v_fmaak_f64 v[8:9], v[4:5], v[8:9], 0x3fe000000000000b
	v_fma_f64 v[8:9], v[4:5], v[8:9], 1.0
	v_mul_f64_e32 v[0:1], 0.5, v[0:1]
	s_delay_alu instid0(VALU_DEP_2) | instskip(NEXT) | instid1(VALU_DEP_2)
	v_fma_f64 v[8:9], v[4:5], v[8:9], 1.0
	v_mul_f64_e64 v[4:5], |v[6:7]|, v[0:1]
                                        ; implicit-def: $vgpr0_vgpr1
	v_cmpx_ngt_f64_e32 0, v[6:7]
	s_xor_b32 s6, exec_lo, s6
	s_cbranch_execz .LBB9_1015
; %bb.1014:
	s_delay_alu instid0(VALU_DEP_3) | instskip(SKIP_1) | instid1(VALU_DEP_2)
	v_ldexp_f64 v[0:1], v[8:9], v3
	v_cmp_nlt_f64_e64 vcc_lo, 0x40900000, |v[6:7]|
                                        ; implicit-def: $vgpr8_vgpr9
                                        ; implicit-def: $vgpr3
                                        ; implicit-def: $vgpr6_vgpr7
	v_cndmask_b32_e32 v1, 0x7ff00000, v1, vcc_lo
	s_delay_alu instid0(VALU_DEP_3) | instskip(NEXT) | instid1(VALU_DEP_1)
	v_cndmask_b32_e32 v0, 0, v0, vcc_lo
	v_mul_f64_e32 v[0:1], v[0:1], v[4:5]
                                        ; implicit-def: $vgpr4_vgpr5
.LBB9_1015:
	s_and_not1_saveexec_b32 s6, s6
	s_cbranch_execz .LBB9_1017
; %bb.1016:
	s_delay_alu instid0(VALU_DEP_3) | instskip(SKIP_1) | instid1(VALU_DEP_2)
	v_ldexp_f64 v[0:1], -v[8:9], v3
	v_cmp_nlt_f64_e64 vcc_lo, 0x40900000, |v[6:7]|
	v_cndmask_b32_e32 v1, 0xfff00000, v1, vcc_lo
	s_delay_alu instid0(VALU_DEP_3) | instskip(NEXT) | instid1(VALU_DEP_1)
	v_cndmask_b32_e32 v0, 0, v0, vcc_lo
	v_mul_f64_e32 v[0:1], v[0:1], v[4:5]
.LBB9_1017:
	s_or_b32 exec_lo, exec_lo, s6
                                        ; implicit-def: $vgpr6_vgpr7
.LBB9_1018:
	s_and_not1_saveexec_b32 s6, s0
	s_cbranch_execz .LBB9_1024
; %bb.1019:
	v_and_b32_e32 v1, 0x7fffffff, v7
	v_mov_b32_e32 v0, v6
	s_mov_b64 s[8:9], 0x3c61556db352e8e6
	v_cmp_ngt_f64_e64 s0, 0, v[6:7]
	s_delay_alu instid0(VALU_DEP_2) | instskip(SKIP_1) | instid1(VALU_DEP_2)
	v_div_scale_f64 v[4:5], null, v[0:1], v[0:1], 0x40400000
	v_div_scale_f64 v[0:1], vcc_lo, 0x40400000, v[0:1], 0x40400000
	v_rcp_f64_e32 v[8:9], v[4:5]
	v_nop
	s_delay_alu instid0(TRANS32_DEP_1) | instskip(NEXT) | instid1(VALU_DEP_1)
	v_fma_f64 v[10:11], -v[4:5], v[8:9], 1.0
	v_fmac_f64_e32 v[8:9], v[8:9], v[10:11]
	s_delay_alu instid0(VALU_DEP_1) | instskip(NEXT) | instid1(VALU_DEP_1)
	v_fma_f64 v[10:11], -v[4:5], v[8:9], 1.0
	v_fmac_f64_e32 v[8:9], v[8:9], v[10:11]
	s_delay_alu instid0(VALU_DEP_1) | instskip(NEXT) | instid1(VALU_DEP_1)
	v_mul_f64_e32 v[10:11], v[0:1], v[8:9]
	v_fma_f64 v[0:1], -v[4:5], v[10:11], v[0:1]
	s_delay_alu instid0(VALU_DEP_1) | instskip(SKIP_1) | instid1(VALU_DEP_2)
	v_div_fmas_f64 v[0:1], v[0:1], v[8:9], v[10:11]
	v_cmp_nlt_f64_e64 vcc_lo, 0x40900000, |v[6:7]|
	v_div_fixup_f64 v[0:1], v[0:1], |v[6:7]|, 0x40400000
	s_delay_alu instid0(VALU_DEP_1) | instskip(NEXT) | instid1(VALU_DEP_1)
	v_add_f64_e32 v[0:1], -2.0, v[0:1]
	v_fmaak_f64 v[4:5], s[8:9], v[0:1], 0x3c545b8aea87b950
	s_mov_b64 s[8:9], 0x3ff71547652b82fe
	s_delay_alu instid0(SALU_CYCLE_1) | instskip(SKIP_1) | instid1(VALU_DEP_2)
	v_mul_f64_e64 v[10:11], |v[6:7]|, s[8:9]
	s_mov_b64 s[8:9], 0xbfe62e42fefa39ef
	v_fmaak_f64 v[8:9], v[0:1], v[4:5], 0xbc61556db352e8e6
	s_delay_alu instid0(VALU_DEP_1) | instskip(NEXT) | instid1(VALU_DEP_3)
	v_add_f64_e32 v[8:9], 0xbc8acea3b2532277, v[8:9]
	v_rndne_f64_e32 v[10:11], v[10:11]
	s_delay_alu instid0(VALU_DEP_2) | instskip(NEXT) | instid1(VALU_DEP_2)
	v_fma_f64 v[4:5], v[0:1], v[8:9], -v[4:5]
	v_fma_f64 v[12:13], v[10:11], s[8:9], |v[6:7]|
	s_mov_b64 s[8:9], 0x3e5ade156a5dcb37
	v_cvt_i32_f64_e32 v3, v[10:11]
	s_delay_alu instid0(VALU_DEP_3) | instskip(NEXT) | instid1(VALU_DEP_3)
	v_add_f64_e32 v[4:5], 0xbc82806c9c773320, v[4:5]
	v_fmamk_f64 v[12:13], v[10:11], 0xbc7abc9e3b39803f, v[12:13]
	s_delay_alu instid0(VALU_DEP_1) | instskip(NEXT) | instid1(VALU_DEP_3)
	v_fmaak_f64 v[14:15], s[8:9], v[12:13], 0x3e928af3fca7ab0c
	v_fma_f64 v[8:9], v[0:1], v[4:5], -v[8:9]
	s_delay_alu instid0(VALU_DEP_2) | instskip(NEXT) | instid1(VALU_DEP_1)
	v_fmaak_f64 v[14:15], v[12:13], v[14:15], 0x3ec71dee623fde64
	v_fmaak_f64 v[14:15], v[12:13], v[14:15], 0x3efa01997c89e6b0
	s_delay_alu instid0(VALU_DEP_1) | instskip(NEXT) | instid1(VALU_DEP_1)
	v_fmaak_f64 v[14:15], v[12:13], v[14:15], 0x3f2a01a014761f6e
	v_fmaak_f64 v[14:15], v[12:13], v[14:15], 0x3f56c16c1852b7b0
	s_delay_alu instid0(VALU_DEP_1) | instskip(SKIP_1) | instid1(VALU_DEP_2)
	v_fmaak_f64 v[14:15], v[12:13], v[14:15], 0x3f81111111122322
	v_add_f64_e32 v[8:9], 0x3cb55915fceb588a, v[8:9]
	v_fmaak_f64 v[14:15], v[12:13], v[14:15], 0x3fa55555555502a1
	s_delay_alu instid0(VALU_DEP_1) | instskip(NEXT) | instid1(VALU_DEP_1)
	v_fmaak_f64 v[14:15], v[12:13], v[14:15], 0x3fc5555555555511
	v_fmaak_f64 v[14:15], v[12:13], v[14:15], 0x3fe000000000000b
	s_delay_alu instid0(VALU_DEP_1) | instskip(SKIP_1) | instid1(VALU_DEP_1)
	v_fma_f64 v[14:15], v[12:13], v[14:15], 1.0
	v_fma_f64 v[4:5], v[0:1], v[8:9], -v[4:5]
	v_add_f64_e32 v[4:5], 0x3cb7d68e5f04a2d1, v[4:5]
	s_delay_alu instid0(VALU_DEP_1) | instskip(NEXT) | instid1(VALU_DEP_1)
	v_fma_f64 v[8:9], v[0:1], v[4:5], -v[8:9]
	v_add_f64_e32 v[8:9], 0xbce0efcd8bc4d22a, v[8:9]
	s_delay_alu instid0(VALU_DEP_1) | instskip(NEXT) | instid1(VALU_DEP_1)
	;; [unrolled: 3-line block ×18, first 2 shown]
	v_fma_f64 v[4:5], v[0:1], v[8:9], -v[4:5]
	v_add_f64_e32 v[4:5], 0xbf83fda053fcdb4c, v[4:5]
	s_delay_alu instid0(VALU_DEP_1) | instskip(SKIP_1) | instid1(VALU_DEP_2)
	v_fma_f64 v[0:1], v[0:1], v[4:5], -v[8:9]
	v_fma_f64 v[4:5], v[12:13], v[14:15], 1.0
	v_add_f64_e32 v[0:1], 0x3fe8ea18b55b1514, v[0:1]
	s_delay_alu instid0(VALU_DEP_2) | instskip(NEXT) | instid1(VALU_DEP_2)
	v_ldexp_f64 v[4:5], v[4:5], v3
	v_add_f64_e64 v[8:9], v[0:1], -v[8:9]
	s_delay_alu instid0(VALU_DEP_2) | instskip(NEXT) | instid1(VALU_DEP_3)
	v_cndmask_b32_e32 v5, 0x7ff00000, v5, vcc_lo
	v_cndmask_b32_e32 v4, 0, v4, vcc_lo
                                        ; implicit-def: $vgpr0_vgpr1
	s_and_saveexec_b32 s8, s0
	s_delay_alu instid0(SALU_CYCLE_1)
	s_xor_b32 s0, exec_lo, s8
	s_cbranch_execz .LBB9_1021
; %bb.1020:
	v_cmp_gt_f64_e64 s8, 0x10000000, |v[6:7]|
	s_delay_alu instid0(VALU_DEP_1) | instskip(SKIP_1) | instid1(VALU_DEP_2)
	v_cndmask_b32_e64 v0, 0, 0x100, s8
	v_cndmask_b32_e64 v3, 0, 0xffffff80, s8
	v_ldexp_f64 v[0:1], |v[6:7]|, v0
	s_delay_alu instid0(VALU_DEP_1) | instskip(SKIP_1) | instid1(TRANS32_DEP_1)
	v_rsq_f64_e32 v[6:7], v[0:1]
	v_cmp_class_f64_e64 vcc_lo, v[0:1], 0x260
	v_mul_f64_e32 v[10:11], v[0:1], v[6:7]
	v_mul_f64_e32 v[6:7], 0.5, v[6:7]
	s_delay_alu instid0(VALU_DEP_1) | instskip(NEXT) | instid1(VALU_DEP_1)
	v_fma_f64 v[12:13], -v[6:7], v[10:11], 0.5
	v_fmac_f64_e32 v[10:11], v[10:11], v[12:13]
	v_fmac_f64_e32 v[6:7], v[6:7], v[12:13]
	s_delay_alu instid0(VALU_DEP_2) | instskip(NEXT) | instid1(VALU_DEP_1)
	v_fma_f64 v[12:13], -v[10:11], v[10:11], v[0:1]
	v_fmac_f64_e32 v[10:11], v[12:13], v[6:7]
	s_delay_alu instid0(VALU_DEP_1) | instskip(NEXT) | instid1(VALU_DEP_1)
	v_fma_f64 v[12:13], -v[10:11], v[10:11], v[0:1]
	v_fmac_f64_e32 v[10:11], v[12:13], v[6:7]
	v_mul_f64_e32 v[6:7], 0.5, v[8:9]
	s_delay_alu instid0(VALU_DEP_2) | instskip(NEXT) | instid1(VALU_DEP_2)
	v_ldexp_f64 v[8:9], v[10:11], v3
	v_mul_f64_e32 v[4:5], v[4:5], v[6:7]
	s_delay_alu instid0(VALU_DEP_2) | instskip(NEXT) | instid1(VALU_DEP_1)
	v_dual_cndmask_b32 v1, v9, v1 :: v_dual_cndmask_b32 v0, v8, v0
	v_div_scale_f64 v[6:7], null, v[0:1], v[0:1], v[4:5]
	s_delay_alu instid0(VALU_DEP_1) | instskip(SKIP_1) | instid1(TRANS32_DEP_1)
	v_rcp_f64_e32 v[8:9], v[6:7]
	v_nop
	v_fma_f64 v[10:11], -v[6:7], v[8:9], 1.0
	s_delay_alu instid0(VALU_DEP_1) | instskip(NEXT) | instid1(VALU_DEP_1)
	v_fmac_f64_e32 v[8:9], v[8:9], v[10:11]
	v_fma_f64 v[10:11], -v[6:7], v[8:9], 1.0
	s_delay_alu instid0(VALU_DEP_1) | instskip(SKIP_1) | instid1(VALU_DEP_1)
	v_fmac_f64_e32 v[8:9], v[8:9], v[10:11]
	v_div_scale_f64 v[10:11], vcc_lo, v[4:5], v[0:1], v[4:5]
	v_mul_f64_e32 v[12:13], v[10:11], v[8:9]
	s_delay_alu instid0(VALU_DEP_1) | instskip(NEXT) | instid1(VALU_DEP_1)
	v_fma_f64 v[6:7], -v[6:7], v[12:13], v[10:11]
	v_div_fmas_f64 v[6:7], v[6:7], v[8:9], v[12:13]
                                        ; implicit-def: $vgpr8_vgpr9
	s_delay_alu instid0(VALU_DEP_1)
	v_div_fixup_f64 v[0:1], v[6:7], v[0:1], v[4:5]
                                        ; implicit-def: $vgpr6_vgpr7
                                        ; implicit-def: $vgpr4_vgpr5
.LBB9_1021:
	s_and_not1_saveexec_b32 s0, s0
	s_cbranch_execz .LBB9_1023
; %bb.1022:
	v_cmp_gt_f64_e64 s8, 0x10000000, |v[6:7]|
	s_delay_alu instid0(VALU_DEP_1) | instskip(SKIP_1) | instid1(VALU_DEP_2)
	v_cndmask_b32_e64 v0, 0, 0x100, s8
	v_cndmask_b32_e64 v3, 0, 0xffffff80, s8
	v_ldexp_f64 v[0:1], |v[6:7]|, v0
	s_delay_alu instid0(VALU_DEP_1) | instskip(SKIP_1) | instid1(TRANS32_DEP_1)
	v_rsq_f64_e32 v[6:7], v[0:1]
	v_cmp_class_f64_e64 vcc_lo, v[0:1], 0x260
	v_mul_f64_e32 v[10:11], v[0:1], v[6:7]
	v_mul_f64_e32 v[6:7], 0.5, v[6:7]
	s_delay_alu instid0(VALU_DEP_1) | instskip(NEXT) | instid1(VALU_DEP_1)
	v_fma_f64 v[12:13], -v[6:7], v[10:11], 0.5
	v_fmac_f64_e32 v[10:11], v[10:11], v[12:13]
	v_fmac_f64_e32 v[6:7], v[6:7], v[12:13]
	s_delay_alu instid0(VALU_DEP_2) | instskip(NEXT) | instid1(VALU_DEP_1)
	v_fma_f64 v[12:13], -v[10:11], v[10:11], v[0:1]
	v_fmac_f64_e32 v[10:11], v[12:13], v[6:7]
	s_delay_alu instid0(VALU_DEP_1) | instskip(NEXT) | instid1(VALU_DEP_1)
	v_fma_f64 v[12:13], -v[10:11], v[10:11], v[0:1]
	v_fmac_f64_e32 v[10:11], v[12:13], v[6:7]
	v_mul_f64_e32 v[6:7], -0.5, v[8:9]
	s_delay_alu instid0(VALU_DEP_2) | instskip(NEXT) | instid1(VALU_DEP_2)
	v_ldexp_f64 v[8:9], v[10:11], v3
	v_mul_f64_e32 v[4:5], v[4:5], v[6:7]
	s_delay_alu instid0(VALU_DEP_2) | instskip(NEXT) | instid1(VALU_DEP_1)
	v_dual_cndmask_b32 v1, v9, v1 :: v_dual_cndmask_b32 v0, v8, v0
	v_div_scale_f64 v[6:7], null, v[0:1], v[0:1], v[4:5]
	s_delay_alu instid0(VALU_DEP_1) | instskip(SKIP_1) | instid1(TRANS32_DEP_1)
	v_rcp_f64_e32 v[8:9], v[6:7]
	v_nop
	v_fma_f64 v[10:11], -v[6:7], v[8:9], 1.0
	s_delay_alu instid0(VALU_DEP_1) | instskip(NEXT) | instid1(VALU_DEP_1)
	v_fmac_f64_e32 v[8:9], v[8:9], v[10:11]
	v_fma_f64 v[10:11], -v[6:7], v[8:9], 1.0
	s_delay_alu instid0(VALU_DEP_1) | instskip(SKIP_1) | instid1(VALU_DEP_1)
	v_fmac_f64_e32 v[8:9], v[8:9], v[10:11]
	v_div_scale_f64 v[10:11], vcc_lo, v[4:5], v[0:1], v[4:5]
	v_mul_f64_e32 v[12:13], v[10:11], v[8:9]
	s_delay_alu instid0(VALU_DEP_1) | instskip(NEXT) | instid1(VALU_DEP_1)
	v_fma_f64 v[6:7], -v[6:7], v[12:13], v[10:11]
	v_div_fmas_f64 v[6:7], v[6:7], v[8:9], v[12:13]
	s_delay_alu instid0(VALU_DEP_1)
	v_div_fixup_f64 v[0:1], v[6:7], v[0:1], v[4:5]
.LBB9_1023:
	s_or_b32 exec_lo, exec_lo, s0
.LBB9_1024:
	s_delay_alu instid0(SALU_CYCLE_1) | instskip(SKIP_2) | instid1(SALU_CYCLE_1)
	s_or_b32 exec_lo, exec_lo, s6
	v_mov_b32_e32 v3, 0
	s_and_b32 s6, s34, 0xff
	s_cmp_lt_i32 s6, 11
	s_delay_alu instid0(VALU_DEP_1)
	v_add_nc_u64_e32 v[4:5], s[4:5], v[2:3]
	s_cbranch_scc1 .LBB9_1034
; %bb.1025:
	s_and_b32 s4, 0xffff, s6
	s_mov_b32 s5, -1
	s_cmp_gt_i32 s4, 25
	s_mov_b32 s0, s39
	s_cbranch_scc0 .LBB9_1062
; %bb.1026:
	s_cmp_gt_i32 s4, 28
	s_mov_b32 s0, s39
	s_cbranch_scc0 .LBB9_1046
; %bb.1027:
	;; [unrolled: 4-line block ×4, first 2 shown]
	s_cmp_eq_u32 s4, 46
	s_mov_b32 s0, -1
	s_cbranch_scc0 .LBB9_1035
; %bb.1030:
	s_delay_alu instid0(VALU_DEP_3) | instskip(SKIP_2) | instid1(VALU_DEP_1)
	v_cvt_f32_f64_e32 v2, v[0:1]
	s_mov_b32 s0, 0
	s_mov_b32 s5, 0
	v_bfe_u32 v3, v2, 16, 1
	v_cmp_o_f32_e32 vcc_lo, v2, v2
	s_delay_alu instid0(VALU_DEP_2) | instskip(NEXT) | instid1(VALU_DEP_1)
	v_add3_u32 v3, v2, v3, 0x7fff
	v_lshrrev_b32_e32 v3, 16, v3
	s_delay_alu instid0(VALU_DEP_1)
	v_cndmask_b32_e32 v2, 0x7fc0, v3, vcc_lo
	global_store_b32 v[4:5], v2, off
	s_branch .LBB9_1036
.LBB9_1031:
	s_or_b32 exec_lo, exec_lo, s7
	s_and_saveexec_b32 s0, s39
	s_cbranch_execnz .LBB9_1104
.LBB9_1032:
	s_or_b32 exec_lo, exec_lo, s0
	s_and_saveexec_b32 s0, s9
	s_delay_alu instid0(SALU_CYCLE_1)
	s_xor_b32 s0, exec_lo, s0
	s_cbranch_execz .LBB9_1105
.LBB9_1033:
	s_delay_alu instid0(VALU_DEP_3)
	v_cmp_neq_f64_e32 vcc_lo, 0, v[0:1]
	v_cndmask_b32_e64 v2, 0, 1, vcc_lo
	global_store_b8 v[4:5], v2, off
	s_wait_xcnt 0x0
	s_or_b32 exec_lo, exec_lo, s0
	s_and_saveexec_b32 s0, s8
	s_delay_alu instid0(SALU_CYCLE_1)
	s_xor_b32 s0, exec_lo, s0
	s_cbranch_execz .LBB9_1143
	s_branch .LBB9_1106
.LBB9_1034:
	s_mov_b32 s9, 0
	s_mov_b32 s5, -1
	s_mov_b32 s0, s39
	s_branch .LBB9_1103
.LBB9_1035:
	s_mov_b32 s5, 0
.LBB9_1036:
	s_delay_alu instid0(SALU_CYCLE_1)
	s_and_b32 vcc_lo, exec_lo, s5
	s_cbranch_vccz .LBB9_1041
; %bb.1037:
	s_cmp_eq_u32 s4, 44
	s_mov_b32 s0, -1
	s_cbranch_scc0 .LBB9_1041
; %bb.1038:
	s_wait_xcnt 0x0
	s_delay_alu instid0(VALU_DEP_3) | instskip(SKIP_2) | instid1(VALU_DEP_2)
	v_cvt_f32_f64_e32 v2, v[0:1]
	v_mov_b32_e32 v3, 0xff
	s_mov_b32 s5, exec_lo
	v_bfe_u32 v6, v2, 23, 8
	s_delay_alu instid0(VALU_DEP_1)
	v_cmpx_ne_u32_e32 0xff, v6
	s_cbranch_execz .LBB9_1040
; %bb.1039:
	v_and_b32_e32 v3, 0x400000, v2
	v_and_or_b32 v6, 0x3fffff, v2, v6
	v_lshrrev_b32_e32 v2, 23, v2
	s_delay_alu instid0(VALU_DEP_3) | instskip(NEXT) | instid1(VALU_DEP_3)
	v_cmp_ne_u32_e32 vcc_lo, 0, v3
	v_cmp_ne_u32_e64 s0, 0, v6
	s_and_b32 s0, vcc_lo, s0
	s_delay_alu instid0(SALU_CYCLE_1) | instskip(NEXT) | instid1(VALU_DEP_1)
	v_cndmask_b32_e64 v3, 0, 1, s0
	v_add_nc_u32_e32 v3, v2, v3
.LBB9_1040:
	s_or_b32 exec_lo, exec_lo, s5
	s_mov_b32 s0, 0
	global_store_b8 v[4:5], v3, off
.LBB9_1041:
	s_mov_b32 s5, 0
.LBB9_1042:
	s_delay_alu instid0(SALU_CYCLE_1)
	s_and_b32 vcc_lo, exec_lo, s5
	s_cbranch_vccz .LBB9_1045
; %bb.1043:
	s_cmp_eq_u32 s4, 29
	s_mov_b32 s0, -1
	s_cbranch_scc0 .LBB9_1045
; %bb.1044:
	s_wait_xcnt 0x0
	s_delay_alu instid0(VALU_DEP_3) | instskip(SKIP_2) | instid1(VALU_DEP_1)
	v_trunc_f64_e32 v[2:3], v[0:1]
	s_mov_b32 s0, 0
	s_mov_b32 s5, 0
	v_ldexp_f64 v[6:7], v[2:3], 0xffffffe0
	s_delay_alu instid0(VALU_DEP_1) | instskip(NEXT) | instid1(VALU_DEP_1)
	v_floor_f64_e32 v[6:7], v[6:7]
	v_fmamk_f64 v[2:3], v[6:7], 0xc1f00000, v[2:3]
	v_cvt_u32_f64_e32 v7, v[6:7]
	s_delay_alu instid0(VALU_DEP_2)
	v_cvt_u32_f64_e32 v6, v[2:3]
	global_store_b64 v[4:5], v[6:7], off
	s_branch .LBB9_1046
.LBB9_1045:
	s_mov_b32 s5, 0
.LBB9_1046:
	s_delay_alu instid0(SALU_CYCLE_1)
	s_and_b32 vcc_lo, exec_lo, s5
	s_cbranch_vccz .LBB9_1061
; %bb.1047:
	s_cmp_lt_i32 s4, 27
	s_mov_b32 s5, -1
	s_cbranch_scc1 .LBB9_1053
; %bb.1048:
	s_cmp_gt_i32 s4, 27
	s_cbranch_scc0 .LBB9_1050
; %bb.1049:
	s_wait_xcnt 0x0
	s_delay_alu instid0(VALU_DEP_3)
	v_cvt_u32_f64_e32 v2, v[0:1]
	s_mov_b32 s5, 0
	global_store_b32 v[4:5], v2, off
.LBB9_1050:
	s_and_not1_b32 vcc_lo, exec_lo, s5
	s_cbranch_vccnz .LBB9_1052
; %bb.1051:
	s_wait_xcnt 0x0
	s_delay_alu instid0(VALU_DEP_3)
	v_cvt_u32_f64_e32 v2, v[0:1]
	global_store_b16 v[4:5], v2, off
.LBB9_1052:
	s_mov_b32 s5, 0
.LBB9_1053:
	s_delay_alu instid0(SALU_CYCLE_1)
	s_and_not1_b32 vcc_lo, exec_lo, s5
	s_cbranch_vccnz .LBB9_1061
; %bb.1054:
	s_wait_xcnt 0x0
	s_delay_alu instid0(VALU_DEP_3) | instskip(SKIP_2) | instid1(VALU_DEP_2)
	v_cvt_f32_f64_e32 v2, v[0:1]
	v_mov_b32_e32 v6, 0x80
	s_mov_b32 s5, exec_lo
	v_and_b32_e32 v3, 0x7fffffff, v2
	s_delay_alu instid0(VALU_DEP_1)
	v_cmpx_gt_u32_e32 0x43800000, v3
	s_cbranch_execz .LBB9_1060
; %bb.1055:
	v_cmp_lt_u32_e32 vcc_lo, 0x3bffffff, v3
	s_mov_b32 s8, 0
                                        ; implicit-def: $vgpr3
	s_and_saveexec_b32 s9, vcc_lo
	s_delay_alu instid0(SALU_CYCLE_1)
	s_xor_b32 s9, exec_lo, s9
	s_cbranch_execz .LBB9_1218
; %bb.1056:
	v_bfe_u32 v3, v2, 20, 1
	s_mov_b32 s8, exec_lo
	s_delay_alu instid0(VALU_DEP_1) | instskip(NEXT) | instid1(VALU_DEP_1)
	v_add3_u32 v3, v2, v3, 0x487ffff
	v_lshrrev_b32_e32 v3, 20, v3
	s_and_not1_saveexec_b32 s9, s9
	s_cbranch_execnz .LBB9_1219
.LBB9_1057:
	s_or_b32 exec_lo, exec_lo, s9
	v_mov_b32_e32 v6, 0
	s_and_saveexec_b32 s9, s8
.LBB9_1058:
	v_lshrrev_b32_e32 v2, 24, v2
	s_delay_alu instid0(VALU_DEP_1)
	v_and_or_b32 v6, 0x80, v2, v3
.LBB9_1059:
	s_or_b32 exec_lo, exec_lo, s9
.LBB9_1060:
	s_delay_alu instid0(SALU_CYCLE_1)
	s_or_b32 exec_lo, exec_lo, s5
	global_store_b8 v[4:5], v6, off
.LBB9_1061:
	s_mov_b32 s5, 0
.LBB9_1062:
	s_delay_alu instid0(SALU_CYCLE_1)
	s_and_b32 vcc_lo, exec_lo, s5
	s_mov_b32 s5, 0
	s_cbranch_vccz .LBB9_1102
; %bb.1063:
	s_cmp_gt_i32 s4, 22
	s_mov_b32 s8, -1
	s_cbranch_scc0 .LBB9_1095
; %bb.1064:
	s_cmp_lt_i32 s4, 24
	s_cbranch_scc1 .LBB9_1084
; %bb.1065:
	s_cmp_gt_i32 s4, 24
	s_cbranch_scc0 .LBB9_1073
; %bb.1066:
	s_wait_xcnt 0x0
	s_delay_alu instid0(VALU_DEP_3) | instskip(SKIP_2) | instid1(VALU_DEP_2)
	v_cvt_f32_f64_e32 v2, v[0:1]
	v_mov_b32_e32 v6, 0x80
	s_mov_b32 s8, exec_lo
	v_and_b32_e32 v3, 0x7fffffff, v2
	s_delay_alu instid0(VALU_DEP_1)
	v_cmpx_gt_u32_e32 0x47800000, v3
	s_cbranch_execz .LBB9_1072
; %bb.1067:
	v_cmp_lt_u32_e32 vcc_lo, 0x37ffffff, v3
	s_mov_b32 s9, 0
                                        ; implicit-def: $vgpr3
	s_and_saveexec_b32 s10, vcc_lo
	s_delay_alu instid0(SALU_CYCLE_1)
	s_xor_b32 s10, exec_lo, s10
	s_cbranch_execz .LBB9_1356
; %bb.1068:
	v_bfe_u32 v3, v2, 21, 1
	s_mov_b32 s9, exec_lo
	s_delay_alu instid0(VALU_DEP_1) | instskip(NEXT) | instid1(VALU_DEP_1)
	v_add3_u32 v3, v2, v3, 0x88fffff
	v_lshrrev_b32_e32 v3, 21, v3
	s_and_not1_saveexec_b32 s10, s10
	s_cbranch_execnz .LBB9_1357
.LBB9_1069:
	s_or_b32 exec_lo, exec_lo, s10
	v_mov_b32_e32 v6, 0
	s_and_saveexec_b32 s10, s9
.LBB9_1070:
	v_lshrrev_b32_e32 v2, 24, v2
	s_delay_alu instid0(VALU_DEP_1)
	v_and_or_b32 v6, 0x80, v2, v3
.LBB9_1071:
	s_or_b32 exec_lo, exec_lo, s10
.LBB9_1072:
	s_delay_alu instid0(SALU_CYCLE_1)
	s_or_b32 exec_lo, exec_lo, s8
	s_mov_b32 s8, 0
	global_store_b8 v[4:5], v6, off
.LBB9_1073:
	s_and_b32 vcc_lo, exec_lo, s8
	s_cbranch_vccz .LBB9_1083
; %bb.1074:
	s_wait_xcnt 0x0
	s_delay_alu instid0(VALU_DEP_3) | instskip(SKIP_1) | instid1(VALU_DEP_1)
	v_cvt_f32_f64_e32 v2, v[0:1]
	s_mov_b32 s8, exec_lo
                                        ; implicit-def: $vgpr3
	v_and_b32_e32 v6, 0x7fffffff, v2
	s_delay_alu instid0(VALU_DEP_1)
	v_cmpx_gt_u32_e32 0x43f00000, v6
	s_xor_b32 s8, exec_lo, s8
	s_cbranch_execz .LBB9_1080
; %bb.1075:
	s_mov_b32 s9, exec_lo
                                        ; implicit-def: $vgpr3
	v_cmpx_lt_u32_e32 0x3c7fffff, v6
	s_xor_b32 s9, exec_lo, s9
; %bb.1076:
	v_bfe_u32 v3, v2, 20, 1
	s_delay_alu instid0(VALU_DEP_1) | instskip(NEXT) | instid1(VALU_DEP_1)
	v_add3_u32 v3, v2, v3, 0x407ffff
	v_and_b32_e32 v6, 0xff00000, v3
	v_lshrrev_b32_e32 v3, 20, v3
	s_delay_alu instid0(VALU_DEP_2) | instskip(NEXT) | instid1(VALU_DEP_2)
	v_cmp_ne_u32_e32 vcc_lo, 0x7f00000, v6
	v_cndmask_b32_e32 v3, 0x7e, v3, vcc_lo
; %bb.1077:
	s_and_not1_saveexec_b32 s9, s9
; %bb.1078:
	v_add_f32_e64 v3, 0x46800000, |v2|
; %bb.1079:
	s_or_b32 exec_lo, exec_lo, s9
                                        ; implicit-def: $vgpr6
.LBB9_1080:
	s_and_not1_saveexec_b32 s8, s8
; %bb.1081:
	v_mov_b32_e32 v3, 0x7f
	v_cmp_lt_u32_e32 vcc_lo, 0x7f800000, v6
	s_delay_alu instid0(VALU_DEP_2)
	v_cndmask_b32_e32 v3, 0x7e, v3, vcc_lo
; %bb.1082:
	s_or_b32 exec_lo, exec_lo, s8
	v_lshrrev_b32_e32 v2, 24, v2
	s_delay_alu instid0(VALU_DEP_1)
	v_and_or_b32 v2, 0x80, v2, v3
	global_store_b8 v[4:5], v2, off
.LBB9_1083:
	s_mov_b32 s8, 0
.LBB9_1084:
	s_delay_alu instid0(SALU_CYCLE_1)
	s_and_not1_b32 vcc_lo, exec_lo, s8
	s_cbranch_vccnz .LBB9_1094
; %bb.1085:
	s_wait_xcnt 0x0
	s_delay_alu instid0(VALU_DEP_3) | instskip(SKIP_1) | instid1(VALU_DEP_1)
	v_cvt_f32_f64_e32 v2, v[0:1]
	s_mov_b32 s8, exec_lo
                                        ; implicit-def: $vgpr3
	v_and_b32_e32 v6, 0x7fffffff, v2
	s_delay_alu instid0(VALU_DEP_1)
	v_cmpx_gt_u32_e32 0x47800000, v6
	s_xor_b32 s8, exec_lo, s8
	s_cbranch_execz .LBB9_1091
; %bb.1086:
	s_mov_b32 s9, exec_lo
                                        ; implicit-def: $vgpr3
	v_cmpx_lt_u32_e32 0x387fffff, v6
	s_xor_b32 s9, exec_lo, s9
; %bb.1087:
	v_bfe_u32 v3, v2, 21, 1
	s_delay_alu instid0(VALU_DEP_1) | instskip(NEXT) | instid1(VALU_DEP_1)
	v_add3_u32 v3, v2, v3, 0x80fffff
	v_lshrrev_b32_e32 v3, 21, v3
; %bb.1088:
	s_and_not1_saveexec_b32 s9, s9
; %bb.1089:
	v_add_f32_e64 v3, 0x43000000, |v2|
; %bb.1090:
	s_or_b32 exec_lo, exec_lo, s9
                                        ; implicit-def: $vgpr6
.LBB9_1091:
	s_and_not1_saveexec_b32 s8, s8
; %bb.1092:
	v_mov_b32_e32 v3, 0x7f
	v_cmp_lt_u32_e32 vcc_lo, 0x7f800000, v6
	s_delay_alu instid0(VALU_DEP_2)
	v_cndmask_b32_e32 v3, 0x7c, v3, vcc_lo
; %bb.1093:
	s_or_b32 exec_lo, exec_lo, s8
	v_lshrrev_b32_e32 v2, 24, v2
	s_delay_alu instid0(VALU_DEP_1)
	v_and_or_b32 v2, 0x80, v2, v3
	global_store_b8 v[4:5], v2, off
.LBB9_1094:
	s_mov_b32 s8, 0
.LBB9_1095:
	s_delay_alu instid0(SALU_CYCLE_1)
	s_and_not1_b32 vcc_lo, exec_lo, s8
	s_mov_b32 s9, 0
	s_cbranch_vccnz .LBB9_1103
; %bb.1096:
	s_cmp_gt_i32 s4, 14
	s_mov_b32 s8, -1
	s_cbranch_scc0 .LBB9_1100
; %bb.1097:
	s_cmp_eq_u32 s4, 15
	s_mov_b32 s0, -1
	s_cbranch_scc0 .LBB9_1099
; %bb.1098:
	s_wait_xcnt 0x0
	s_delay_alu instid0(VALU_DEP_3) | instskip(SKIP_1) | instid1(VALU_DEP_1)
	v_cvt_f32_f64_e32 v2, v[0:1]
	s_mov_b32 s0, 0
	v_bfe_u32 v3, v2, 16, 1
	v_cmp_o_f32_e32 vcc_lo, v2, v2
	s_delay_alu instid0(VALU_DEP_2) | instskip(NEXT) | instid1(VALU_DEP_1)
	v_add3_u32 v3, v2, v3, 0x7fff
	v_lshrrev_b32_e32 v3, 16, v3
	s_delay_alu instid0(VALU_DEP_1)
	v_cndmask_b32_e32 v2, 0x7fc0, v3, vcc_lo
	global_store_b16 v[4:5], v2, off
.LBB9_1099:
	s_mov_b32 s8, 0
.LBB9_1100:
	s_delay_alu instid0(SALU_CYCLE_1)
	s_and_b32 vcc_lo, exec_lo, s8
	s_cbranch_vccz .LBB9_1103
; %bb.1101:
	s_cmp_lg_u32 s4, 11
	s_mov_b32 s9, -1
	s_cselect_b32 s4, -1, 0
	s_and_not1_b32 s0, s0, exec_lo
	s_and_b32 s4, s4, exec_lo
	s_delay_alu instid0(SALU_CYCLE_1)
	s_or_b32 s0, s0, s4
	s_branch .LBB9_1103
.LBB9_1102:
	s_mov_b32 s9, 0
.LBB9_1103:
	s_and_not1_b32 s4, s39, exec_lo
	s_and_b32 s0, s0, exec_lo
	s_and_b32 s8, s5, exec_lo
	;; [unrolled: 1-line block ×3, first 2 shown]
	s_or_b32 s39, s4, s0
	s_wait_xcnt 0x0
	s_or_b32 exec_lo, exec_lo, s7
	s_and_saveexec_b32 s0, s39
	s_cbranch_execz .LBB9_1032
.LBB9_1104:
	s_or_b32 s1, s1, exec_lo
	s_and_not1_b32 s9, s9, exec_lo
	s_trap 2
	s_or_b32 exec_lo, exec_lo, s0
	s_and_saveexec_b32 s0, s9
	s_delay_alu instid0(SALU_CYCLE_1)
	s_xor_b32 s0, exec_lo, s0
	s_cbranch_execnz .LBB9_1033
.LBB9_1105:
	s_or_b32 exec_lo, exec_lo, s0
	s_and_saveexec_b32 s0, s8
	s_delay_alu instid0(SALU_CYCLE_1)
	s_xor_b32 s0, exec_lo, s0
	s_cbranch_execz .LBB9_1143
.LBB9_1106:
	s_sext_i32_i16 s5, s6
	s_mov_b32 s4, -1
	s_cmp_lt_i32 s5, 5
	s_cbranch_scc1 .LBB9_1127
; %bb.1107:
	s_cmp_lt_i32 s5, 8
	s_cbranch_scc1 .LBB9_1117
; %bb.1108:
	;; [unrolled: 3-line block ×3, first 2 shown]
	s_cmp_gt_i32 s5, 9
	s_cbranch_scc0 .LBB9_1111
; %bb.1110:
	v_mov_b32_e32 v2, 0
	s_mov_b32 s4, 0
	s_delay_alu instid0(VALU_DEP_1)
	v_mov_b32_e32 v3, v2
	global_store_b128 v[4:5], v[0:3], off
.LBB9_1111:
	s_and_not1_b32 vcc_lo, exec_lo, s4
	s_cbranch_vccnz .LBB9_1113
; %bb.1112:
	s_wait_xcnt 0x0
	v_cvt_f32_f64_e32 v2, v[0:1]
	v_mov_b32_e32 v3, 0
	global_store_b64 v[4:5], v[2:3], off
.LBB9_1113:
	s_mov_b32 s4, 0
.LBB9_1114:
	s_delay_alu instid0(SALU_CYCLE_1)
	s_and_not1_b32 vcc_lo, exec_lo, s4
	s_cbranch_vccnz .LBB9_1116
; %bb.1115:
	s_wait_xcnt 0x0
	v_and_or_b32 v2, 0x1ff, v1, v0
	v_lshrrev_b32_e32 v3, 8, v1
	s_wait_loadcnt 0x0
	v_bfe_u32 v6, v1, 20, 11
	s_delay_alu instid0(VALU_DEP_3) | instskip(NEXT) | instid1(VALU_DEP_2)
	v_cmp_ne_u32_e32 vcc_lo, 0, v2
	v_sub_nc_u32_e32 v7, 0x3f1, v6
	v_cndmask_b32_e64 v2, 0, 1, vcc_lo
	s_delay_alu instid0(VALU_DEP_1) | instskip(NEXT) | instid1(VALU_DEP_3)
	v_and_or_b32 v2, 0xffe, v3, v2
	v_med3_i32 v3, v7, 0, 13
	s_delay_alu instid0(VALU_DEP_2) | instskip(NEXT) | instid1(VALU_DEP_1)
	v_or_b32_e32 v7, 0x1000, v2
	v_lshrrev_b32_e32 v8, v3, v7
	s_delay_alu instid0(VALU_DEP_1) | instskip(NEXT) | instid1(VALU_DEP_1)
	v_lshlrev_b32_e32 v3, v3, v8
	v_cmp_ne_u32_e32 vcc_lo, v3, v7
	v_cndmask_b32_e64 v3, 0, 1, vcc_lo
	s_delay_alu instid0(VALU_DEP_1) | instskip(SKIP_1) | instid1(VALU_DEP_1)
	v_or_b32_e32 v3, v8, v3
	v_add_nc_u32_e32 v6, 0xfffffc10, v6
	v_lshl_or_b32 v7, v6, 12, v2
	v_cmp_gt_i32_e32 vcc_lo, 1, v6
	s_delay_alu instid0(VALU_DEP_2) | instskip(NEXT) | instid1(VALU_DEP_1)
	v_cndmask_b32_e32 v3, v7, v3, vcc_lo
	v_dual_lshrrev_b32 v3, 2, v3 :: v_dual_bitop2_b32 v7, 7, v3 bitop3:0x40
	s_delay_alu instid0(VALU_DEP_1) | instskip(SKIP_4) | instid1(VALU_DEP_2)
	v_cmp_lt_i32_e32 vcc_lo, 5, v7
	v_cndmask_b32_e64 v8, 0, 1, vcc_lo
	v_cmp_eq_u32_e32 vcc_lo, 3, v7
	v_cndmask_b32_e64 v7, 0, 1, vcc_lo
	v_cmp_ne_u32_e32 vcc_lo, 0, v2
	v_or_b32_e32 v7, v7, v8
	s_delay_alu instid0(VALU_DEP_1) | instskip(NEXT) | instid1(VALU_DEP_1)
	v_dual_mov_b32 v8, 0x7e00 :: v_dual_add_nc_u32 v3, v3, v7
	v_cndmask_b32_e32 v2, 0x7c00, v8, vcc_lo
	v_cmp_gt_i32_e32 vcc_lo, 31, v6
	v_lshrrev_b32_e32 v7, 16, v1
	s_delay_alu instid0(VALU_DEP_4) | instskip(SKIP_1) | instid1(VALU_DEP_2)
	v_cndmask_b32_e32 v3, 0x7c00, v3, vcc_lo
	v_cmp_eq_u32_e32 vcc_lo, 0x40f, v6
	v_cndmask_b32_e32 v2, v3, v2, vcc_lo
	s_delay_alu instid0(VALU_DEP_4) | instskip(NEXT) | instid1(VALU_DEP_1)
	v_and_b32_e32 v3, 0x8000, v7
	v_bitop3_b32 v2, v3, 0xffff, v2 bitop3:0xc8
	global_store_b32 v[4:5], v2, off
.LBB9_1116:
	s_mov_b32 s4, 0
.LBB9_1117:
	s_delay_alu instid0(SALU_CYCLE_1)
	s_and_not1_b32 vcc_lo, exec_lo, s4
	s_cbranch_vccnz .LBB9_1126
; %bb.1118:
	s_sext_i32_i16 s5, s6
	s_mov_b32 s4, -1
	s_cmp_lt_i32 s5, 6
	s_cbranch_scc1 .LBB9_1124
; %bb.1119:
	s_cmp_gt_i32 s5, 6
	s_cbranch_scc0 .LBB9_1121
; %bb.1120:
	s_mov_b32 s4, 0
	global_store_b64 v[4:5], v[0:1], off
.LBB9_1121:
	s_and_not1_b32 vcc_lo, exec_lo, s4
	s_cbranch_vccnz .LBB9_1123
; %bb.1122:
	s_wait_xcnt 0x0
	v_cvt_f32_f64_e32 v2, v[0:1]
	global_store_b32 v[4:5], v2, off
.LBB9_1123:
	s_mov_b32 s4, 0
.LBB9_1124:
	s_delay_alu instid0(SALU_CYCLE_1)
	s_and_not1_b32 vcc_lo, exec_lo, s4
	s_cbranch_vccnz .LBB9_1126
; %bb.1125:
	s_wait_xcnt 0x0
	v_and_or_b32 v2, 0x1ff, v1, v0
	v_lshrrev_b32_e32 v3, 8, v1
	s_wait_loadcnt 0x0
	v_bfe_u32 v6, v1, 20, 11
	s_delay_alu instid0(VALU_DEP_3) | instskip(NEXT) | instid1(VALU_DEP_2)
	v_cmp_ne_u32_e32 vcc_lo, 0, v2
	v_sub_nc_u32_e32 v7, 0x3f1, v6
	v_cndmask_b32_e64 v2, 0, 1, vcc_lo
	s_delay_alu instid0(VALU_DEP_1) | instskip(NEXT) | instid1(VALU_DEP_3)
	v_and_or_b32 v2, 0xffe, v3, v2
	v_med3_i32 v3, v7, 0, 13
	s_delay_alu instid0(VALU_DEP_2) | instskip(NEXT) | instid1(VALU_DEP_1)
	v_or_b32_e32 v7, 0x1000, v2
	v_lshrrev_b32_e32 v8, v3, v7
	s_delay_alu instid0(VALU_DEP_1) | instskip(NEXT) | instid1(VALU_DEP_1)
	v_lshlrev_b32_e32 v3, v3, v8
	v_cmp_ne_u32_e32 vcc_lo, v3, v7
	v_cndmask_b32_e64 v3, 0, 1, vcc_lo
	s_delay_alu instid0(VALU_DEP_1) | instskip(SKIP_1) | instid1(VALU_DEP_1)
	v_or_b32_e32 v3, v8, v3
	v_add_nc_u32_e32 v6, 0xfffffc10, v6
	v_lshl_or_b32 v7, v6, 12, v2
	v_cmp_gt_i32_e32 vcc_lo, 1, v6
	s_delay_alu instid0(VALU_DEP_2) | instskip(NEXT) | instid1(VALU_DEP_1)
	v_cndmask_b32_e32 v3, v7, v3, vcc_lo
	v_dual_lshrrev_b32 v3, 2, v3 :: v_dual_bitop2_b32 v7, 7, v3 bitop3:0x40
	s_delay_alu instid0(VALU_DEP_1) | instskip(SKIP_4) | instid1(VALU_DEP_2)
	v_cmp_lt_i32_e32 vcc_lo, 5, v7
	v_cndmask_b32_e64 v8, 0, 1, vcc_lo
	v_cmp_eq_u32_e32 vcc_lo, 3, v7
	v_cndmask_b32_e64 v7, 0, 1, vcc_lo
	v_cmp_ne_u32_e32 vcc_lo, 0, v2
	v_or_b32_e32 v7, v7, v8
	s_delay_alu instid0(VALU_DEP_1) | instskip(NEXT) | instid1(VALU_DEP_1)
	v_dual_mov_b32 v8, 0x7e00 :: v_dual_add_nc_u32 v3, v3, v7
	v_cndmask_b32_e32 v2, 0x7c00, v8, vcc_lo
	v_cmp_gt_i32_e32 vcc_lo, 31, v6
	s_delay_alu instid0(VALU_DEP_3) | instskip(SKIP_1) | instid1(VALU_DEP_2)
	v_cndmask_b32_e32 v3, 0x7c00, v3, vcc_lo
	v_cmp_eq_u32_e32 vcc_lo, 0x40f, v6
	v_dual_cndmask_b32 v2, v3, v2 :: v_dual_lshrrev_b32 v3, 16, v1
	s_delay_alu instid0(VALU_DEP_1)
	v_and_or_b32 v2, 0x8000, v3, v2
	global_store_b16 v[4:5], v2, off
.LBB9_1126:
	s_mov_b32 s4, 0
.LBB9_1127:
	s_delay_alu instid0(SALU_CYCLE_1)
	s_and_not1_b32 vcc_lo, exec_lo, s4
	s_cbranch_vccnz .LBB9_1143
; %bb.1128:
	s_sext_i32_i16 s5, s6
	s_mov_b32 s4, -1
	s_cmp_lt_i32 s5, 2
	s_cbranch_scc1 .LBB9_1138
; %bb.1129:
	s_cmp_lt_i32 s5, 3
	s_cbranch_scc1 .LBB9_1135
; %bb.1130:
	s_cmp_gt_i32 s5, 3
	s_cbranch_scc0 .LBB9_1132
; %bb.1131:
	s_wait_xcnt 0x0
	v_trunc_f64_e32 v[2:3], v[0:1]
	s_mov_b32 s4, 0
	s_wait_loadcnt 0x0
	s_delay_alu instid0(VALU_DEP_1) | instskip(NEXT) | instid1(VALU_DEP_1)
	v_ldexp_f64 v[6:7], v[2:3], 0xffffffe0
	v_floor_f64_e32 v[6:7], v[6:7]
	s_delay_alu instid0(VALU_DEP_1) | instskip(SKIP_1) | instid1(VALU_DEP_2)
	v_fmamk_f64 v[2:3], v[6:7], 0xc1f00000, v[2:3]
	v_cvt_i32_f64_e32 v7, v[6:7]
	v_cvt_u32_f64_e32 v6, v[2:3]
	global_store_b64 v[4:5], v[6:7], off
.LBB9_1132:
	s_and_not1_b32 vcc_lo, exec_lo, s4
	s_cbranch_vccnz .LBB9_1134
; %bb.1133:
	s_wait_xcnt 0x0
	v_cvt_i32_f64_e32 v2, v[0:1]
	global_store_b32 v[4:5], v2, off
.LBB9_1134:
	s_mov_b32 s4, 0
.LBB9_1135:
	s_delay_alu instid0(SALU_CYCLE_1)
	s_and_not1_b32 vcc_lo, exec_lo, s4
	s_cbranch_vccnz .LBB9_1137
; %bb.1136:
	s_wait_xcnt 0x0
	v_cvt_i32_f64_e32 v2, v[0:1]
	global_store_b16 v[4:5], v2, off
.LBB9_1137:
	s_mov_b32 s4, 0
.LBB9_1138:
	s_delay_alu instid0(SALU_CYCLE_1)
	s_and_not1_b32 vcc_lo, exec_lo, s4
	s_cbranch_vccnz .LBB9_1143
; %bb.1139:
	s_sext_i32_i16 s4, s6
	s_delay_alu instid0(SALU_CYCLE_1)
	s_cmp_gt_i32 s4, 0
	s_mov_b32 s4, -1
	s_cbranch_scc0 .LBB9_1141
; %bb.1140:
	s_wait_xcnt 0x0
	v_cvt_i32_f64_e32 v2, v[0:1]
	s_mov_b32 s4, 0
	global_store_b8 v[4:5], v2, off
.LBB9_1141:
	s_and_not1_b32 vcc_lo, exec_lo, s4
	s_cbranch_vccnz .LBB9_1143
; %bb.1142:
	s_wait_xcnt 0x0
	v_trunc_f64_e32 v[0:1], v[0:1]
	s_delay_alu instid0(VALU_DEP_1) | instskip(NEXT) | instid1(VALU_DEP_1)
	v_ldexp_f64 v[2:3], v[0:1], 0xffffffe0
	v_floor_f64_e32 v[2:3], v[2:3]
	s_delay_alu instid0(VALU_DEP_1) | instskip(NEXT) | instid1(VALU_DEP_1)
	v_fmamk_f64 v[0:1], v[2:3], 0xc1f00000, v[0:1]
	v_cvt_u32_f64_e32 v0, v[0:1]
	global_store_b8 v[4:5], v0, off
.LBB9_1143:
	s_wait_xcnt 0x0
	s_or_b32 exec_lo, exec_lo, s0
	s_delay_alu instid0(SALU_CYCLE_1)
	s_and_b32 s8, s1, exec_lo
                                        ; implicit-def: $vgpr5
                                        ; implicit-def: $vgpr4
.LBB9_1144:
	s_or_saveexec_b32 s9, s33
	s_mov_b32 s0, 0
                                        ; implicit-def: $vgpr0_vgpr1
                                        ; implicit-def: $sgpr6
                                        ; implicit-def: $vgpr12_vgpr13
	s_xor_b32 exec_lo, exec_lo, s9
	s_cbranch_execz .LBB9_1849
; %bb.1145:
	v_cndmask_b32_e64 v1, 0, 1, s31
	s_and_not1_b32 vcc_lo, exec_lo, s31
	s_cbranch_vccnz .LBB9_1151
; %bb.1146:
	s_cmp_lg_u32 s28, 0
	s_mov_b32 s10, 0
	s_cbranch_scc0 .LBB9_1152
; %bb.1147:
	s_min_u32 s1, s29, 15
	s_delay_alu instid0(SALU_CYCLE_1)
	s_add_co_i32 s1, s1, 1
	s_cmp_eq_u32 s29, 2
	s_cbranch_scc1 .LBB9_1153
; %bb.1148:
	v_dual_mov_b32 v2, 0 :: v_dual_mov_b32 v0, 0
	s_wait_loadcnt 0x0
	v_mov_b32_e32 v6, v4
	s_and_b32 s0, s1, 28
	s_add_nc_u64 s[4:5], s[2:3], 0xc4
	s_mov_b32 s11, 0
	s_mov_b64 s[6:7], s[2:3]
.LBB9_1149:                             ; =>This Inner Loop Header: Depth=1
	s_clause 0x1
	s_load_b256 s[12:19], s[6:7], 0x4
	s_load_b128 s[36:39], s[6:7], 0x24
	s_load_b256 s[20:27], s[4:5], 0x0
	s_add_co_i32 s11, s11, 4
	s_wait_xcnt 0x0
	s_add_nc_u64 s[6:7], s[6:7], 48
	s_cmp_lg_u32 s0, s11
	s_add_nc_u64 s[4:5], s[4:5], 32
	s_wait_kmcnt 0x0
	v_mul_hi_u32 v3, s13, v6
	s_delay_alu instid0(VALU_DEP_1) | instskip(NEXT) | instid1(VALU_DEP_1)
	v_add_nc_u32_e32 v3, v6, v3
	v_lshrrev_b32_e32 v3, s14, v3
	s_delay_alu instid0(VALU_DEP_1) | instskip(NEXT) | instid1(VALU_DEP_1)
	v_mul_lo_u32 v9, v3, s12
	v_sub_nc_u32_e32 v6, v6, v9
	v_mul_hi_u32 v7, s16, v3
	s_delay_alu instid0(VALU_DEP_2) | instskip(SKIP_1) | instid1(VALU_DEP_3)
	v_mad_u32 v0, v6, s21, v0
	v_mad_u32 v2, v6, s20, v2
	v_add_nc_u32_e32 v7, v3, v7
	s_delay_alu instid0(VALU_DEP_1) | instskip(NEXT) | instid1(VALU_DEP_1)
	v_lshrrev_b32_e32 v7, s17, v7
	v_mul_lo_u32 v9, v7, s15
	s_delay_alu instid0(VALU_DEP_1) | instskip(SKIP_1) | instid1(VALU_DEP_2)
	v_sub_nc_u32_e32 v3, v3, v9
	v_mul_hi_u32 v8, s19, v7
	v_mad_u32 v0, v3, s23, v0
	v_mad_u32 v2, v3, s22, v2
	s_delay_alu instid0(VALU_DEP_3) | instskip(NEXT) | instid1(VALU_DEP_1)
	v_add_nc_u32_e32 v8, v7, v8
	v_lshrrev_b32_e32 v8, s36, v8
	s_delay_alu instid0(VALU_DEP_1) | instskip(SKIP_1) | instid1(VALU_DEP_1)
	v_mul_hi_u32 v10, s38, v8
	v_mul_lo_u32 v9, v8, s18
	v_dual_add_nc_u32 v6, v8, v10 :: v_dual_sub_nc_u32 v3, v7, v9
	s_delay_alu instid0(VALU_DEP_1) | instskip(NEXT) | instid1(VALU_DEP_2)
	v_lshrrev_b32_e32 v6, s39, v6
	v_mad_u32 v0, v3, s25, v0
	v_mad_u32 v2, v3, s24, v2
	s_delay_alu instid0(VALU_DEP_3) | instskip(NEXT) | instid1(VALU_DEP_1)
	v_mul_lo_u32 v7, v6, s37
	v_sub_nc_u32_e32 v3, v8, v7
	s_delay_alu instid0(VALU_DEP_1) | instskip(NEXT) | instid1(VALU_DEP_4)
	v_mad_u32 v0, v3, s27, v0
	v_mad_u32 v2, v3, s26, v2
	s_cbranch_scc1 .LBB9_1149
; %bb.1150:
	s_delay_alu instid0(VALU_DEP_2)
	v_mov_b32_e32 v3, v0
	s_and_b32 s6, s1, 3
	s_mov_b32 s1, 0
	s_cmp_eq_u32 s6, 0
	s_cbranch_scc0 .LBB9_1154
	s_branch .LBB9_1157
.LBB9_1151:
	s_mov_b32 s10, -1
                                        ; implicit-def: $vgpr0
                                        ; implicit-def: $vgpr2
	s_branch .LBB9_1157
.LBB9_1152:
	v_dual_mov_b32 v0, 0 :: v_dual_mov_b32 v2, 0
	s_branch .LBB9_1157
.LBB9_1153:
	v_mov_b64_e32 v[2:3], 0
	s_wait_loadcnt 0x0
	v_mov_b32_e32 v6, v4
                                        ; implicit-def: $vgpr0
	s_and_b32 s6, s1, 3
	s_mov_b32 s1, 0
	s_cmp_eq_u32 s6, 0
	s_cbranch_scc1 .LBB9_1157
.LBB9_1154:
	s_lshl_b32 s4, s0, 3
	s_mov_b32 s5, s1
	s_mul_u64 s[12:13], s[0:1], 12
	s_add_nc_u64 s[4:5], s[2:3], s[4:5]
	s_delay_alu instid0(SALU_CYCLE_1)
	s_add_nc_u64 s[0:1], s[4:5], 0xc4
	s_add_nc_u64 s[4:5], s[2:3], s[12:13]
.LBB9_1155:                             ; =>This Inner Loop Header: Depth=1
	s_load_b96 s[12:14], s[4:5], 0x4
	s_add_co_i32 s6, s6, -1
	s_wait_xcnt 0x0
	s_add_nc_u64 s[4:5], s[4:5], 12
	s_cmp_lg_u32 s6, 0
	s_wait_kmcnt 0x0
	v_mul_hi_u32 v0, s13, v6
	s_delay_alu instid0(VALU_DEP_1) | instskip(NEXT) | instid1(VALU_DEP_1)
	v_add_nc_u32_e32 v0, v6, v0
	v_lshrrev_b32_e32 v0, s14, v0
	s_load_b64 s[14:15], s[0:1], 0x0
	s_wait_xcnt 0x0
	s_add_nc_u64 s[0:1], s[0:1], 8
	s_delay_alu instid0(VALU_DEP_1) | instskip(NEXT) | instid1(VALU_DEP_1)
	v_mul_lo_u32 v7, v0, s12
	v_sub_nc_u32_e32 v6, v6, v7
	s_wait_kmcnt 0x0
	s_delay_alu instid0(VALU_DEP_1)
	v_mad_u32 v3, v6, s15, v3
	v_mad_u32 v2, v6, s14, v2
	v_mov_b32_e32 v6, v0
	s_cbranch_scc1 .LBB9_1155
; %bb.1156:
	s_delay_alu instid0(VALU_DEP_3)
	v_mov_b32_e32 v0, v3
.LBB9_1157:
	s_and_not1_b32 vcc_lo, exec_lo, s10
	s_cbranch_vccnz .LBB9_1160
; %bb.1158:
	s_clause 0x1
	s_load_b96 s[4:6], s[2:3], 0x4
	s_load_b64 s[0:1], s[2:3], 0xc4
	s_cmp_lt_u32 s28, 2
	s_wait_kmcnt 0x0
	v_mul_hi_u32 v0, s5, v4
	s_delay_alu instid0(VALU_DEP_1) | instskip(NEXT) | instid1(VALU_DEP_1)
	v_add_nc_u32_e32 v0, v4, v0
	v_lshrrev_b32_e32 v3, s6, v0
	s_delay_alu instid0(VALU_DEP_1) | instskip(NEXT) | instid1(VALU_DEP_1)
	v_mul_lo_u32 v0, v3, s4
	v_sub_nc_u32_e32 v2, v4, v0
	s_delay_alu instid0(VALU_DEP_1)
	v_mul_lo_u32 v0, v2, s1
	v_mul_lo_u32 v2, v2, s0
	s_cbranch_scc1 .LBB9_1160
; %bb.1159:
	s_clause 0x1
	s_load_b96 s[4:6], s[2:3], 0x10
	s_load_b64 s[0:1], s[2:3], 0xcc
	s_wait_loadcnt 0x0
	s_wait_kmcnt 0x0
	v_mul_hi_u32 v6, s5, v3
	s_delay_alu instid0(VALU_DEP_1) | instskip(NEXT) | instid1(VALU_DEP_1)
	v_add_nc_u32_e32 v6, v3, v6
	v_lshrrev_b32_e32 v6, s6, v6
	s_delay_alu instid0(VALU_DEP_1) | instskip(NEXT) | instid1(VALU_DEP_1)
	v_mul_lo_u32 v6, v6, s4
	v_sub_nc_u32_e32 v3, v3, v6
	s_delay_alu instid0(VALU_DEP_1)
	v_mad_u32 v2, v3, s0, v2
	v_mad_u32 v0, v3, s1, v0
.LBB9_1160:
	v_cmp_ne_u32_e32 vcc_lo, 1, v1
	v_add_nc_u32_e32 v3, 0x80, v4
	s_cbranch_vccnz .LBB9_1166
; %bb.1161:
	s_cmp_lg_u32 s28, 0
	s_mov_b32 s10, 0
	s_cbranch_scc0 .LBB9_1167
; %bb.1162:
	s_min_u32 s1, s29, 15
	s_delay_alu instid0(SALU_CYCLE_1)
	s_add_co_i32 s1, s1, 1
	s_cmp_eq_u32 s29, 2
	s_cbranch_scc1 .LBB9_1168
; %bb.1163:
	s_wait_loadcnt 0x0
	v_dual_mov_b32 v6, 0 :: v_dual_mov_b32 v16, 0
	v_mov_b32_e32 v8, v3
	s_and_b32 s0, s1, 28
	s_add_nc_u64 s[4:5], s[2:3], 0xc4
	s_mov_b32 s11, 0
	s_mov_b64 s[6:7], s[2:3]
.LBB9_1164:                             ; =>This Inner Loop Header: Depth=1
	s_clause 0x1
	s_load_b256 s[12:19], s[6:7], 0x4
	s_load_b128 s[36:39], s[6:7], 0x24
	s_load_b256 s[20:27], s[4:5], 0x0
	s_add_co_i32 s11, s11, 4
	s_wait_xcnt 0x0
	s_add_nc_u64 s[6:7], s[6:7], 48
	s_cmp_lg_u32 s0, s11
	s_add_nc_u64 s[4:5], s[4:5], 32
	s_wait_kmcnt 0x0
	v_mul_hi_u32 v7, s13, v8
	s_delay_alu instid0(VALU_DEP_1) | instskip(NEXT) | instid1(VALU_DEP_1)
	v_add_nc_u32_e32 v7, v8, v7
	v_lshrrev_b32_e32 v7, s14, v7
	s_delay_alu instid0(VALU_DEP_1) | instskip(NEXT) | instid1(VALU_DEP_1)
	v_mul_hi_u32 v9, s16, v7
	v_add_nc_u32_e32 v9, v7, v9
	s_delay_alu instid0(VALU_DEP_1) | instskip(NEXT) | instid1(VALU_DEP_1)
	v_lshrrev_b32_e32 v9, s17, v9
	v_mul_hi_u32 v10, s19, v9
	s_delay_alu instid0(VALU_DEP_1) | instskip(SKIP_1) | instid1(VALU_DEP_1)
	v_add_nc_u32_e32 v10, v9, v10
	v_mul_lo_u32 v11, v7, s12
	v_sub_nc_u32_e32 v8, v8, v11
	v_mul_lo_u32 v11, v9, s15
	s_delay_alu instid0(VALU_DEP_4) | instskip(NEXT) | instid1(VALU_DEP_3)
	v_lshrrev_b32_e32 v10, s36, v10
	v_mad_u32 v13, v8, s21, v16
	v_mad_u32 v6, v8, s20, v6
	s_delay_alu instid0(VALU_DEP_4) | instskip(NEXT) | instid1(VALU_DEP_4)
	v_sub_nc_u32_e32 v7, v7, v11
	v_mul_hi_u32 v12, s38, v10
	v_mul_lo_u32 v11, v10, s18
	s_delay_alu instid0(VALU_DEP_3) | instskip(NEXT) | instid1(VALU_DEP_3)
	v_mad_u32 v6, v7, s22, v6
	v_add_nc_u32_e32 v8, v10, v12
	v_mad_u32 v12, v7, s23, v13
	s_delay_alu instid0(VALU_DEP_2) | instskip(NEXT) | instid1(VALU_DEP_1)
	v_dual_sub_nc_u32 v7, v9, v11 :: v_dual_lshrrev_b32 v8, s39, v8
	v_mad_u32 v6, v7, s24, v6
	s_delay_alu instid0(VALU_DEP_2) | instskip(NEXT) | instid1(VALU_DEP_4)
	v_mul_lo_u32 v9, v8, s37
	v_mad_u32 v11, v7, s25, v12
	s_delay_alu instid0(VALU_DEP_2) | instskip(NEXT) | instid1(VALU_DEP_1)
	v_sub_nc_u32_e32 v7, v10, v9
	v_mad_u32 v16, v7, s27, v11
	v_mad_u32 v6, v7, s26, v6
	s_cbranch_scc1 .LBB9_1164
; %bb.1165:
	s_delay_alu instid0(VALU_DEP_2)
	v_mov_b32_e32 v7, v16
	s_and_b32 s6, s1, 3
	s_mov_b32 s1, 0
	s_cmp_eq_u32 s6, 0
	s_cbranch_scc0 .LBB9_1169
	s_branch .LBB9_1172
.LBB9_1166:
	s_mov_b32 s10, -1
                                        ; implicit-def: $vgpr16
                                        ; implicit-def: $vgpr6
	s_branch .LBB9_1172
.LBB9_1167:
	s_wait_loadcnt 0x0
	v_dual_mov_b32 v16, 0 :: v_dual_mov_b32 v6, 0
	s_branch .LBB9_1172
.LBB9_1168:
	s_wait_loadcnt 0x0
	v_mov_b64_e32 v[6:7], 0
	v_mov_b32_e32 v8, v3
	s_mov_b32 s0, 0
                                        ; implicit-def: $vgpr16
	s_and_b32 s6, s1, 3
	s_mov_b32 s1, 0
	s_cmp_eq_u32 s6, 0
	s_cbranch_scc1 .LBB9_1172
.LBB9_1169:
	s_lshl_b32 s4, s0, 3
	s_mov_b32 s5, s1
	s_mul_u64 s[12:13], s[0:1], 12
	s_add_nc_u64 s[4:5], s[2:3], s[4:5]
	s_delay_alu instid0(SALU_CYCLE_1)
	s_add_nc_u64 s[0:1], s[4:5], 0xc4
	s_add_nc_u64 s[4:5], s[2:3], s[12:13]
.LBB9_1170:                             ; =>This Inner Loop Header: Depth=1
	s_load_b96 s[12:14], s[4:5], 0x4
	s_add_co_i32 s6, s6, -1
	s_wait_xcnt 0x0
	s_add_nc_u64 s[4:5], s[4:5], 12
	s_cmp_lg_u32 s6, 0
	s_wait_kmcnt 0x0
	v_mul_hi_u32 v9, s13, v8
	s_delay_alu instid0(VALU_DEP_1) | instskip(NEXT) | instid1(VALU_DEP_1)
	v_add_nc_u32_e32 v9, v8, v9
	v_lshrrev_b32_e32 v9, s14, v9
	s_load_b64 s[14:15], s[0:1], 0x0
	s_wait_xcnt 0x0
	s_add_nc_u64 s[0:1], s[0:1], 8
	s_delay_alu instid0(VALU_DEP_1) | instskip(NEXT) | instid1(VALU_DEP_1)
	v_mul_lo_u32 v10, v9, s12
	v_sub_nc_u32_e32 v8, v8, v10
	s_wait_kmcnt 0x0
	s_delay_alu instid0(VALU_DEP_1)
	v_mad_u32 v7, v8, s15, v7
	v_mad_u32 v6, v8, s14, v6
	v_mov_b32_e32 v8, v9
	s_cbranch_scc1 .LBB9_1170
; %bb.1171:
	s_delay_alu instid0(VALU_DEP_3)
	v_mov_b32_e32 v16, v7
.LBB9_1172:
	s_and_not1_b32 vcc_lo, exec_lo, s10
	s_cbranch_vccnz .LBB9_1175
; %bb.1173:
	s_clause 0x1
	s_load_b96 s[4:6], s[2:3], 0x4
	s_load_b64 s[0:1], s[2:3], 0xc4
	s_cmp_lt_u32 s28, 2
	s_wait_loadcnt 0x0
	s_wait_kmcnt 0x0
	v_mul_hi_u32 v6, s5, v3
	s_delay_alu instid0(VALU_DEP_1) | instskip(NEXT) | instid1(VALU_DEP_1)
	v_add_nc_u32_e32 v6, v3, v6
	v_lshrrev_b32_e32 v7, s6, v6
	s_delay_alu instid0(VALU_DEP_1) | instskip(NEXT) | instid1(VALU_DEP_1)
	v_mul_lo_u32 v6, v7, s4
	v_sub_nc_u32_e32 v3, v3, v6
	s_delay_alu instid0(VALU_DEP_1)
	v_mul_lo_u32 v16, v3, s1
	v_mul_lo_u32 v6, v3, s0
	s_cbranch_scc1 .LBB9_1175
; %bb.1174:
	s_clause 0x1
	s_load_b96 s[4:6], s[2:3], 0x10
	s_load_b64 s[0:1], s[2:3], 0xcc
	s_wait_kmcnt 0x0
	v_mul_hi_u32 v3, s5, v7
	s_delay_alu instid0(VALU_DEP_1) | instskip(NEXT) | instid1(VALU_DEP_1)
	v_add_nc_u32_e32 v3, v7, v3
	v_lshrrev_b32_e32 v3, s6, v3
	s_delay_alu instid0(VALU_DEP_1) | instskip(NEXT) | instid1(VALU_DEP_1)
	v_mul_lo_u32 v3, v3, s4
	v_sub_nc_u32_e32 v3, v7, v3
	s_delay_alu instid0(VALU_DEP_1)
	v_mad_u32 v6, v3, s0, v6
	v_mad_u32 v16, v3, s1, v16
.LBB9_1175:
	v_cmp_ne_u32_e32 vcc_lo, 1, v1
	v_add_nc_u32_e32 v3, 0x100, v4
	s_cbranch_vccnz .LBB9_1181
; %bb.1176:
	s_cmp_lg_u32 s28, 0
	s_mov_b32 s10, 0
	s_cbranch_scc0 .LBB9_1182
; %bb.1177:
	s_min_u32 s1, s29, 15
	s_delay_alu instid0(SALU_CYCLE_1)
	s_add_co_i32 s1, s1, 1
	s_cmp_eq_u32 s29, 2
	s_cbranch_scc1 .LBB9_1183
; %bb.1178:
	v_dual_mov_b32 v10, 0 :: v_dual_mov_b32 v8, 0
	v_mov_b32_e32 v4, v3
	s_and_b32 s0, s1, 28
	s_add_nc_u64 s[4:5], s[2:3], 0xc4
	s_mov_b32 s11, 0
	s_mov_b64 s[6:7], s[2:3]
.LBB9_1179:                             ; =>This Inner Loop Header: Depth=1
	s_clause 0x1
	s_load_b256 s[12:19], s[6:7], 0x4
	s_load_b128 s[36:39], s[6:7], 0x24
	s_load_b256 s[20:27], s[4:5], 0x0
	s_add_co_i32 s11, s11, 4
	s_wait_xcnt 0x0
	s_add_nc_u64 s[6:7], s[6:7], 48
	s_cmp_lg_u32 s0, s11
	s_add_nc_u64 s[4:5], s[4:5], 32
	s_wait_loadcnt 0x0
	s_wait_kmcnt 0x0
	v_mul_hi_u32 v7, s13, v4
	s_delay_alu instid0(VALU_DEP_1) | instskip(NEXT) | instid1(VALU_DEP_1)
	v_add_nc_u32_e32 v7, v4, v7
	v_lshrrev_b32_e32 v7, s14, v7
	s_delay_alu instid0(VALU_DEP_1) | instskip(NEXT) | instid1(VALU_DEP_1)
	v_mul_lo_u32 v12, v7, s12
	v_sub_nc_u32_e32 v4, v4, v12
	v_mul_hi_u32 v9, s16, v7
	s_delay_alu instid0(VALU_DEP_2) | instskip(SKIP_1) | instid1(VALU_DEP_3)
	v_mad_u32 v8, v4, s21, v8
	v_mad_u32 v4, v4, s20, v10
	v_add_nc_u32_e32 v9, v7, v9
	s_delay_alu instid0(VALU_DEP_1) | instskip(NEXT) | instid1(VALU_DEP_1)
	v_lshrrev_b32_e32 v9, s17, v9
	v_mul_hi_u32 v11, s19, v9
	v_mul_lo_u32 v12, v9, s15
	s_delay_alu instid0(VALU_DEP_1) | instskip(NEXT) | instid1(VALU_DEP_1)
	v_dual_add_nc_u32 v11, v9, v11 :: v_dual_sub_nc_u32 v7, v7, v12
	v_lshrrev_b32_e32 v11, s36, v11
	s_delay_alu instid0(VALU_DEP_2) | instskip(SKIP_1) | instid1(VALU_DEP_3)
	v_mad_u32 v8, v7, s23, v8
	v_mad_u32 v7, v7, s22, v4
	v_mul_hi_u32 v13, s38, v11
	v_mul_lo_u32 v10, v11, s18
	s_delay_alu instid0(VALU_DEP_1) | instskip(NEXT) | instid1(VALU_DEP_1)
	v_dual_add_nc_u32 v12, v11, v13 :: v_dual_sub_nc_u32 v9, v9, v10
	v_lshrrev_b32_e32 v4, s39, v12
	s_delay_alu instid0(VALU_DEP_2) | instskip(SKIP_1) | instid1(VALU_DEP_3)
	v_mad_u32 v8, v9, s25, v8
	v_mad_u32 v7, v9, s24, v7
	v_mul_lo_u32 v10, v4, s37
	s_delay_alu instid0(VALU_DEP_1) | instskip(NEXT) | instid1(VALU_DEP_1)
	v_sub_nc_u32_e32 v9, v11, v10
	v_mad_u32 v8, v9, s27, v8
	s_delay_alu instid0(VALU_DEP_4)
	v_mad_u32 v10, v9, s26, v7
	s_cbranch_scc1 .LBB9_1179
; %bb.1180:
	s_delay_alu instid0(VALU_DEP_2)
	v_mov_b32_e32 v11, v8
	s_and_b32 s6, s1, 3
	s_mov_b32 s1, 0
	s_cmp_eq_u32 s6, 0
	s_cbranch_scc0 .LBB9_1184
	s_branch .LBB9_1187
.LBB9_1181:
	s_mov_b32 s10, -1
                                        ; implicit-def: $vgpr8
                                        ; implicit-def: $vgpr10
	s_branch .LBB9_1187
.LBB9_1182:
	v_dual_mov_b32 v8, 0 :: v_dual_mov_b32 v10, 0
	s_branch .LBB9_1187
.LBB9_1183:
	v_mov_b64_e32 v[10:11], 0
	v_mov_b32_e32 v4, v3
	s_mov_b32 s0, 0
                                        ; implicit-def: $vgpr8
	s_and_b32 s6, s1, 3
	s_mov_b32 s1, 0
	s_cmp_eq_u32 s6, 0
	s_cbranch_scc1 .LBB9_1187
.LBB9_1184:
	s_lshl_b32 s4, s0, 3
	s_mov_b32 s5, s1
	s_mul_u64 s[12:13], s[0:1], 12
	s_add_nc_u64 s[4:5], s[2:3], s[4:5]
	s_delay_alu instid0(SALU_CYCLE_1)
	s_add_nc_u64 s[0:1], s[4:5], 0xc4
	s_add_nc_u64 s[4:5], s[2:3], s[12:13]
.LBB9_1185:                             ; =>This Inner Loop Header: Depth=1
	s_load_b96 s[12:14], s[4:5], 0x4
	s_add_co_i32 s6, s6, -1
	s_wait_xcnt 0x0
	s_add_nc_u64 s[4:5], s[4:5], 12
	s_cmp_lg_u32 s6, 0
	s_wait_loadcnt 0x0
	s_wait_kmcnt 0x0
	v_mul_hi_u32 v7, s13, v4
	s_delay_alu instid0(VALU_DEP_1) | instskip(NEXT) | instid1(VALU_DEP_1)
	v_add_nc_u32_e32 v7, v4, v7
	v_lshrrev_b32_e32 v7, s14, v7
	s_load_b64 s[14:15], s[0:1], 0x0
	s_wait_xcnt 0x0
	s_add_nc_u64 s[0:1], s[0:1], 8
	s_delay_alu instid0(VALU_DEP_1) | instskip(NEXT) | instid1(VALU_DEP_1)
	v_mul_lo_u32 v8, v7, s12
	v_sub_nc_u32_e32 v4, v4, v8
	s_wait_kmcnt 0x0
	s_delay_alu instid0(VALU_DEP_1)
	v_mad_u32 v11, v4, s15, v11
	v_mad_u32 v10, v4, s14, v10
	v_mov_b32_e32 v4, v7
	s_cbranch_scc1 .LBB9_1185
; %bb.1186:
	s_delay_alu instid0(VALU_DEP_3)
	v_mov_b32_e32 v8, v11
.LBB9_1187:
	s_and_not1_b32 vcc_lo, exec_lo, s10
	s_cbranch_vccnz .LBB9_1190
; %bb.1188:
	s_clause 0x1
	s_load_b96 s[4:6], s[2:3], 0x4
	s_load_b64 s[0:1], s[2:3], 0xc4
	s_cmp_lt_u32 s28, 2
	s_wait_kmcnt 0x0
	v_mul_hi_u32 v4, s5, v3
	s_delay_alu instid0(VALU_DEP_1) | instskip(NEXT) | instid1(VALU_DEP_1)
	v_add_nc_u32_e32 v4, v3, v4
	v_lshrrev_b32_e32 v4, s6, v4
	s_wait_loadcnt 0x0
	s_delay_alu instid0(VALU_DEP_1) | instskip(NEXT) | instid1(VALU_DEP_1)
	v_mul_lo_u32 v7, v4, s4
	v_sub_nc_u32_e32 v3, v3, v7
	s_delay_alu instid0(VALU_DEP_1)
	v_mul_lo_u32 v8, v3, s1
	v_mul_lo_u32 v10, v3, s0
	s_cbranch_scc1 .LBB9_1190
; %bb.1189:
	s_clause 0x1
	s_load_b96 s[4:6], s[2:3], 0x10
	s_load_b64 s[0:1], s[2:3], 0xcc
	s_wait_kmcnt 0x0
	v_mul_hi_u32 v3, s5, v4
	s_delay_alu instid0(VALU_DEP_1) | instskip(NEXT) | instid1(VALU_DEP_1)
	v_add_nc_u32_e32 v3, v4, v3
	v_lshrrev_b32_e32 v3, s6, v3
	s_delay_alu instid0(VALU_DEP_1) | instskip(NEXT) | instid1(VALU_DEP_1)
	v_mul_lo_u32 v3, v3, s4
	v_sub_nc_u32_e32 v3, v4, v3
	s_delay_alu instid0(VALU_DEP_1)
	v_mad_u32 v10, v3, s0, v10
	v_mad_u32 v8, v3, s1, v8
.LBB9_1190:
	v_cmp_ne_u32_e32 vcc_lo, 1, v1
	s_cbranch_vccnz .LBB9_1196
; %bb.1191:
	s_cmp_lg_u32 s28, 0
	s_mov_b32 s10, 0
	s_cbranch_scc0 .LBB9_1197
; %bb.1192:
	s_min_u32 s1, s29, 15
	s_delay_alu instid0(SALU_CYCLE_1)
	s_add_co_i32 s1, s1, 1
	s_cmp_eq_u32 s29, 2
	s_cbranch_scc1 .LBB9_1198
; %bb.1193:
	v_dual_mov_b32 v14, 0 :: v_dual_mov_b32 v12, 0
	v_mov_b32_e32 v1, v5
	s_and_b32 s0, s1, 28
	s_add_nc_u64 s[4:5], s[2:3], 0xc4
	s_mov_b32 s11, 0
	s_mov_b64 s[6:7], s[2:3]
.LBB9_1194:                             ; =>This Inner Loop Header: Depth=1
	s_clause 0x1
	s_load_b256 s[12:19], s[6:7], 0x4
	s_load_b128 s[36:39], s[6:7], 0x24
	s_load_b256 s[20:27], s[4:5], 0x0
	s_add_co_i32 s11, s11, 4
	s_wait_xcnt 0x0
	s_add_nc_u64 s[6:7], s[6:7], 48
	s_cmp_lg_u32 s0, s11
	s_add_nc_u64 s[4:5], s[4:5], 32
	s_wait_kmcnt 0x0
	v_mul_hi_u32 v3, s13, v1
	s_delay_alu instid0(VALU_DEP_1) | instskip(NEXT) | instid1(VALU_DEP_1)
	v_add_nc_u32_e32 v3, v1, v3
	v_lshrrev_b32_e32 v3, s14, v3
	s_delay_alu instid0(VALU_DEP_1) | instskip(NEXT) | instid1(VALU_DEP_1)
	v_mul_lo_u32 v9, v3, s12
	v_sub_nc_u32_e32 v1, v1, v9
	v_mul_hi_u32 v4, s16, v3
	s_delay_alu instid0(VALU_DEP_2) | instskip(SKIP_1) | instid1(VALU_DEP_3)
	v_mad_u32 v12, v1, s21, v12
	v_mad_u32 v1, v1, s20, v14
	v_add_nc_u32_e32 v4, v3, v4
	s_delay_alu instid0(VALU_DEP_1) | instskip(SKIP_1) | instid1(VALU_DEP_1)
	v_lshrrev_b32_e32 v4, s17, v4
	s_wait_loadcnt 0x0
	v_mul_hi_u32 v7, s19, v4
	v_mul_lo_u32 v9, v4, s15
	s_delay_alu instid0(VALU_DEP_1) | instskip(NEXT) | instid1(VALU_DEP_1)
	v_dual_add_nc_u32 v7, v4, v7 :: v_dual_sub_nc_u32 v3, v3, v9
	v_lshrrev_b32_e32 v7, s36, v7
	s_delay_alu instid0(VALU_DEP_2) | instskip(SKIP_1) | instid1(VALU_DEP_3)
	v_mad_u32 v12, v3, s23, v12
	v_mad_u32 v3, v3, s22, v1
	v_mul_hi_u32 v11, s38, v7
	v_mul_lo_u32 v9, v7, s18
	s_delay_alu instid0(VALU_DEP_1) | instskip(NEXT) | instid1(VALU_DEP_1)
	v_dual_add_nc_u32 v11, v7, v11 :: v_dual_sub_nc_u32 v4, v4, v9
	v_lshrrev_b32_e32 v1, s39, v11
	s_delay_alu instid0(VALU_DEP_2) | instskip(SKIP_1) | instid1(VALU_DEP_3)
	v_mad_u32 v11, v4, s25, v12
	v_mad_u32 v3, v4, s24, v3
	v_mul_lo_u32 v9, v1, s37
	s_delay_alu instid0(VALU_DEP_1) | instskip(NEXT) | instid1(VALU_DEP_1)
	v_sub_nc_u32_e32 v4, v7, v9
	v_mad_u32 v12, v4, s27, v11
	s_delay_alu instid0(VALU_DEP_4)
	v_mad_u32 v14, v4, s26, v3
	s_cbranch_scc1 .LBB9_1194
; %bb.1195:
	s_delay_alu instid0(VALU_DEP_2)
	v_mov_b32_e32 v15, v12
	s_and_b32 s6, s1, 3
	s_mov_b32 s1, 0
	s_cmp_eq_u32 s6, 0
	s_cbranch_scc0 .LBB9_1199
	s_branch .LBB9_1202
.LBB9_1196:
	s_mov_b32 s10, -1
                                        ; implicit-def: $vgpr12
                                        ; implicit-def: $vgpr14
	s_branch .LBB9_1202
.LBB9_1197:
	v_dual_mov_b32 v12, 0 :: v_dual_mov_b32 v14, 0
	s_branch .LBB9_1202
.LBB9_1198:
	v_mov_b64_e32 v[14:15], 0
	v_mov_b32_e32 v1, v5
	s_mov_b32 s0, 0
                                        ; implicit-def: $vgpr12
	s_and_b32 s6, s1, 3
	s_mov_b32 s1, 0
	s_cmp_eq_u32 s6, 0
	s_cbranch_scc1 .LBB9_1202
.LBB9_1199:
	s_lshl_b32 s4, s0, 3
	s_mov_b32 s5, s1
	s_mul_u64 s[12:13], s[0:1], 12
	s_add_nc_u64 s[4:5], s[2:3], s[4:5]
	s_delay_alu instid0(SALU_CYCLE_1)
	s_add_nc_u64 s[0:1], s[4:5], 0xc4
	s_add_nc_u64 s[4:5], s[2:3], s[12:13]
.LBB9_1200:                             ; =>This Inner Loop Header: Depth=1
	s_load_b96 s[12:14], s[4:5], 0x4
	s_add_co_i32 s6, s6, -1
	s_wait_xcnt 0x0
	s_add_nc_u64 s[4:5], s[4:5], 12
	s_cmp_lg_u32 s6, 0
	s_wait_kmcnt 0x0
	v_mul_hi_u32 v3, s13, v1
	s_delay_alu instid0(VALU_DEP_1) | instskip(NEXT) | instid1(VALU_DEP_1)
	v_add_nc_u32_e32 v3, v1, v3
	v_lshrrev_b32_e32 v3, s14, v3
	s_load_b64 s[14:15], s[0:1], 0x0
	s_wait_xcnt 0x0
	s_add_nc_u64 s[0:1], s[0:1], 8
	s_delay_alu instid0(VALU_DEP_1) | instskip(NEXT) | instid1(VALU_DEP_1)
	v_mul_lo_u32 v4, v3, s12
	v_sub_nc_u32_e32 v1, v1, v4
	s_wait_kmcnt 0x0
	s_delay_alu instid0(VALU_DEP_1)
	v_mad_u32 v15, v1, s15, v15
	v_mad_u32 v14, v1, s14, v14
	v_mov_b32_e32 v1, v3
	s_cbranch_scc1 .LBB9_1200
; %bb.1201:
	s_delay_alu instid0(VALU_DEP_3)
	v_mov_b32_e32 v12, v15
.LBB9_1202:
	s_and_not1_b32 vcc_lo, exec_lo, s10
	s_cbranch_vccnz .LBB9_1205
; %bb.1203:
	s_clause 0x1
	s_load_b96 s[4:6], s[2:3], 0x4
	s_load_b64 s[0:1], s[2:3], 0xc4
	s_cmp_lt_u32 s28, 2
	s_wait_kmcnt 0x0
	v_mul_hi_u32 v1, s5, v5
	s_delay_alu instid0(VALU_DEP_1) | instskip(NEXT) | instid1(VALU_DEP_1)
	v_add_nc_u32_e32 v1, v5, v1
	v_lshrrev_b32_e32 v1, s6, v1
	s_delay_alu instid0(VALU_DEP_1) | instskip(NEXT) | instid1(VALU_DEP_1)
	v_mul_lo_u32 v3, v1, s4
	v_sub_nc_u32_e32 v3, v5, v3
	s_delay_alu instid0(VALU_DEP_1)
	v_mul_lo_u32 v12, v3, s1
	v_mul_lo_u32 v14, v3, s0
	s_cbranch_scc1 .LBB9_1205
; %bb.1204:
	s_clause 0x1
	s_load_b96 s[4:6], s[2:3], 0x10
	s_load_b64 s[0:1], s[2:3], 0xcc
	s_wait_kmcnt 0x0
	v_mul_hi_u32 v3, s5, v1
	s_delay_alu instid0(VALU_DEP_1) | instskip(NEXT) | instid1(VALU_DEP_1)
	v_add_nc_u32_e32 v3, v1, v3
	v_lshrrev_b32_e32 v3, s6, v3
	s_delay_alu instid0(VALU_DEP_1) | instskip(NEXT) | instid1(VALU_DEP_1)
	v_mul_lo_u32 v3, v3, s4
	v_sub_nc_u32_e32 v1, v1, v3
	s_delay_alu instid0(VALU_DEP_1)
	v_mad_u32 v14, v1, s0, v14
	v_mad_u32 v12, v1, s1, v12
.LBB9_1205:
	v_mov_b32_e32 v1, 0
	s_load_b128 s[4:7], s[2:3], 0x148
	global_load_u8 v3, v1, s[2:3] offset:346
	s_wait_kmcnt 0x0
	v_add_nc_u64_e32 v[0:1], s[6:7], v[0:1]
	s_wait_loadcnt 0x0
	v_and_b32_e32 v4, 0xffff, v3
	v_readfirstlane_b32 s10, v3
	s_delay_alu instid0(VALU_DEP_2)
	v_cmp_gt_i32_e32 vcc_lo, 11, v4
	s_cbranch_vccnz .LBB9_1212
; %bb.1206:
	s_and_b32 s0, 0xffff, s10
	s_mov_b32 s11, 0
	s_cmp_gt_i32 s0, 25
	s_cbranch_scc0 .LBB9_1214
; %bb.1207:
	s_cmp_gt_i32 s0, 28
	s_cbranch_scc0 .LBB9_1215
; %bb.1208:
	;; [unrolled: 3-line block ×4, first 2 shown]
	s_cmp_eq_u32 s0, 46
	s_mov_b32 s13, 0
	s_cbranch_scc0 .LBB9_1220
; %bb.1211:
	global_load_b32 v3, v[0:1], off
	s_mov_b32 s1, 0
	s_mov_b32 s12, -1
	s_wait_loadcnt 0x0
	v_lshlrev_b32_e32 v3, 16, v3
	s_delay_alu instid0(VALU_DEP_1)
	v_cvt_f64_f32_e32 v[4:5], v3
	s_branch .LBB9_1222
.LBB9_1212:
	s_mov_b32 s12, 0
	s_mov_b32 s1, s8
                                        ; implicit-def: $vgpr4_vgpr5
	s_cbranch_execnz .LBB9_1285
.LBB9_1213:
	s_and_not1_b32 vcc_lo, exec_lo, s12
	s_cbranch_vccz .LBB9_1330
	s_branch .LBB9_1847
.LBB9_1214:
	s_mov_b32 s12, 0
	s_mov_b32 s1, 0
                                        ; implicit-def: $vgpr4_vgpr5
	s_cbranch_execnz .LBB9_1250
	s_branch .LBB9_1281
.LBB9_1215:
	s_mov_b32 s13, -1
	s_mov_b32 s12, 0
	s_mov_b32 s1, 0
                                        ; implicit-def: $vgpr4_vgpr5
	s_branch .LBB9_1231
.LBB9_1216:
	s_mov_b32 s12, 0
	s_mov_b32 s1, 0
                                        ; implicit-def: $vgpr4_vgpr5
	s_cbranch_execnz .LBB9_1227
	s_branch .LBB9_1230
.LBB9_1217:
	s_mov_b32 s13, -1
	s_mov_b32 s12, 0
	s_mov_b32 s1, 0
	s_branch .LBB9_1221
.LBB9_1218:
	s_and_not1_saveexec_b32 s9, s9
	s_cbranch_execz .LBB9_1057
.LBB9_1219:
	v_add_f32_e64 v3, 0x46000000, |v2|
	s_and_not1_b32 s8, s8, exec_lo
	s_delay_alu instid0(VALU_DEP_1) | instskip(NEXT) | instid1(VALU_DEP_1)
	v_and_b32_e32 v3, 0xff, v3
	v_cmp_ne_u32_e32 vcc_lo, 0, v3
	s_and_b32 s10, vcc_lo, exec_lo
	s_delay_alu instid0(SALU_CYCLE_1)
	s_or_b32 s8, s8, s10
	s_or_b32 exec_lo, exec_lo, s9
	v_mov_b32_e32 v6, 0
	s_and_saveexec_b32 s9, s8
	s_cbranch_execnz .LBB9_1058
	s_branch .LBB9_1059
.LBB9_1220:
	s_mov_b32 s1, -1
	s_mov_b32 s12, 0
.LBB9_1221:
                                        ; implicit-def: $vgpr4_vgpr5
.LBB9_1222:
	s_and_b32 vcc_lo, exec_lo, s13
	s_cbranch_vccz .LBB9_1225
; %bb.1223:
	s_cmp_eq_u32 s0, 44
	s_cbranch_scc0 .LBB9_1226
; %bb.1224:
	global_load_u8 v3, v[0:1], off
	s_mov_b32 s1, 0
	s_mov_b32 s12, -1
	s_wait_loadcnt 0x0
	v_cmp_ne_u32_e32 vcc_lo, 0xff, v3
	v_lshlrev_b32_e32 v4, 23, v3
	s_delay_alu instid0(VALU_DEP_1) | instskip(NEXT) | instid1(VALU_DEP_1)
	v_cvt_f64_f32_e32 v[4:5], v4
	v_cndmask_b32_e32 v4, 0x20000000, v4, vcc_lo
	s_delay_alu instid0(VALU_DEP_2) | instskip(SKIP_1) | instid1(VALU_DEP_2)
	v_cndmask_b32_e32 v5, 0x7ff80000, v5, vcc_lo
	v_cmp_ne_u32_e32 vcc_lo, 0, v3
	v_cndmask_b32_e32 v5, 0x38000000, v5, vcc_lo
	s_delay_alu instid0(VALU_DEP_4)
	v_cndmask_b32_e32 v4, 0, v4, vcc_lo
.LBB9_1225:
	s_branch .LBB9_1230
.LBB9_1226:
	s_mov_b32 s1, -1
                                        ; implicit-def: $vgpr4_vgpr5
	s_branch .LBB9_1230
.LBB9_1227:
	s_cmp_eq_u32 s0, 29
	s_cbranch_scc0 .LBB9_1229
; %bb.1228:
	global_load_b64 v[4:5], v[0:1], off
	s_mov_b32 s1, 0
	s_mov_b32 s12, -1
	s_mov_b32 s13, 0
	s_wait_loadcnt 0x0
	v_cvt_f64_u32_e32 v[18:19], v5
	v_cvt_f64_u32_e32 v[4:5], v4
	s_delay_alu instid0(VALU_DEP_2) | instskip(NEXT) | instid1(VALU_DEP_1)
	v_ldexp_f64 v[18:19], v[18:19], 32
	v_add_f64_e32 v[4:5], v[18:19], v[4:5]
	s_branch .LBB9_1231
.LBB9_1229:
	s_mov_b32 s1, -1
                                        ; implicit-def: $vgpr4_vgpr5
.LBB9_1230:
	s_mov_b32 s13, 0
.LBB9_1231:
	s_delay_alu instid0(SALU_CYCLE_1)
	s_and_b32 vcc_lo, exec_lo, s13
	s_cbranch_vccz .LBB9_1249
; %bb.1232:
	s_cmp_lt_i32 s0, 27
	s_cbranch_scc1 .LBB9_1235
; %bb.1233:
	s_cmp_gt_i32 s0, 27
	s_cbranch_scc0 .LBB9_1236
; %bb.1234:
	global_load_b32 v3, v[0:1], off
	s_mov_b32 s12, 0
	s_wait_loadcnt 0x0
	v_cvt_f64_u32_e32 v[4:5], v3
	s_branch .LBB9_1237
.LBB9_1235:
	s_mov_b32 s12, -1
                                        ; implicit-def: $vgpr4_vgpr5
	s_branch .LBB9_1240
.LBB9_1236:
	s_mov_b32 s12, -1
                                        ; implicit-def: $vgpr4_vgpr5
.LBB9_1237:
	s_delay_alu instid0(SALU_CYCLE_1)
	s_and_not1_b32 vcc_lo, exec_lo, s12
	s_cbranch_vccnz .LBB9_1239
; %bb.1238:
	global_load_u16 v3, v[0:1], off
	s_wait_loadcnt 0x0
	v_cvt_f64_u32_e32 v[4:5], v3
.LBB9_1239:
	s_mov_b32 s12, 0
.LBB9_1240:
	s_delay_alu instid0(SALU_CYCLE_1)
	s_and_not1_b32 vcc_lo, exec_lo, s12
	s_cbranch_vccnz .LBB9_1248
; %bb.1241:
	global_load_u8 v3, v[0:1], off
	s_mov_b32 s12, 0
	s_mov_b32 s13, exec_lo
	s_wait_loadcnt 0x0
	v_cmpx_lt_i16_e32 0x7f, v3
	s_xor_b32 s13, exec_lo, s13
	s_cbranch_execz .LBB9_1261
; %bb.1242:
	s_mov_b32 s12, -1
	s_mov_b32 s14, exec_lo
	v_cmpx_eq_u16_e32 0x80, v3
; %bb.1243:
	s_xor_b32 s12, exec_lo, -1
; %bb.1244:
	s_or_b32 exec_lo, exec_lo, s14
	s_delay_alu instid0(SALU_CYCLE_1)
	s_and_b32 s12, s12, exec_lo
	s_or_saveexec_b32 s13, s13
	v_mov_b64_e32 v[4:5], 0x7ff8000020000000
	s_xor_b32 exec_lo, exec_lo, s13
	s_cbranch_execnz .LBB9_1262
.LBB9_1245:
	s_or_b32 exec_lo, exec_lo, s13
	s_and_saveexec_b32 s13, s12
	s_cbranch_execz .LBB9_1247
.LBB9_1246:
	v_and_b32_e32 v4, 0xffff, v3
	s_delay_alu instid0(VALU_DEP_1) | instskip(SKIP_1) | instid1(VALU_DEP_2)
	v_and_b32_e32 v5, 7, v4
	v_bfe_u32 v11, v4, 3, 4
	v_clz_i32_u32_e32 v7, v5
	s_delay_alu instid0(VALU_DEP_2) | instskip(NEXT) | instid1(VALU_DEP_2)
	v_cmp_eq_u32_e32 vcc_lo, 0, v11
	v_min_u32_e32 v7, 32, v7
	s_delay_alu instid0(VALU_DEP_1) | instskip(NEXT) | instid1(VALU_DEP_1)
	v_subrev_nc_u32_e32 v9, 28, v7
	v_dual_lshlrev_b32 v4, v9, v4 :: v_dual_sub_nc_u32 v7, 29, v7
	s_delay_alu instid0(VALU_DEP_1) | instskip(NEXT) | instid1(VALU_DEP_1)
	v_dual_lshlrev_b32 v3, 24, v3 :: v_dual_bitop2_b32 v4, 7, v4 bitop3:0x40
	v_dual_cndmask_b32 v4, v5, v4 :: v_dual_cndmask_b32 v7, v11, v7
	s_delay_alu instid0(VALU_DEP_2) | instskip(NEXT) | instid1(VALU_DEP_2)
	v_and_b32_e32 v3, 0x80000000, v3
	v_lshlrev_b32_e32 v4, 20, v4
	s_delay_alu instid0(VALU_DEP_3) | instskip(NEXT) | instid1(VALU_DEP_1)
	v_lshl_add_u32 v5, v7, 23, 0x3b800000
	v_or3_b32 v3, v3, v5, v4
	s_delay_alu instid0(VALU_DEP_1)
	v_cvt_f64_f32_e32 v[4:5], v3
.LBB9_1247:
	s_or_b32 exec_lo, exec_lo, s13
.LBB9_1248:
	s_mov_b32 s12, -1
.LBB9_1249:
	s_branch .LBB9_1281
.LBB9_1250:
	s_cmp_gt_i32 s0, 22
	s_cbranch_scc0 .LBB9_1260
; %bb.1251:
	s_cmp_lt_i32 s0, 24
	s_cbranch_scc1 .LBB9_1263
; %bb.1252:
	s_cmp_gt_i32 s0, 24
	s_cbranch_scc0 .LBB9_1264
; %bb.1253:
	global_load_u8 v3, v[0:1], off
	s_mov_b32 s12, exec_lo
	s_wait_loadcnt 0x0
	v_cmpx_lt_i16_e32 0x7f, v3
	s_xor_b32 s12, exec_lo, s12
	s_cbranch_execz .LBB9_1275
; %bb.1254:
	s_mov_b32 s11, -1
	s_mov_b32 s13, exec_lo
	v_cmpx_eq_u16_e32 0x80, v3
; %bb.1255:
	s_xor_b32 s11, exec_lo, -1
; %bb.1256:
	s_or_b32 exec_lo, exec_lo, s13
	s_delay_alu instid0(SALU_CYCLE_1)
	s_and_b32 s11, s11, exec_lo
	s_or_saveexec_b32 s12, s12
	v_mov_b64_e32 v[4:5], 0x7ff8000020000000
	s_xor_b32 exec_lo, exec_lo, s12
	s_cbranch_execnz .LBB9_1276
.LBB9_1257:
	s_or_b32 exec_lo, exec_lo, s12
	s_and_saveexec_b32 s12, s11
	s_cbranch_execz .LBB9_1259
.LBB9_1258:
	v_and_b32_e32 v4, 0xffff, v3
	s_delay_alu instid0(VALU_DEP_1) | instskip(SKIP_1) | instid1(VALU_DEP_2)
	v_and_b32_e32 v5, 3, v4
	v_bfe_u32 v11, v4, 2, 5
	v_clz_i32_u32_e32 v7, v5
	s_delay_alu instid0(VALU_DEP_2) | instskip(NEXT) | instid1(VALU_DEP_2)
	v_cmp_eq_u32_e32 vcc_lo, 0, v11
	v_min_u32_e32 v7, 32, v7
	s_delay_alu instid0(VALU_DEP_1) | instskip(NEXT) | instid1(VALU_DEP_1)
	v_subrev_nc_u32_e32 v9, 29, v7
	v_dual_lshlrev_b32 v4, v9, v4 :: v_dual_sub_nc_u32 v7, 30, v7
	s_delay_alu instid0(VALU_DEP_1) | instskip(NEXT) | instid1(VALU_DEP_1)
	v_dual_lshlrev_b32 v3, 24, v3 :: v_dual_bitop2_b32 v4, 3, v4 bitop3:0x40
	v_dual_cndmask_b32 v4, v5, v4 :: v_dual_cndmask_b32 v7, v11, v7
	s_delay_alu instid0(VALU_DEP_2) | instskip(NEXT) | instid1(VALU_DEP_2)
	v_and_b32_e32 v3, 0x80000000, v3
	v_lshlrev_b32_e32 v4, 21, v4
	s_delay_alu instid0(VALU_DEP_3) | instskip(NEXT) | instid1(VALU_DEP_1)
	v_lshl_add_u32 v5, v7, 23, 0x37800000
	v_or3_b32 v3, v3, v5, v4
	s_delay_alu instid0(VALU_DEP_1)
	v_cvt_f64_f32_e32 v[4:5], v3
.LBB9_1259:
	s_or_b32 exec_lo, exec_lo, s12
	s_mov_b32 s11, 0
	s_branch .LBB9_1265
.LBB9_1260:
                                        ; implicit-def: $vgpr4_vgpr5
	s_mov_b32 s11, 0
	s_branch .LBB9_1271
.LBB9_1261:
	s_or_saveexec_b32 s13, s13
	v_mov_b64_e32 v[4:5], 0x7ff8000020000000
	s_xor_b32 exec_lo, exec_lo, s13
	s_cbranch_execz .LBB9_1245
.LBB9_1262:
	v_cmp_ne_u16_e32 vcc_lo, 0, v3
	v_mov_b64_e32 v[4:5], 0
	s_and_not1_b32 s12, s12, exec_lo
	s_and_b32 s14, vcc_lo, exec_lo
	s_delay_alu instid0(SALU_CYCLE_1)
	s_or_b32 s12, s12, s14
	s_or_b32 exec_lo, exec_lo, s13
	s_and_saveexec_b32 s13, s12
	s_cbranch_execnz .LBB9_1246
	s_branch .LBB9_1247
.LBB9_1263:
	s_mov_b32 s11, -1
                                        ; implicit-def: $vgpr4_vgpr5
	s_branch .LBB9_1268
.LBB9_1264:
	s_mov_b32 s11, -1
                                        ; implicit-def: $vgpr4_vgpr5
.LBB9_1265:
	s_delay_alu instid0(SALU_CYCLE_1)
	s_and_b32 vcc_lo, exec_lo, s11
	s_cbranch_vccz .LBB9_1267
; %bb.1266:
	global_load_u8 v3, v[0:1], off
	s_wait_loadcnt 0x0
	v_lshlrev_b32_e32 v3, 24, v3
	s_delay_alu instid0(VALU_DEP_1) | instskip(NEXT) | instid1(VALU_DEP_1)
	v_and_b32_e32 v4, 0x7f000000, v3
	v_clz_i32_u32_e32 v5, v4
	v_cmp_ne_u32_e32 vcc_lo, 0, v4
	v_add_nc_u32_e32 v9, 0x1000000, v4
	s_delay_alu instid0(VALU_DEP_3) | instskip(NEXT) | instid1(VALU_DEP_1)
	v_min_u32_e32 v5, 32, v5
	v_sub_nc_u32_e64 v5, v5, 4 clamp
	s_delay_alu instid0(VALU_DEP_1) | instskip(NEXT) | instid1(VALU_DEP_1)
	v_dual_lshlrev_b32 v7, v5, v4 :: v_dual_lshlrev_b32 v5, 23, v5
	v_lshrrev_b32_e32 v7, 4, v7
	s_delay_alu instid0(VALU_DEP_1) | instskip(SKIP_1) | instid1(VALU_DEP_2)
	v_sub_nc_u32_e32 v5, v7, v5
	v_ashrrev_i32_e32 v7, 8, v9
	v_add_nc_u32_e32 v5, 0x3c000000, v5
	s_delay_alu instid0(VALU_DEP_1) | instskip(NEXT) | instid1(VALU_DEP_1)
	v_and_or_b32 v5, 0x7f800000, v7, v5
	v_cndmask_b32_e32 v4, 0, v5, vcc_lo
	s_delay_alu instid0(VALU_DEP_1) | instskip(NEXT) | instid1(VALU_DEP_1)
	v_and_or_b32 v3, 0x80000000, v3, v4
	v_cvt_f64_f32_e32 v[4:5], v3
.LBB9_1267:
	s_mov_b32 s11, 0
.LBB9_1268:
	s_delay_alu instid0(SALU_CYCLE_1)
	s_and_not1_b32 vcc_lo, exec_lo, s11
	s_cbranch_vccnz .LBB9_1270
; %bb.1269:
	global_load_u8 v3, v[0:1], off
	s_wait_loadcnt 0x0
	v_lshlrev_b32_e32 v4, 25, v3
	v_lshlrev_b16 v3, 8, v3
	s_delay_alu instid0(VALU_DEP_1) | instskip(NEXT) | instid1(VALU_DEP_3)
	v_and_or_b32 v7, 0x7f00, v3, 0.5
	v_lshrrev_b32_e32 v5, 4, v4
	v_bfe_i32 v3, v3, 0, 16
	s_delay_alu instid0(VALU_DEP_3) | instskip(NEXT) | instid1(VALU_DEP_3)
	v_add_f32_e32 v7, -0.5, v7
	v_or_b32_e32 v5, 0x70000000, v5
	s_delay_alu instid0(VALU_DEP_1) | instskip(SKIP_1) | instid1(VALU_DEP_2)
	v_mul_f32_e32 v5, 0x7800000, v5
	v_cmp_gt_u32_e32 vcc_lo, 0x8000000, v4
	v_cndmask_b32_e32 v4, v5, v7, vcc_lo
	s_delay_alu instid0(VALU_DEP_1) | instskip(NEXT) | instid1(VALU_DEP_1)
	v_and_or_b32 v3, 0x80000000, v3, v4
	v_cvt_f64_f32_e32 v[4:5], v3
.LBB9_1270:
	s_mov_b32 s12, -1
	s_mov_b32 s11, 0
	s_cbranch_execnz .LBB9_1281
.LBB9_1271:
	s_cmp_gt_i32 s0, 14
	s_cbranch_scc0 .LBB9_1274
; %bb.1272:
	s_cmp_eq_u32 s0, 15
	s_cbranch_scc0 .LBB9_1277
; %bb.1273:
	global_load_u16 v3, v[0:1], off
	s_mov_b32 s1, 0
	s_mov_b32 s12, -1
	s_wait_loadcnt 0x0
	v_lshlrev_b32_e32 v3, 16, v3
	s_delay_alu instid0(VALU_DEP_1)
	v_cvt_f64_f32_e32 v[4:5], v3
	s_branch .LBB9_1279
.LBB9_1274:
	s_mov_b32 s11, -1
	s_branch .LBB9_1278
.LBB9_1275:
	s_or_saveexec_b32 s12, s12
	v_mov_b64_e32 v[4:5], 0x7ff8000020000000
	s_xor_b32 exec_lo, exec_lo, s12
	s_cbranch_execz .LBB9_1257
.LBB9_1276:
	v_cmp_ne_u16_e32 vcc_lo, 0, v3
	v_mov_b64_e32 v[4:5], 0
	s_and_not1_b32 s11, s11, exec_lo
	s_and_b32 s13, vcc_lo, exec_lo
	s_delay_alu instid0(SALU_CYCLE_1)
	s_or_b32 s11, s11, s13
	s_or_b32 exec_lo, exec_lo, s12
	s_and_saveexec_b32 s12, s11
	s_cbranch_execnz .LBB9_1258
	s_branch .LBB9_1259
.LBB9_1277:
	s_mov_b32 s1, -1
.LBB9_1278:
                                        ; implicit-def: $vgpr4_vgpr5
.LBB9_1279:
	s_and_b32 vcc_lo, exec_lo, s11
	s_mov_b32 s11, 0
	s_cbranch_vccz .LBB9_1281
; %bb.1280:
	s_cmp_lg_u32 s0, 11
	s_mov_b32 s11, -1
	s_cselect_b32 s1, -1, 0
.LBB9_1281:
	s_delay_alu instid0(SALU_CYCLE_1)
	s_and_b32 vcc_lo, exec_lo, s1
	s_mov_b32 s1, s8
	s_cbranch_vccnz .LBB9_1354
; %bb.1282:
	s_and_not1_b32 vcc_lo, exec_lo, s11
	s_cbranch_vccnz .LBB9_1284
.LBB9_1283:
	global_load_u8 v3, v[0:1], off
	v_mov_b32_e32 v4, 0
	s_mov_b32 s12, -1
	s_wait_loadcnt 0x0
	v_cmp_ne_u16_e32 vcc_lo, 0, v3
	v_cndmask_b32_e64 v5, 0, 0x3ff00000, vcc_lo
.LBB9_1284:
	s_branch .LBB9_1213
.LBB9_1285:
	s_and_b32 s0, 0xffff, s10
	s_delay_alu instid0(SALU_CYCLE_1)
	s_cmp_lt_i32 s0, 5
	s_cbranch_scc1 .LBB9_1290
; %bb.1286:
	s_cmp_lt_i32 s0, 8
	s_cbranch_scc1 .LBB9_1291
; %bb.1287:
	;; [unrolled: 3-line block ×3, first 2 shown]
	s_cmp_gt_i32 s0, 9
	s_cbranch_scc0 .LBB9_1293
; %bb.1289:
	global_load_b64 v[4:5], v[0:1], off
	s_mov_b32 s11, 0
	s_branch .LBB9_1294
.LBB9_1290:
                                        ; implicit-def: $vgpr4_vgpr5
	s_branch .LBB9_1311
.LBB9_1291:
                                        ; implicit-def: $vgpr4_vgpr5
	s_branch .LBB9_1300
.LBB9_1292:
	s_mov_b32 s11, -1
                                        ; implicit-def: $vgpr4_vgpr5
	s_branch .LBB9_1297
.LBB9_1293:
	s_mov_b32 s11, -1
                                        ; implicit-def: $vgpr4_vgpr5
.LBB9_1294:
	s_delay_alu instid0(SALU_CYCLE_1)
	s_and_not1_b32 vcc_lo, exec_lo, s11
	s_cbranch_vccnz .LBB9_1296
; %bb.1295:
	global_load_b32 v3, v[0:1], off
	s_wait_loadcnt 0x0
	v_cvt_f64_f32_e32 v[4:5], v3
.LBB9_1296:
	s_mov_b32 s11, 0
.LBB9_1297:
	s_delay_alu instid0(SALU_CYCLE_1)
	s_and_not1_b32 vcc_lo, exec_lo, s11
	s_cbranch_vccnz .LBB9_1299
; %bb.1298:
	global_load_b32 v3, v[0:1], off
	s_wait_loadcnt 0x0
	v_cvt_f32_f16_e32 v3, v3
	s_delay_alu instid0(VALU_DEP_1)
	v_cvt_f64_f32_e32 v[4:5], v3
.LBB9_1299:
	s_cbranch_execnz .LBB9_1310
.LBB9_1300:
	s_cmp_lt_i32 s0, 6
	s_cbranch_scc1 .LBB9_1303
; %bb.1301:
	s_cmp_gt_i32 s0, 6
	s_cbranch_scc0 .LBB9_1304
; %bb.1302:
	s_wait_loadcnt 0x0
	global_load_b64 v[4:5], v[0:1], off
	s_mov_b32 s11, 0
	s_branch .LBB9_1305
.LBB9_1303:
	s_mov_b32 s11, -1
                                        ; implicit-def: $vgpr4_vgpr5
	s_branch .LBB9_1308
.LBB9_1304:
	s_mov_b32 s11, -1
                                        ; implicit-def: $vgpr4_vgpr5
.LBB9_1305:
	s_delay_alu instid0(SALU_CYCLE_1)
	s_and_not1_b32 vcc_lo, exec_lo, s11
	s_cbranch_vccnz .LBB9_1307
; %bb.1306:
	global_load_b32 v3, v[0:1], off
	s_wait_loadcnt 0x0
	v_cvt_f64_f32_e32 v[4:5], v3
.LBB9_1307:
	s_mov_b32 s11, 0
.LBB9_1308:
	s_delay_alu instid0(SALU_CYCLE_1)
	s_and_not1_b32 vcc_lo, exec_lo, s11
	s_cbranch_vccnz .LBB9_1310
; %bb.1309:
	global_load_u16 v3, v[0:1], off
	s_wait_loadcnt 0x0
	v_cvt_f32_f16_e32 v3, v3
	s_delay_alu instid0(VALU_DEP_1)
	v_cvt_f64_f32_e32 v[4:5], v3
.LBB9_1310:
	s_cbranch_execnz .LBB9_1329
.LBB9_1311:
	s_cmp_lt_i32 s0, 2
	s_cbranch_scc1 .LBB9_1315
; %bb.1312:
	s_cmp_lt_i32 s0, 3
	s_cbranch_scc1 .LBB9_1316
; %bb.1313:
	s_cmp_gt_i32 s0, 3
	s_cbranch_scc0 .LBB9_1317
; %bb.1314:
	s_wait_loadcnt 0x0
	global_load_b64 v[4:5], v[0:1], off
	s_mov_b32 s11, 0
	s_wait_loadcnt 0x0
	v_cvt_f64_i32_e32 v[18:19], v5
	v_cvt_f64_u32_e32 v[4:5], v4
	s_delay_alu instid0(VALU_DEP_2) | instskip(NEXT) | instid1(VALU_DEP_1)
	v_ldexp_f64 v[18:19], v[18:19], 32
	v_add_f64_e32 v[4:5], v[18:19], v[4:5]
	s_branch .LBB9_1318
.LBB9_1315:
                                        ; implicit-def: $vgpr4_vgpr5
	s_branch .LBB9_1324
.LBB9_1316:
	s_mov_b32 s11, -1
                                        ; implicit-def: $vgpr4_vgpr5
	s_branch .LBB9_1321
.LBB9_1317:
	s_mov_b32 s11, -1
                                        ; implicit-def: $vgpr4_vgpr5
.LBB9_1318:
	s_delay_alu instid0(SALU_CYCLE_1)
	s_and_not1_b32 vcc_lo, exec_lo, s11
	s_cbranch_vccnz .LBB9_1320
; %bb.1319:
	global_load_b32 v3, v[0:1], off
	s_wait_loadcnt 0x0
	v_cvt_f64_i32_e32 v[4:5], v3
.LBB9_1320:
	s_mov_b32 s11, 0
.LBB9_1321:
	s_delay_alu instid0(SALU_CYCLE_1)
	s_and_not1_b32 vcc_lo, exec_lo, s11
	s_cbranch_vccnz .LBB9_1323
; %bb.1322:
	global_load_i16 v3, v[0:1], off
	s_wait_loadcnt 0x0
	v_cvt_f64_i32_e32 v[4:5], v3
.LBB9_1323:
	s_cbranch_execnz .LBB9_1329
.LBB9_1324:
	s_cmp_gt_i32 s0, 0
	s_mov_b32 s0, 0
	s_cbranch_scc0 .LBB9_1326
; %bb.1325:
	global_load_i8 v3, v[0:1], off
	s_wait_loadcnt 0x0
	v_cvt_f64_i32_e32 v[4:5], v3
	s_branch .LBB9_1327
.LBB9_1326:
	s_mov_b32 s0, -1
                                        ; implicit-def: $vgpr4_vgpr5
.LBB9_1327:
	s_delay_alu instid0(SALU_CYCLE_1)
	s_and_not1_b32 vcc_lo, exec_lo, s0
	s_cbranch_vccnz .LBB9_1329
; %bb.1328:
	global_load_u8 v0, v[0:1], off
	s_wait_loadcnt 0x0
	v_cvt_f64_u32_e32 v[4:5], v0
.LBB9_1329:
.LBB9_1330:
	s_wait_loadcnt 0x0
	s_delay_alu instid0(VALU_DEP_1) | instskip(SKIP_2) | instid1(SALU_CYCLE_1)
	v_cmp_ge_f64_e64 s0, 0x40200000, |v[4:5]|
                                        ; implicit-def: $vgpr0_vgpr1
	s_wait_xcnt 0x0
	s_and_saveexec_b32 s11, s0
	s_xor_b32 s0, exec_lo, s11
	s_cbranch_execz .LBB9_1336
; %bb.1331:
	v_fma_f64 v[0:1], |v[4:5]|, 0.5, -2.0
	s_mov_b64 s[12:13], 0x3c499f2a0c3c4014
	s_mov_b32 s11, exec_lo
	s_delay_alu instid0(VALU_DEP_1) | instskip(SKIP_1) | instid1(SALU_CYCLE_1)
	v_fmaak_f64 v[18:19], s[12:13], v[0:1], 0xbc7857d0c38a0576
	s_mov_b64 s[12:13], 0x3ff71547652b82fe
	v_mul_f64_e64 v[22:23], |v[4:5]|, s[12:13]
	s_mov_b64 s[12:13], 0xbfe62e42fefa39ef
	s_delay_alu instid0(VALU_DEP_2) | instskip(NEXT) | instid1(VALU_DEP_1)
	v_fmaak_f64 v[20:21], v[0:1], v[18:19], 0xbc499f2a0c3c4014
	v_add_f64_e32 v[20:21], 0x3ca663e3e593bfac, v[20:21]
	s_delay_alu instid0(VALU_DEP_3) | instskip(NEXT) | instid1(VALU_DEP_2)
	v_rndne_f64_e32 v[22:23], v[22:23]
	v_fma_f64 v[18:19], v[0:1], v[20:21], -v[18:19]
	s_delay_alu instid0(VALU_DEP_2) | instskip(SKIP_2) | instid1(VALU_DEP_3)
	v_fma_f64 v[24:25], v[22:23], s[12:13], |v[4:5]|
	s_mov_b64 s[12:13], 0x3e5ade156a5dcb37
	v_cvt_i32_f64_e32 v3, v[22:23]
	v_add_f64_e32 v[18:19], 0xbcd3eaaa7e0d1573, v[18:19]
	s_delay_alu instid0(VALU_DEP_1) | instskip(NEXT) | instid1(VALU_DEP_1)
	v_fma_f64 v[20:21], v[0:1], v[18:19], -v[20:21]
	v_add_f64_e32 v[20:21], 0x3d011d7f0615290c, v[20:21]
	s_delay_alu instid0(VALU_DEP_1) | instskip(NEXT) | instid1(VALU_DEP_1)
	v_fma_f64 v[18:19], v[0:1], v[20:21], -v[18:19]
	;; [unrolled: 3-line block ×24, first 2 shown]
	v_add_f64_e32 v[18:19], 0xbfc694d10469192e, v[18:19]
	s_delay_alu instid0(VALU_DEP_1) | instskip(SKIP_1) | instid1(VALU_DEP_1)
	v_fma_f64 v[0:1], v[0:1], v[18:19], -v[20:21]
	v_fmamk_f64 v[18:19], v[22:23], 0xbc7abc9e3b39803f, v[24:25]
	v_fmaak_f64 v[24:25], s[12:13], v[18:19], 0x3e928af3fca7ab0c
	s_delay_alu instid0(VALU_DEP_1) | instskip(NEXT) | instid1(VALU_DEP_1)
	v_fmaak_f64 v[24:25], v[18:19], v[24:25], 0x3ec71dee623fde64
	v_fmaak_f64 v[24:25], v[18:19], v[24:25], 0x3efa01997c89e6b0
	s_delay_alu instid0(VALU_DEP_1) | instskip(SKIP_1) | instid1(VALU_DEP_2)
	v_fmaak_f64 v[24:25], v[18:19], v[24:25], 0x3f2a01a014761f6e
	v_add_f64_e32 v[0:1], 0x3fd02a63724a7ffa, v[0:1]
	v_fmaak_f64 v[24:25], v[18:19], v[24:25], 0x3f56c16c1852b7b0
	s_delay_alu instid0(VALU_DEP_2) | instskip(NEXT) | instid1(VALU_DEP_2)
	v_add_f64_e64 v[0:1], v[0:1], -v[20:21]
	v_fmaak_f64 v[20:21], v[18:19], v[24:25], 0x3f81111111122322
	s_delay_alu instid0(VALU_DEP_1) | instskip(NEXT) | instid1(VALU_DEP_1)
	v_fmaak_f64 v[20:21], v[18:19], v[20:21], 0x3fa55555555502a1
	v_fmaak_f64 v[20:21], v[18:19], v[20:21], 0x3fc5555555555511
	s_delay_alu instid0(VALU_DEP_1) | instskip(NEXT) | instid1(VALU_DEP_1)
	v_fmaak_f64 v[20:21], v[18:19], v[20:21], 0x3fe000000000000b
	v_fma_f64 v[20:21], v[18:19], v[20:21], 1.0
	v_mul_f64_e32 v[0:1], 0.5, v[0:1]
	s_delay_alu instid0(VALU_DEP_2) | instskip(NEXT) | instid1(VALU_DEP_2)
	v_fma_f64 v[20:21], v[18:19], v[20:21], 1.0
	v_mul_f64_e64 v[18:19], |v[4:5]|, v[0:1]
                                        ; implicit-def: $vgpr0_vgpr1
	v_cmpx_ngt_f64_e32 0, v[4:5]
	s_xor_b32 s11, exec_lo, s11
	s_cbranch_execz .LBB9_1333
; %bb.1332:
	s_delay_alu instid0(VALU_DEP_3) | instskip(SKIP_1) | instid1(VALU_DEP_2)
	v_ldexp_f64 v[0:1], v[20:21], v3
	v_cmp_nlt_f64_e64 vcc_lo, 0x40900000, |v[4:5]|
                                        ; implicit-def: $vgpr20_vgpr21
                                        ; implicit-def: $vgpr3
                                        ; implicit-def: $vgpr4_vgpr5
	v_cndmask_b32_e32 v1, 0x7ff00000, v1, vcc_lo
	s_delay_alu instid0(VALU_DEP_3) | instskip(NEXT) | instid1(VALU_DEP_1)
	v_cndmask_b32_e32 v0, 0, v0, vcc_lo
	v_mul_f64_e32 v[0:1], v[0:1], v[18:19]
                                        ; implicit-def: $vgpr18_vgpr19
.LBB9_1333:
	s_and_not1_saveexec_b32 s11, s11
	s_cbranch_execz .LBB9_1335
; %bb.1334:
	s_delay_alu instid0(VALU_DEP_3) | instskip(SKIP_1) | instid1(VALU_DEP_2)
	v_ldexp_f64 v[0:1], -v[20:21], v3
	v_cmp_nlt_f64_e64 vcc_lo, 0x40900000, |v[4:5]|
	v_cndmask_b32_e32 v1, 0xfff00000, v1, vcc_lo
	s_delay_alu instid0(VALU_DEP_3) | instskip(NEXT) | instid1(VALU_DEP_1)
	v_cndmask_b32_e32 v0, 0, v0, vcc_lo
	v_mul_f64_e32 v[0:1], v[0:1], v[18:19]
.LBB9_1335:
	s_or_b32 exec_lo, exec_lo, s11
                                        ; implicit-def: $vgpr4_vgpr5
.LBB9_1336:
	s_and_not1_saveexec_b32 s11, s0
	s_cbranch_execz .LBB9_1342
; %bb.1337:
	v_and_b32_e32 v1, 0x7fffffff, v5
	v_mov_b32_e32 v0, v4
	s_mov_b64 s[12:13], 0x3c61556db352e8e6
	v_cmp_ngt_f64_e64 s0, 0, v[4:5]
	s_delay_alu instid0(VALU_DEP_2) | instskip(SKIP_1) | instid1(VALU_DEP_2)
	v_div_scale_f64 v[18:19], null, v[0:1], v[0:1], 0x40400000
	v_div_scale_f64 v[0:1], vcc_lo, 0x40400000, v[0:1], 0x40400000
	v_rcp_f64_e32 v[20:21], v[18:19]
	v_nop
	s_delay_alu instid0(TRANS32_DEP_1) | instskip(NEXT) | instid1(VALU_DEP_1)
	v_fma_f64 v[22:23], -v[18:19], v[20:21], 1.0
	v_fmac_f64_e32 v[20:21], v[20:21], v[22:23]
	s_delay_alu instid0(VALU_DEP_1) | instskip(NEXT) | instid1(VALU_DEP_1)
	v_fma_f64 v[22:23], -v[18:19], v[20:21], 1.0
	v_fmac_f64_e32 v[20:21], v[20:21], v[22:23]
	s_delay_alu instid0(VALU_DEP_1) | instskip(NEXT) | instid1(VALU_DEP_1)
	v_mul_f64_e32 v[22:23], v[0:1], v[20:21]
	v_fma_f64 v[0:1], -v[18:19], v[22:23], v[0:1]
	s_delay_alu instid0(VALU_DEP_1) | instskip(SKIP_1) | instid1(VALU_DEP_2)
	v_div_fmas_f64 v[0:1], v[0:1], v[20:21], v[22:23]
	v_cmp_nlt_f64_e64 vcc_lo, 0x40900000, |v[4:5]|
	v_div_fixup_f64 v[0:1], v[0:1], |v[4:5]|, 0x40400000
	s_delay_alu instid0(VALU_DEP_1) | instskip(NEXT) | instid1(VALU_DEP_1)
	v_add_f64_e32 v[0:1], -2.0, v[0:1]
	v_fmaak_f64 v[18:19], s[12:13], v[0:1], 0x3c545b8aea87b950
	s_mov_b64 s[12:13], 0x3ff71547652b82fe
	s_delay_alu instid0(SALU_CYCLE_1) | instskip(SKIP_1) | instid1(VALU_DEP_2)
	v_mul_f64_e64 v[22:23], |v[4:5]|, s[12:13]
	s_mov_b64 s[12:13], 0xbfe62e42fefa39ef
	v_fmaak_f64 v[20:21], v[0:1], v[18:19], 0xbc61556db352e8e6
	s_delay_alu instid0(VALU_DEP_1) | instskip(NEXT) | instid1(VALU_DEP_3)
	v_add_f64_e32 v[20:21], 0xbc8acea3b2532277, v[20:21]
	v_rndne_f64_e32 v[22:23], v[22:23]
	s_delay_alu instid0(VALU_DEP_2) | instskip(NEXT) | instid1(VALU_DEP_2)
	v_fma_f64 v[18:19], v[0:1], v[20:21], -v[18:19]
	v_fma_f64 v[24:25], v[22:23], s[12:13], |v[4:5]|
	s_mov_b64 s[12:13], 0x3e5ade156a5dcb37
	v_cvt_i32_f64_e32 v3, v[22:23]
	s_delay_alu instid0(VALU_DEP_3) | instskip(NEXT) | instid1(VALU_DEP_3)
	v_add_f64_e32 v[18:19], 0xbc82806c9c773320, v[18:19]
	v_fmamk_f64 v[24:25], v[22:23], 0xbc7abc9e3b39803f, v[24:25]
	s_delay_alu instid0(VALU_DEP_1) | instskip(NEXT) | instid1(VALU_DEP_3)
	v_fmaak_f64 v[26:27], s[12:13], v[24:25], 0x3e928af3fca7ab0c
	v_fma_f64 v[20:21], v[0:1], v[18:19], -v[20:21]
	s_delay_alu instid0(VALU_DEP_2) | instskip(NEXT) | instid1(VALU_DEP_1)
	v_fmaak_f64 v[26:27], v[24:25], v[26:27], 0x3ec71dee623fde64
	v_fmaak_f64 v[26:27], v[24:25], v[26:27], 0x3efa01997c89e6b0
	s_delay_alu instid0(VALU_DEP_1) | instskip(NEXT) | instid1(VALU_DEP_1)
	v_fmaak_f64 v[26:27], v[24:25], v[26:27], 0x3f2a01a014761f6e
	v_fmaak_f64 v[26:27], v[24:25], v[26:27], 0x3f56c16c1852b7b0
	s_delay_alu instid0(VALU_DEP_1) | instskip(SKIP_1) | instid1(VALU_DEP_2)
	v_fmaak_f64 v[26:27], v[24:25], v[26:27], 0x3f81111111122322
	v_add_f64_e32 v[20:21], 0x3cb55915fceb588a, v[20:21]
	v_fmaak_f64 v[26:27], v[24:25], v[26:27], 0x3fa55555555502a1
	s_delay_alu instid0(VALU_DEP_1) | instskip(NEXT) | instid1(VALU_DEP_1)
	v_fmaak_f64 v[26:27], v[24:25], v[26:27], 0x3fc5555555555511
	v_fmaak_f64 v[26:27], v[24:25], v[26:27], 0x3fe000000000000b
	s_delay_alu instid0(VALU_DEP_1) | instskip(SKIP_1) | instid1(VALU_DEP_1)
	v_fma_f64 v[26:27], v[24:25], v[26:27], 1.0
	v_fma_f64 v[18:19], v[0:1], v[20:21], -v[18:19]
	v_add_f64_e32 v[18:19], 0x3cb7d68e5f04a2d1, v[18:19]
	s_delay_alu instid0(VALU_DEP_1) | instskip(NEXT) | instid1(VALU_DEP_1)
	v_fma_f64 v[20:21], v[0:1], v[18:19], -v[20:21]
	v_add_f64_e32 v[20:21], 0xbce0efcd8bc4d22a, v[20:21]
	s_delay_alu instid0(VALU_DEP_1) | instskip(NEXT) | instid1(VALU_DEP_1)
	;; [unrolled: 3-line block ×18, first 2 shown]
	v_fma_f64 v[18:19], v[0:1], v[20:21], -v[18:19]
	v_add_f64_e32 v[18:19], 0xbf83fda053fcdb4c, v[18:19]
	s_delay_alu instid0(VALU_DEP_1) | instskip(SKIP_1) | instid1(VALU_DEP_2)
	v_fma_f64 v[0:1], v[0:1], v[18:19], -v[20:21]
	v_fma_f64 v[18:19], v[24:25], v[26:27], 1.0
	v_add_f64_e32 v[0:1], 0x3fe8ea18b55b1514, v[0:1]
	s_delay_alu instid0(VALU_DEP_2) | instskip(NEXT) | instid1(VALU_DEP_2)
	v_ldexp_f64 v[18:19], v[18:19], v3
	v_add_f64_e64 v[20:21], v[0:1], -v[20:21]
	s_delay_alu instid0(VALU_DEP_2) | instskip(NEXT) | instid1(VALU_DEP_3)
	v_cndmask_b32_e32 v19, 0x7ff00000, v19, vcc_lo
	v_cndmask_b32_e32 v18, 0, v18, vcc_lo
                                        ; implicit-def: $vgpr0_vgpr1
	s_and_saveexec_b32 s12, s0
	s_delay_alu instid0(SALU_CYCLE_1)
	s_xor_b32 s0, exec_lo, s12
	s_cbranch_execz .LBB9_1339
; %bb.1338:
	v_cmp_gt_f64_e64 s12, 0x10000000, |v[4:5]|
	s_delay_alu instid0(VALU_DEP_1) | instskip(SKIP_1) | instid1(VALU_DEP_2)
	v_cndmask_b32_e64 v0, 0, 0x100, s12
	v_cndmask_b32_e64 v3, 0, 0xffffff80, s12
	v_ldexp_f64 v[0:1], |v[4:5]|, v0
	s_delay_alu instid0(VALU_DEP_1) | instskip(SKIP_1) | instid1(TRANS32_DEP_1)
	v_rsq_f64_e32 v[4:5], v[0:1]
	v_cmp_class_f64_e64 vcc_lo, v[0:1], 0x260
	v_mul_f64_e32 v[22:23], v[0:1], v[4:5]
	v_mul_f64_e32 v[4:5], 0.5, v[4:5]
	s_delay_alu instid0(VALU_DEP_1) | instskip(NEXT) | instid1(VALU_DEP_1)
	v_fma_f64 v[24:25], -v[4:5], v[22:23], 0.5
	v_fmac_f64_e32 v[22:23], v[22:23], v[24:25]
	v_fmac_f64_e32 v[4:5], v[4:5], v[24:25]
	s_delay_alu instid0(VALU_DEP_2) | instskip(NEXT) | instid1(VALU_DEP_1)
	v_fma_f64 v[24:25], -v[22:23], v[22:23], v[0:1]
	v_fmac_f64_e32 v[22:23], v[24:25], v[4:5]
	s_delay_alu instid0(VALU_DEP_1) | instskip(NEXT) | instid1(VALU_DEP_1)
	v_fma_f64 v[24:25], -v[22:23], v[22:23], v[0:1]
	v_fmac_f64_e32 v[22:23], v[24:25], v[4:5]
	v_mul_f64_e32 v[4:5], 0.5, v[20:21]
	s_delay_alu instid0(VALU_DEP_2) | instskip(NEXT) | instid1(VALU_DEP_2)
	v_ldexp_f64 v[20:21], v[22:23], v3
	v_mul_f64_e32 v[4:5], v[18:19], v[4:5]
	s_delay_alu instid0(VALU_DEP_2) | instskip(NEXT) | instid1(VALU_DEP_1)
	v_dual_cndmask_b32 v1, v21, v1 :: v_dual_cndmask_b32 v0, v20, v0
	v_div_scale_f64 v[18:19], null, v[0:1], v[0:1], v[4:5]
	s_delay_alu instid0(VALU_DEP_1) | instskip(SKIP_1) | instid1(TRANS32_DEP_1)
	v_rcp_f64_e32 v[20:21], v[18:19]
	v_nop
	v_fma_f64 v[22:23], -v[18:19], v[20:21], 1.0
	s_delay_alu instid0(VALU_DEP_1) | instskip(NEXT) | instid1(VALU_DEP_1)
	v_fmac_f64_e32 v[20:21], v[20:21], v[22:23]
	v_fma_f64 v[22:23], -v[18:19], v[20:21], 1.0
	s_delay_alu instid0(VALU_DEP_1) | instskip(SKIP_1) | instid1(VALU_DEP_1)
	v_fmac_f64_e32 v[20:21], v[20:21], v[22:23]
	v_div_scale_f64 v[22:23], vcc_lo, v[4:5], v[0:1], v[4:5]
	v_mul_f64_e32 v[24:25], v[22:23], v[20:21]
	s_delay_alu instid0(VALU_DEP_1) | instskip(NEXT) | instid1(VALU_DEP_1)
	v_fma_f64 v[18:19], -v[18:19], v[24:25], v[22:23]
	v_div_fmas_f64 v[18:19], v[18:19], v[20:21], v[24:25]
                                        ; implicit-def: $vgpr20_vgpr21
	s_delay_alu instid0(VALU_DEP_1)
	v_div_fixup_f64 v[0:1], v[18:19], v[0:1], v[4:5]
                                        ; implicit-def: $vgpr4_vgpr5
                                        ; implicit-def: $vgpr18_vgpr19
.LBB9_1339:
	s_and_not1_saveexec_b32 s0, s0
	s_cbranch_execz .LBB9_1341
; %bb.1340:
	v_cmp_gt_f64_e64 s12, 0x10000000, |v[4:5]|
	s_delay_alu instid0(VALU_DEP_1) | instskip(SKIP_1) | instid1(VALU_DEP_2)
	v_cndmask_b32_e64 v0, 0, 0x100, s12
	v_cndmask_b32_e64 v3, 0, 0xffffff80, s12
	v_ldexp_f64 v[0:1], |v[4:5]|, v0
	s_delay_alu instid0(VALU_DEP_1) | instskip(SKIP_1) | instid1(TRANS32_DEP_1)
	v_rsq_f64_e32 v[4:5], v[0:1]
	v_cmp_class_f64_e64 vcc_lo, v[0:1], 0x260
	v_mul_f64_e32 v[22:23], v[0:1], v[4:5]
	v_mul_f64_e32 v[4:5], 0.5, v[4:5]
	s_delay_alu instid0(VALU_DEP_1) | instskip(NEXT) | instid1(VALU_DEP_1)
	v_fma_f64 v[24:25], -v[4:5], v[22:23], 0.5
	v_fmac_f64_e32 v[22:23], v[22:23], v[24:25]
	v_fmac_f64_e32 v[4:5], v[4:5], v[24:25]
	s_delay_alu instid0(VALU_DEP_2) | instskip(NEXT) | instid1(VALU_DEP_1)
	v_fma_f64 v[24:25], -v[22:23], v[22:23], v[0:1]
	v_fmac_f64_e32 v[22:23], v[24:25], v[4:5]
	s_delay_alu instid0(VALU_DEP_1) | instskip(NEXT) | instid1(VALU_DEP_1)
	v_fma_f64 v[24:25], -v[22:23], v[22:23], v[0:1]
	v_fmac_f64_e32 v[22:23], v[24:25], v[4:5]
	v_mul_f64_e32 v[4:5], -0.5, v[20:21]
	s_delay_alu instid0(VALU_DEP_2) | instskip(NEXT) | instid1(VALU_DEP_2)
	v_ldexp_f64 v[20:21], v[22:23], v3
	v_mul_f64_e32 v[4:5], v[18:19], v[4:5]
	s_delay_alu instid0(VALU_DEP_2) | instskip(NEXT) | instid1(VALU_DEP_1)
	v_dual_cndmask_b32 v1, v21, v1 :: v_dual_cndmask_b32 v0, v20, v0
	v_div_scale_f64 v[18:19], null, v[0:1], v[0:1], v[4:5]
	s_delay_alu instid0(VALU_DEP_1) | instskip(SKIP_1) | instid1(TRANS32_DEP_1)
	v_rcp_f64_e32 v[20:21], v[18:19]
	v_nop
	v_fma_f64 v[22:23], -v[18:19], v[20:21], 1.0
	s_delay_alu instid0(VALU_DEP_1) | instskip(NEXT) | instid1(VALU_DEP_1)
	v_fmac_f64_e32 v[20:21], v[20:21], v[22:23]
	v_fma_f64 v[22:23], -v[18:19], v[20:21], 1.0
	s_delay_alu instid0(VALU_DEP_1) | instskip(SKIP_1) | instid1(VALU_DEP_1)
	v_fmac_f64_e32 v[20:21], v[20:21], v[22:23]
	v_div_scale_f64 v[22:23], vcc_lo, v[4:5], v[0:1], v[4:5]
	v_mul_f64_e32 v[24:25], v[22:23], v[20:21]
	s_delay_alu instid0(VALU_DEP_1) | instskip(NEXT) | instid1(VALU_DEP_1)
	v_fma_f64 v[18:19], -v[18:19], v[24:25], v[22:23]
	v_div_fmas_f64 v[18:19], v[18:19], v[20:21], v[24:25]
	s_delay_alu instid0(VALU_DEP_1)
	v_div_fixup_f64 v[0:1], v[18:19], v[0:1], v[4:5]
.LBB9_1341:
	s_or_b32 exec_lo, exec_lo, s0
.LBB9_1342:
	s_delay_alu instid0(SALU_CYCLE_1) | instskip(SKIP_2) | instid1(SALU_CYCLE_1)
	s_or_b32 exec_lo, exec_lo, s11
	v_mov_b32_e32 v17, 0
	s_and_b32 s10, 0xffff, s10
	s_cmp_lt_i32 s10, 11
	s_delay_alu instid0(VALU_DEP_1)
	v_add_nc_u64_e32 v[4:5], s[6:7], v[16:17]
	s_cbranch_scc1 .LBB9_1349
; %bb.1343:
	s_cmp_gt_i32 s10, 25
	s_mov_b32 s11, 0
	s_cbranch_scc0 .LBB9_1351
; %bb.1344:
	s_cmp_gt_i32 s10, 28
	s_cbranch_scc0 .LBB9_1352
; %bb.1345:
	s_cmp_gt_i32 s10, 43
	;; [unrolled: 3-line block ×3, first 2 shown]
	s_cbranch_scc0 .LBB9_1355
; %bb.1347:
	s_cmp_eq_u32 s10, 46
	s_mov_b32 s13, 0
	s_cbranch_scc0 .LBB9_1358
; %bb.1348:
	global_load_b32 v3, v[4:5], off
	s_mov_b32 s0, 0
	s_mov_b32 s12, -1
	s_wait_loadcnt 0x0
	v_lshlrev_b32_e32 v3, 16, v3
	s_delay_alu instid0(VALU_DEP_1)
	v_cvt_f64_f32_e32 v[16:17], v3
	s_branch .LBB9_1360
.LBB9_1349:
	s_mov_b32 s12, 0
                                        ; implicit-def: $vgpr16_vgpr17
	s_cbranch_execnz .LBB9_1425
.LBB9_1350:
	s_and_not1_b32 vcc_lo, exec_lo, s12
	s_cbranch_vccnz .LBB9_1847
	s_branch .LBB9_1472
.LBB9_1351:
	s_mov_b32 s12, 0
	s_mov_b32 s0, 0
                                        ; implicit-def: $vgpr16_vgpr17
	s_cbranch_execnz .LBB9_1389
	s_branch .LBB9_1421
.LBB9_1352:
	s_mov_b32 s13, -1
	s_mov_b32 s12, 0
	s_mov_b32 s0, 0
                                        ; implicit-def: $vgpr16_vgpr17
	s_branch .LBB9_1370
.LBB9_1353:
	s_mov_b32 s13, -1
	s_mov_b32 s12, 0
	s_mov_b32 s0, 0
                                        ; implicit-def: $vgpr16_vgpr17
	s_branch .LBB9_1365
.LBB9_1354:
	s_or_b32 s1, s8, exec_lo
	s_trap 2
	s_cbranch_execz .LBB9_1283
	s_branch .LBB9_1284
.LBB9_1355:
	s_mov_b32 s13, -1
	s_mov_b32 s12, 0
	s_mov_b32 s0, 0
	s_branch .LBB9_1359
.LBB9_1356:
	s_and_not1_saveexec_b32 s10, s10
	s_cbranch_execz .LBB9_1069
.LBB9_1357:
	v_add_f32_e64 v3, 0x42800000, |v2|
	s_and_not1_b32 s9, s9, exec_lo
	s_delay_alu instid0(VALU_DEP_1) | instskip(NEXT) | instid1(VALU_DEP_1)
	v_and_b32_e32 v3, 0xff, v3
	v_cmp_ne_u32_e32 vcc_lo, 0, v3
	s_and_b32 s11, vcc_lo, exec_lo
	s_delay_alu instid0(SALU_CYCLE_1)
	s_or_b32 s9, s9, s11
	s_or_b32 exec_lo, exec_lo, s10
	v_mov_b32_e32 v6, 0
	s_and_saveexec_b32 s10, s9
	s_cbranch_execnz .LBB9_1070
	s_branch .LBB9_1071
.LBB9_1358:
	s_mov_b32 s0, -1
	s_mov_b32 s12, 0
.LBB9_1359:
                                        ; implicit-def: $vgpr16_vgpr17
.LBB9_1360:
	s_and_b32 vcc_lo, exec_lo, s13
	s_cbranch_vccz .LBB9_1364
; %bb.1361:
	s_cmp_eq_u32 s10, 44
	s_cbranch_scc0 .LBB9_1363
; %bb.1362:
	global_load_u8 v3, v[4:5], off
	s_mov_b32 s0, 0
	s_mov_b32 s12, -1
	s_wait_loadcnt 0x0
	v_lshlrev_b32_e32 v7, 23, v3
	v_cmp_ne_u32_e32 vcc_lo, 0xff, v3
	s_delay_alu instid0(VALU_DEP_2) | instskip(NEXT) | instid1(VALU_DEP_1)
	v_cvt_f64_f32_e32 v[16:17], v7
	v_cndmask_b32_e32 v7, 0x20000000, v16, vcc_lo
	s_delay_alu instid0(VALU_DEP_2) | instskip(SKIP_1) | instid1(VALU_DEP_2)
	v_cndmask_b32_e32 v9, 0x7ff80000, v17, vcc_lo
	v_cmp_ne_u32_e32 vcc_lo, 0, v3
	v_cndmask_b32_e32 v17, 0x38000000, v9, vcc_lo
	s_delay_alu instid0(VALU_DEP_4)
	v_cndmask_b32_e32 v16, 0, v7, vcc_lo
	s_branch .LBB9_1364
.LBB9_1363:
	s_mov_b32 s0, -1
                                        ; implicit-def: $vgpr16_vgpr17
.LBB9_1364:
	s_mov_b32 s13, 0
.LBB9_1365:
	s_delay_alu instid0(SALU_CYCLE_1)
	s_and_b32 vcc_lo, exec_lo, s13
	s_cbranch_vccz .LBB9_1369
; %bb.1366:
	s_cmp_eq_u32 s10, 29
	s_cbranch_scc0 .LBB9_1368
; %bb.1367:
	global_load_b64 v[16:17], v[4:5], off
	s_mov_b32 s0, 0
	s_mov_b32 s12, -1
	s_mov_b32 s13, 0
	s_wait_loadcnt 0x0
	v_cvt_f64_u32_e32 v[18:19], v17
	v_cvt_f64_u32_e32 v[16:17], v16
	s_delay_alu instid0(VALU_DEP_2) | instskip(NEXT) | instid1(VALU_DEP_1)
	v_ldexp_f64 v[18:19], v[18:19], 32
	v_add_f64_e32 v[16:17], v[18:19], v[16:17]
	s_branch .LBB9_1370
.LBB9_1368:
	s_mov_b32 s0, -1
                                        ; implicit-def: $vgpr16_vgpr17
.LBB9_1369:
	s_mov_b32 s13, 0
.LBB9_1370:
	s_delay_alu instid0(SALU_CYCLE_1)
	s_and_b32 vcc_lo, exec_lo, s13
	s_cbranch_vccz .LBB9_1388
; %bb.1371:
	s_cmp_lt_i32 s10, 27
	s_cbranch_scc1 .LBB9_1374
; %bb.1372:
	s_cmp_gt_i32 s10, 27
	s_cbranch_scc0 .LBB9_1375
; %bb.1373:
	global_load_b32 v3, v[4:5], off
	s_mov_b32 s12, 0
	s_wait_loadcnt 0x0
	v_cvt_f64_u32_e32 v[16:17], v3
	s_branch .LBB9_1376
.LBB9_1374:
	s_mov_b32 s12, -1
                                        ; implicit-def: $vgpr16_vgpr17
	s_branch .LBB9_1379
.LBB9_1375:
	s_mov_b32 s12, -1
                                        ; implicit-def: $vgpr16_vgpr17
.LBB9_1376:
	s_delay_alu instid0(SALU_CYCLE_1)
	s_and_not1_b32 vcc_lo, exec_lo, s12
	s_cbranch_vccnz .LBB9_1378
; %bb.1377:
	global_load_u16 v3, v[4:5], off
	s_wait_loadcnt 0x0
	v_cvt_f64_u32_e32 v[16:17], v3
.LBB9_1378:
	s_mov_b32 s12, 0
.LBB9_1379:
	s_delay_alu instid0(SALU_CYCLE_1)
	s_and_not1_b32 vcc_lo, exec_lo, s12
	s_cbranch_vccnz .LBB9_1387
; %bb.1380:
	global_load_u8 v3, v[4:5], off
	s_mov_b32 s12, 0
	s_mov_b32 s13, exec_lo
	s_wait_loadcnt 0x0
	v_cmpx_lt_i16_e32 0x7f, v3
	s_xor_b32 s13, exec_lo, s13
	s_cbranch_execz .LBB9_1400
; %bb.1381:
	s_mov_b32 s12, -1
	s_mov_b32 s14, exec_lo
	v_cmpx_eq_u16_e32 0x80, v3
; %bb.1382:
	s_xor_b32 s12, exec_lo, -1
; %bb.1383:
	s_or_b32 exec_lo, exec_lo, s14
	s_delay_alu instid0(SALU_CYCLE_1)
	s_and_b32 s12, s12, exec_lo
	s_or_saveexec_b32 s13, s13
	v_mov_b64_e32 v[16:17], 0x7ff8000020000000
	s_xor_b32 exec_lo, exec_lo, s13
	s_cbranch_execnz .LBB9_1401
.LBB9_1384:
	s_or_b32 exec_lo, exec_lo, s13
	s_and_saveexec_b32 s13, s12
	s_cbranch_execz .LBB9_1386
.LBB9_1385:
	v_and_b32_e32 v7, 0xffff, v3
	v_lshlrev_b32_e32 v3, 24, v3
	s_delay_alu instid0(VALU_DEP_2) | instskip(SKIP_1) | instid1(VALU_DEP_3)
	v_and_b32_e32 v9, 7, v7
	v_bfe_u32 v15, v7, 3, 4
	v_and_b32_e32 v3, 0x80000000, v3
	s_delay_alu instid0(VALU_DEP_3) | instskip(NEXT) | instid1(VALU_DEP_3)
	v_clz_i32_u32_e32 v11, v9
	v_cmp_eq_u32_e32 vcc_lo, 0, v15
	s_delay_alu instid0(VALU_DEP_2) | instskip(NEXT) | instid1(VALU_DEP_1)
	v_min_u32_e32 v11, 32, v11
	v_subrev_nc_u32_e32 v13, 28, v11
	v_sub_nc_u32_e32 v11, 29, v11
	s_delay_alu instid0(VALU_DEP_2) | instskip(NEXT) | instid1(VALU_DEP_2)
	v_lshlrev_b32_e32 v7, v13, v7
	v_cndmask_b32_e32 v11, v15, v11, vcc_lo
	s_delay_alu instid0(VALU_DEP_2) | instskip(NEXT) | instid1(VALU_DEP_1)
	v_and_b32_e32 v7, 7, v7
	v_cndmask_b32_e32 v7, v9, v7, vcc_lo
	s_delay_alu instid0(VALU_DEP_3) | instskip(NEXT) | instid1(VALU_DEP_2)
	v_lshl_add_u32 v9, v11, 23, 0x3b800000
	v_lshlrev_b32_e32 v7, 20, v7
	s_delay_alu instid0(VALU_DEP_1) | instskip(NEXT) | instid1(VALU_DEP_1)
	v_or3_b32 v3, v3, v9, v7
	v_cvt_f64_f32_e32 v[16:17], v3
.LBB9_1386:
	s_or_b32 exec_lo, exec_lo, s13
.LBB9_1387:
	s_mov_b32 s12, -1
.LBB9_1388:
	s_branch .LBB9_1421
.LBB9_1389:
	s_cmp_gt_i32 s10, 22
	s_cbranch_scc0 .LBB9_1399
; %bb.1390:
	s_cmp_lt_i32 s10, 24
	s_cbranch_scc1 .LBB9_1402
; %bb.1391:
	s_cmp_gt_i32 s10, 24
	s_cbranch_scc0 .LBB9_1403
; %bb.1392:
	global_load_u8 v3, v[4:5], off
	s_mov_b32 s12, exec_lo
	s_wait_loadcnt 0x0
	v_cmpx_lt_i16_e32 0x7f, v3
	s_xor_b32 s12, exec_lo, s12
	s_cbranch_execz .LBB9_1415
; %bb.1393:
	s_mov_b32 s11, -1
	s_mov_b32 s13, exec_lo
	v_cmpx_eq_u16_e32 0x80, v3
; %bb.1394:
	s_xor_b32 s11, exec_lo, -1
; %bb.1395:
	s_or_b32 exec_lo, exec_lo, s13
	s_delay_alu instid0(SALU_CYCLE_1)
	s_and_b32 s11, s11, exec_lo
	s_or_saveexec_b32 s12, s12
	v_mov_b64_e32 v[16:17], 0x7ff8000020000000
	s_xor_b32 exec_lo, exec_lo, s12
	s_cbranch_execnz .LBB9_1416
.LBB9_1396:
	s_or_b32 exec_lo, exec_lo, s12
	s_and_saveexec_b32 s12, s11
	s_cbranch_execz .LBB9_1398
.LBB9_1397:
	v_and_b32_e32 v7, 0xffff, v3
	v_lshlrev_b32_e32 v3, 24, v3
	s_delay_alu instid0(VALU_DEP_2) | instskip(SKIP_1) | instid1(VALU_DEP_3)
	v_and_b32_e32 v9, 3, v7
	v_bfe_u32 v15, v7, 2, 5
	v_and_b32_e32 v3, 0x80000000, v3
	s_delay_alu instid0(VALU_DEP_3) | instskip(NEXT) | instid1(VALU_DEP_3)
	v_clz_i32_u32_e32 v11, v9
	v_cmp_eq_u32_e32 vcc_lo, 0, v15
	s_delay_alu instid0(VALU_DEP_2) | instskip(NEXT) | instid1(VALU_DEP_1)
	v_min_u32_e32 v11, 32, v11
	v_subrev_nc_u32_e32 v13, 29, v11
	v_sub_nc_u32_e32 v11, 30, v11
	s_delay_alu instid0(VALU_DEP_2) | instskip(NEXT) | instid1(VALU_DEP_2)
	v_lshlrev_b32_e32 v7, v13, v7
	v_cndmask_b32_e32 v11, v15, v11, vcc_lo
	s_delay_alu instid0(VALU_DEP_2) | instskip(NEXT) | instid1(VALU_DEP_1)
	v_and_b32_e32 v7, 3, v7
	v_cndmask_b32_e32 v7, v9, v7, vcc_lo
	s_delay_alu instid0(VALU_DEP_3) | instskip(NEXT) | instid1(VALU_DEP_2)
	v_lshl_add_u32 v9, v11, 23, 0x37800000
	v_lshlrev_b32_e32 v7, 21, v7
	s_delay_alu instid0(VALU_DEP_1) | instskip(NEXT) | instid1(VALU_DEP_1)
	v_or3_b32 v3, v3, v9, v7
	v_cvt_f64_f32_e32 v[16:17], v3
.LBB9_1398:
	s_or_b32 exec_lo, exec_lo, s12
	s_mov_b32 s11, 0
	s_branch .LBB9_1404
.LBB9_1399:
	s_mov_b32 s11, -1
                                        ; implicit-def: $vgpr16_vgpr17
	s_branch .LBB9_1410
.LBB9_1400:
	s_or_saveexec_b32 s13, s13
	v_mov_b64_e32 v[16:17], 0x7ff8000020000000
	s_xor_b32 exec_lo, exec_lo, s13
	s_cbranch_execz .LBB9_1384
.LBB9_1401:
	v_cmp_ne_u16_e32 vcc_lo, 0, v3
	v_mov_b64_e32 v[16:17], 0
	s_and_not1_b32 s12, s12, exec_lo
	s_and_b32 s14, vcc_lo, exec_lo
	s_delay_alu instid0(SALU_CYCLE_1)
	s_or_b32 s12, s12, s14
	s_or_b32 exec_lo, exec_lo, s13
	s_and_saveexec_b32 s13, s12
	s_cbranch_execnz .LBB9_1385
	s_branch .LBB9_1386
.LBB9_1402:
	s_mov_b32 s11, -1
                                        ; implicit-def: $vgpr16_vgpr17
	s_branch .LBB9_1407
.LBB9_1403:
	s_mov_b32 s11, -1
                                        ; implicit-def: $vgpr16_vgpr17
.LBB9_1404:
	s_delay_alu instid0(SALU_CYCLE_1)
	s_and_b32 vcc_lo, exec_lo, s11
	s_cbranch_vccz .LBB9_1406
; %bb.1405:
	global_load_u8 v3, v[4:5], off
	s_wait_loadcnt 0x0
	v_lshlrev_b32_e32 v3, 24, v3
	s_delay_alu instid0(VALU_DEP_1) | instskip(NEXT) | instid1(VALU_DEP_1)
	v_and_b32_e32 v7, 0x7f000000, v3
	v_clz_i32_u32_e32 v9, v7
	v_cmp_ne_u32_e32 vcc_lo, 0, v7
	v_add_nc_u32_e32 v13, 0x1000000, v7
	s_delay_alu instid0(VALU_DEP_3) | instskip(NEXT) | instid1(VALU_DEP_1)
	v_min_u32_e32 v9, 32, v9
	v_sub_nc_u32_e64 v9, v9, 4 clamp
	s_delay_alu instid0(VALU_DEP_1) | instskip(NEXT) | instid1(VALU_DEP_1)
	v_dual_lshlrev_b32 v11, v9, v7 :: v_dual_lshlrev_b32 v9, 23, v9
	v_lshrrev_b32_e32 v11, 4, v11
	s_delay_alu instid0(VALU_DEP_1) | instskip(SKIP_1) | instid1(VALU_DEP_2)
	v_sub_nc_u32_e32 v9, v11, v9
	v_ashrrev_i32_e32 v11, 8, v13
	v_add_nc_u32_e32 v9, 0x3c000000, v9
	s_delay_alu instid0(VALU_DEP_1) | instskip(NEXT) | instid1(VALU_DEP_1)
	v_and_or_b32 v9, 0x7f800000, v11, v9
	v_cndmask_b32_e32 v7, 0, v9, vcc_lo
	s_delay_alu instid0(VALU_DEP_1) | instskip(NEXT) | instid1(VALU_DEP_1)
	v_and_or_b32 v3, 0x80000000, v3, v7
	v_cvt_f64_f32_e32 v[16:17], v3
.LBB9_1406:
	s_mov_b32 s11, 0
.LBB9_1407:
	s_delay_alu instid0(SALU_CYCLE_1)
	s_and_not1_b32 vcc_lo, exec_lo, s11
	s_cbranch_vccnz .LBB9_1409
; %bb.1408:
	global_load_u8 v3, v[4:5], off
	s_wait_loadcnt 0x0
	v_lshlrev_b32_e32 v7, 25, v3
	v_lshlrev_b16 v3, 8, v3
	s_delay_alu instid0(VALU_DEP_2) | instskip(NEXT) | instid1(VALU_DEP_2)
	v_lshrrev_b32_e32 v9, 4, v7
	v_and_or_b32 v11, 0x7f00, v3, 0.5
	v_cmp_gt_u32_e32 vcc_lo, 0x8000000, v7
	v_bfe_i32 v3, v3, 0, 16
	s_delay_alu instid0(VALU_DEP_4) | instskip(NEXT) | instid1(VALU_DEP_4)
	v_or_b32_e32 v9, 0x70000000, v9
	v_add_f32_e32 v11, -0.5, v11
	s_delay_alu instid0(VALU_DEP_2) | instskip(NEXT) | instid1(VALU_DEP_1)
	v_mul_f32_e32 v9, 0x7800000, v9
	v_cndmask_b32_e32 v7, v9, v11, vcc_lo
	s_delay_alu instid0(VALU_DEP_1) | instskip(NEXT) | instid1(VALU_DEP_1)
	v_and_or_b32 v3, 0x80000000, v3, v7
	v_cvt_f64_f32_e32 v[16:17], v3
.LBB9_1409:
	s_mov_b32 s11, 0
	s_mov_b32 s12, -1
.LBB9_1410:
	s_and_not1_b32 vcc_lo, exec_lo, s11
	s_mov_b32 s11, 0
	s_cbranch_vccnz .LBB9_1421
; %bb.1411:
	s_cmp_gt_i32 s10, 14
	s_cbranch_scc0 .LBB9_1414
; %bb.1412:
	s_cmp_eq_u32 s10, 15
	s_cbranch_scc0 .LBB9_1417
; %bb.1413:
	global_load_u16 v3, v[4:5], off
	s_mov_b32 s0, 0
	s_mov_b32 s12, -1
	s_wait_loadcnt 0x0
	v_lshlrev_b32_e32 v3, 16, v3
	s_delay_alu instid0(VALU_DEP_1)
	v_cvt_f64_f32_e32 v[16:17], v3
	s_branch .LBB9_1419
.LBB9_1414:
	s_mov_b32 s11, -1
	s_branch .LBB9_1418
.LBB9_1415:
	s_or_saveexec_b32 s12, s12
	v_mov_b64_e32 v[16:17], 0x7ff8000020000000
	s_xor_b32 exec_lo, exec_lo, s12
	s_cbranch_execz .LBB9_1396
.LBB9_1416:
	v_cmp_ne_u16_e32 vcc_lo, 0, v3
	v_mov_b64_e32 v[16:17], 0
	s_and_not1_b32 s11, s11, exec_lo
	s_and_b32 s13, vcc_lo, exec_lo
	s_delay_alu instid0(SALU_CYCLE_1)
	s_or_b32 s11, s11, s13
	s_or_b32 exec_lo, exec_lo, s12
	s_and_saveexec_b32 s12, s11
	s_cbranch_execnz .LBB9_1397
	s_branch .LBB9_1398
.LBB9_1417:
	s_mov_b32 s0, -1
.LBB9_1418:
                                        ; implicit-def: $vgpr16_vgpr17
.LBB9_1419:
	s_and_b32 vcc_lo, exec_lo, s11
	s_mov_b32 s11, 0
	s_cbranch_vccz .LBB9_1421
; %bb.1420:
	s_cmp_lg_u32 s10, 11
	s_mov_b32 s11, -1
	s_cselect_b32 s0, -1, 0
.LBB9_1421:
	s_delay_alu instid0(SALU_CYCLE_1)
	s_and_b32 vcc_lo, exec_lo, s0
	s_cbranch_vccnz .LBB9_1496
; %bb.1422:
	s_and_not1_b32 vcc_lo, exec_lo, s11
	s_cbranch_vccnz .LBB9_1424
.LBB9_1423:
	global_load_u8 v3, v[4:5], off
	v_mov_b32_e32 v16, 0
	s_mov_b32 s12, -1
	s_wait_loadcnt 0x0
	v_cmp_ne_u16_e32 vcc_lo, 0, v3
	v_cndmask_b32_e64 v17, 0, 0x3ff00000, vcc_lo
.LBB9_1424:
	s_branch .LBB9_1350
.LBB9_1425:
	s_cmp_lt_i32 s10, 5
	s_cbranch_scc1 .LBB9_1430
; %bb.1426:
	s_cmp_lt_i32 s10, 8
	s_cbranch_scc1 .LBB9_1431
; %bb.1427:
	;; [unrolled: 3-line block ×3, first 2 shown]
	s_cmp_gt_i32 s10, 9
	s_cbranch_scc0 .LBB9_1433
; %bb.1429:
	global_load_b64 v[16:17], v[4:5], off
	s_mov_b32 s0, 0
	s_branch .LBB9_1434
.LBB9_1430:
                                        ; implicit-def: $vgpr16_vgpr17
	s_branch .LBB9_1452
.LBB9_1431:
	s_mov_b32 s0, -1
                                        ; implicit-def: $vgpr16_vgpr17
	s_branch .LBB9_1440
.LBB9_1432:
	s_mov_b32 s0, -1
                                        ; implicit-def: $vgpr16_vgpr17
	s_branch .LBB9_1437
.LBB9_1433:
	s_mov_b32 s0, -1
                                        ; implicit-def: $vgpr16_vgpr17
.LBB9_1434:
	s_delay_alu instid0(SALU_CYCLE_1)
	s_and_not1_b32 vcc_lo, exec_lo, s0
	s_cbranch_vccnz .LBB9_1436
; %bb.1435:
	global_load_b32 v3, v[4:5], off
	s_wait_loadcnt 0x0
	v_cvt_f64_f32_e32 v[16:17], v3
.LBB9_1436:
	s_mov_b32 s0, 0
.LBB9_1437:
	s_delay_alu instid0(SALU_CYCLE_1)
	s_and_not1_b32 vcc_lo, exec_lo, s0
	s_cbranch_vccnz .LBB9_1439
; %bb.1438:
	global_load_b32 v3, v[4:5], off
	s_wait_loadcnt 0x0
	v_cvt_f32_f16_e32 v3, v3
	s_delay_alu instid0(VALU_DEP_1)
	v_cvt_f64_f32_e32 v[16:17], v3
.LBB9_1439:
	s_mov_b32 s0, 0
.LBB9_1440:
	s_delay_alu instid0(SALU_CYCLE_1)
	s_and_not1_b32 vcc_lo, exec_lo, s0
	s_cbranch_vccnz .LBB9_1451
; %bb.1441:
	s_cmp_lt_i32 s10, 6
	s_cbranch_scc1 .LBB9_1444
; %bb.1442:
	s_cmp_gt_i32 s10, 6
	s_cbranch_scc0 .LBB9_1445
; %bb.1443:
	s_wait_loadcnt 0x0
	global_load_b64 v[16:17], v[4:5], off
	s_mov_b32 s0, 0
	s_branch .LBB9_1446
.LBB9_1444:
	s_mov_b32 s0, -1
                                        ; implicit-def: $vgpr16_vgpr17
	s_branch .LBB9_1449
.LBB9_1445:
	s_mov_b32 s0, -1
                                        ; implicit-def: $vgpr16_vgpr17
.LBB9_1446:
	s_delay_alu instid0(SALU_CYCLE_1)
	s_and_not1_b32 vcc_lo, exec_lo, s0
	s_cbranch_vccnz .LBB9_1448
; %bb.1447:
	global_load_b32 v3, v[4:5], off
	s_wait_loadcnt 0x0
	v_cvt_f64_f32_e32 v[16:17], v3
.LBB9_1448:
	s_mov_b32 s0, 0
.LBB9_1449:
	s_delay_alu instid0(SALU_CYCLE_1)
	s_and_not1_b32 vcc_lo, exec_lo, s0
	s_cbranch_vccnz .LBB9_1451
; %bb.1450:
	global_load_u16 v3, v[4:5], off
	s_wait_loadcnt 0x0
	v_cvt_f32_f16_e32 v3, v3
	s_delay_alu instid0(VALU_DEP_1)
	v_cvt_f64_f32_e32 v[16:17], v3
.LBB9_1451:
	s_cbranch_execnz .LBB9_1471
.LBB9_1452:
	s_cmp_lt_i32 s10, 2
	s_cbranch_scc1 .LBB9_1456
; %bb.1453:
	s_cmp_lt_i32 s10, 3
	s_cbranch_scc1 .LBB9_1457
; %bb.1454:
	s_cmp_gt_i32 s10, 3
	s_cbranch_scc0 .LBB9_1458
; %bb.1455:
	s_wait_loadcnt 0x0
	global_load_b64 v[16:17], v[4:5], off
	s_mov_b32 s0, 0
	s_wait_loadcnt 0x0
	v_cvt_f64_i32_e32 v[18:19], v17
	v_cvt_f64_u32_e32 v[16:17], v16
	s_delay_alu instid0(VALU_DEP_2) | instskip(NEXT) | instid1(VALU_DEP_1)
	v_ldexp_f64 v[18:19], v[18:19], 32
	v_add_f64_e32 v[16:17], v[18:19], v[16:17]
	s_branch .LBB9_1459
.LBB9_1456:
	s_mov_b32 s0, -1
                                        ; implicit-def: $vgpr16_vgpr17
	s_branch .LBB9_1465
.LBB9_1457:
	s_mov_b32 s0, -1
                                        ; implicit-def: $vgpr16_vgpr17
	s_branch .LBB9_1462
.LBB9_1458:
	s_mov_b32 s0, -1
                                        ; implicit-def: $vgpr16_vgpr17
.LBB9_1459:
	s_delay_alu instid0(SALU_CYCLE_1)
	s_and_not1_b32 vcc_lo, exec_lo, s0
	s_cbranch_vccnz .LBB9_1461
; %bb.1460:
	global_load_b32 v3, v[4:5], off
	s_wait_loadcnt 0x0
	v_cvt_f64_i32_e32 v[16:17], v3
.LBB9_1461:
	s_mov_b32 s0, 0
.LBB9_1462:
	s_delay_alu instid0(SALU_CYCLE_1)
	s_and_not1_b32 vcc_lo, exec_lo, s0
	s_cbranch_vccnz .LBB9_1464
; %bb.1463:
	global_load_i16 v3, v[4:5], off
	s_wait_loadcnt 0x0
	v_cvt_f64_i32_e32 v[16:17], v3
.LBB9_1464:
	s_mov_b32 s0, 0
.LBB9_1465:
	s_delay_alu instid0(SALU_CYCLE_1)
	s_and_not1_b32 vcc_lo, exec_lo, s0
	s_cbranch_vccnz .LBB9_1471
; %bb.1466:
	s_cmp_gt_i32 s10, 0
	s_mov_b32 s0, 0
	s_cbranch_scc0 .LBB9_1468
; %bb.1467:
	global_load_i8 v3, v[4:5], off
	s_wait_loadcnt 0x0
	v_cvt_f64_i32_e32 v[16:17], v3
	s_branch .LBB9_1469
.LBB9_1468:
	s_mov_b32 s0, -1
                                        ; implicit-def: $vgpr16_vgpr17
.LBB9_1469:
	s_delay_alu instid0(SALU_CYCLE_1)
	s_and_not1_b32 vcc_lo, exec_lo, s0
	s_cbranch_vccnz .LBB9_1471
; %bb.1470:
	global_load_u8 v3, v[4:5], off
	s_wait_loadcnt 0x0
	v_cvt_f64_u32_e32 v[16:17], v3
.LBB9_1471:
.LBB9_1472:
	s_wait_loadcnt 0x0
	s_delay_alu instid0(VALU_DEP_1) | instskip(SKIP_2) | instid1(SALU_CYCLE_1)
	v_cmp_ge_f64_e64 s0, 0x40200000, |v[16:17]|
                                        ; implicit-def: $vgpr4_vgpr5
	s_wait_xcnt 0x0
	s_and_saveexec_b32 s11, s0
	s_xor_b32 s0, exec_lo, s11
	s_cbranch_execz .LBB9_1478
; %bb.1473:
	v_fma_f64 v[4:5], |v[16:17]|, 0.5, -2.0
	s_mov_b64 s[12:13], 0x3c499f2a0c3c4014
	s_mov_b32 s11, exec_lo
	s_delay_alu instid0(VALU_DEP_1) | instskip(SKIP_1) | instid1(SALU_CYCLE_1)
	v_fmaak_f64 v[18:19], s[12:13], v[4:5], 0xbc7857d0c38a0576
	s_mov_b64 s[12:13], 0x3ff71547652b82fe
	v_mul_f64_e64 v[22:23], |v[16:17]|, s[12:13]
	s_mov_b64 s[12:13], 0xbfe62e42fefa39ef
	s_delay_alu instid0(VALU_DEP_2) | instskip(NEXT) | instid1(VALU_DEP_1)
	v_fmaak_f64 v[20:21], v[4:5], v[18:19], 0xbc499f2a0c3c4014
	v_add_f64_e32 v[20:21], 0x3ca663e3e593bfac, v[20:21]
	s_delay_alu instid0(VALU_DEP_3) | instskip(NEXT) | instid1(VALU_DEP_2)
	v_rndne_f64_e32 v[22:23], v[22:23]
	v_fma_f64 v[18:19], v[4:5], v[20:21], -v[18:19]
	s_delay_alu instid0(VALU_DEP_2) | instskip(SKIP_2) | instid1(VALU_DEP_3)
	v_fma_f64 v[24:25], v[22:23], s[12:13], |v[16:17]|
	s_mov_b64 s[12:13], 0x3e5ade156a5dcb37
	v_cvt_i32_f64_e32 v3, v[22:23]
	v_add_f64_e32 v[18:19], 0xbcd3eaaa7e0d1573, v[18:19]
	s_delay_alu instid0(VALU_DEP_1) | instskip(NEXT) | instid1(VALU_DEP_1)
	v_fma_f64 v[20:21], v[4:5], v[18:19], -v[20:21]
	v_add_f64_e32 v[20:21], 0x3d011d7f0615290c, v[20:21]
	s_delay_alu instid0(VALU_DEP_1) | instskip(NEXT) | instid1(VALU_DEP_1)
	v_fma_f64 v[18:19], v[4:5], v[20:21], -v[18:19]
	v_add_f64_e32 v[18:19], 0xbd2c628e1c8f0b3b, v[18:19]
	s_delay_alu instid0(VALU_DEP_1) | instskip(NEXT) | instid1(VALU_DEP_1)
	v_fma_f64 v[20:21], v[4:5], v[18:19], -v[20:21]
	v_add_f64_e32 v[20:21], 0x3d56af784779d955, v[20:21]
	s_delay_alu instid0(VALU_DEP_1) | instskip(NEXT) | instid1(VALU_DEP_1)
	v_fma_f64 v[18:19], v[4:5], v[20:21], -v[18:19]
	v_add_f64_e32 v[18:19], 0xbd8173835fb70366, v[18:19]
	s_delay_alu instid0(VALU_DEP_1) | instskip(NEXT) | instid1(VALU_DEP_1)
	v_fma_f64 v[20:21], v[4:5], v[18:19], -v[20:21]
	v_add_f64_e32 v[20:21], 0x3da9cee2b21d3154, v[20:21]
	s_delay_alu instid0(VALU_DEP_1) | instskip(NEXT) | instid1(VALU_DEP_1)
	v_fma_f64 v[18:19], v[4:5], v[20:21], -v[18:19]
	v_add_f64_e32 v[18:19], 0xbdd2510397eb07de, v[18:19]
	s_delay_alu instid0(VALU_DEP_1) | instskip(NEXT) | instid1(VALU_DEP_1)
	v_fma_f64 v[20:21], v[4:5], v[18:19], -v[20:21]
	v_add_f64_e32 v[20:21], 0x3df8ea34b43fdf6c, v[20:21]
	s_delay_alu instid0(VALU_DEP_1) | instskip(NEXT) | instid1(VALU_DEP_1)
	v_fma_f64 v[18:19], v[4:5], v[20:21], -v[18:19]
	v_add_f64_e32 v[18:19], 0xbe20361b28ea67e6, v[18:19]
	s_delay_alu instid0(VALU_DEP_1) | instskip(NEXT) | instid1(VALU_DEP_1)
	v_fma_f64 v[20:21], v[4:5], v[18:19], -v[20:21]
	v_add_f64_e32 v[20:21], 0x3e44258e02395010, v[20:21]
	s_delay_alu instid0(VALU_DEP_1) | instskip(NEXT) | instid1(VALU_DEP_1)
	v_fma_f64 v[18:19], v[4:5], v[20:21], -v[18:19]
	v_add_f64_e32 v[18:19], 0xbe67dd3e24b8c3e8, v[18:19]
	s_delay_alu instid0(VALU_DEP_1) | instskip(NEXT) | instid1(VALU_DEP_1)
	v_fma_f64 v[20:21], v[4:5], v[18:19], -v[20:21]
	v_add_f64_e32 v[20:21], 0x3e8ae344b347d108, v[20:21]
	s_delay_alu instid0(VALU_DEP_1) | instskip(NEXT) | instid1(VALU_DEP_1)
	v_fma_f64 v[18:19], v[4:5], v[20:21], -v[18:19]
	v_add_f64_e32 v[18:19], 0xbeacc0798363992a, v[18:19]
	s_delay_alu instid0(VALU_DEP_1) | instskip(NEXT) | instid1(VALU_DEP_1)
	v_fma_f64 v[20:21], v[4:5], v[18:19], -v[20:21]
	v_add_f64_e32 v[20:21], 0x3ecd1c4ed511afc5, v[20:21]
	s_delay_alu instid0(VALU_DEP_1) | instskip(NEXT) | instid1(VALU_DEP_1)
	v_fma_f64 v[18:19], v[4:5], v[20:21], -v[18:19]
	v_add_f64_e32 v[18:19], 0xbeebd5f9b8debbcf, v[18:19]
	s_delay_alu instid0(VALU_DEP_1) | instskip(NEXT) | instid1(VALU_DEP_1)
	v_fma_f64 v[20:21], v[4:5], v[18:19], -v[20:21]
	v_add_f64_e32 v[20:21], 0x3f0911b542c70d0b, v[20:21]
	s_delay_alu instid0(VALU_DEP_1) | instskip(NEXT) | instid1(VALU_DEP_1)
	v_fma_f64 v[18:19], v[4:5], v[20:21], -v[18:19]
	v_add_f64_e32 v[18:19], 0xbf2533cad3d694fe, v[18:19]
	s_delay_alu instid0(VALU_DEP_1) | instskip(NEXT) | instid1(VALU_DEP_1)
	v_fma_f64 v[20:21], v[4:5], v[18:19], -v[20:21]
	v_add_f64_e32 v[20:21], 0x3f40c95db6c6df7d, v[20:21]
	s_delay_alu instid0(VALU_DEP_1) | instskip(NEXT) | instid1(VALU_DEP_1)
	v_fma_f64 v[18:19], v[4:5], v[20:21], -v[18:19]
	v_add_f64_e32 v[18:19], 0xbf58cc620b3cd4a4, v[18:19]
	s_delay_alu instid0(VALU_DEP_1) | instskip(NEXT) | instid1(VALU_DEP_1)
	v_fma_f64 v[20:21], v[4:5], v[18:19], -v[20:21]
	v_add_f64_e32 v[20:21], 0x3f71065349d3a1b4, v[20:21]
	s_delay_alu instid0(VALU_DEP_1) | instskip(NEXT) | instid1(VALU_DEP_1)
	v_fma_f64 v[18:19], v[4:5], v[20:21], -v[18:19]
	v_add_f64_e32 v[18:19], 0xbf85a29f7913a26a, v[18:19]
	s_delay_alu instid0(VALU_DEP_1) | instskip(NEXT) | instid1(VALU_DEP_1)
	v_fma_f64 v[20:21], v[4:5], v[18:19], -v[20:21]
	v_add_f64_e32 v[20:21], 0x3f9951e3e7bb2349, v[20:21]
	s_delay_alu instid0(VALU_DEP_1) | instskip(NEXT) | instid1(VALU_DEP_1)
	v_fma_f64 v[18:19], v[4:5], v[20:21], -v[18:19]
	v_add_f64_e32 v[18:19], 0xbfab1bbc537c9ebc, v[18:19]
	s_delay_alu instid0(VALU_DEP_1) | instskip(NEXT) | instid1(VALU_DEP_1)
	v_fma_f64 v[20:21], v[4:5], v[18:19], -v[20:21]
	v_add_f64_e32 v[20:21], 0x3fba46dad536f53c, v[20:21]
	s_delay_alu instid0(VALU_DEP_1) | instskip(NEXT) | instid1(VALU_DEP_1)
	v_fma_f64 v[18:19], v[4:5], v[20:21], -v[18:19]
	v_add_f64_e32 v[18:19], 0xbfc694d10469192e, v[18:19]
	s_delay_alu instid0(VALU_DEP_1) | instskip(SKIP_1) | instid1(VALU_DEP_1)
	v_fma_f64 v[4:5], v[4:5], v[18:19], -v[20:21]
	v_fmamk_f64 v[18:19], v[22:23], 0xbc7abc9e3b39803f, v[24:25]
	v_fmaak_f64 v[24:25], s[12:13], v[18:19], 0x3e928af3fca7ab0c
	s_delay_alu instid0(VALU_DEP_1) | instskip(NEXT) | instid1(VALU_DEP_1)
	v_fmaak_f64 v[24:25], v[18:19], v[24:25], 0x3ec71dee623fde64
	v_fmaak_f64 v[24:25], v[18:19], v[24:25], 0x3efa01997c89e6b0
	s_delay_alu instid0(VALU_DEP_1) | instskip(SKIP_1) | instid1(VALU_DEP_2)
	v_fmaak_f64 v[24:25], v[18:19], v[24:25], 0x3f2a01a014761f6e
	v_add_f64_e32 v[4:5], 0x3fd02a63724a7ffa, v[4:5]
	v_fmaak_f64 v[24:25], v[18:19], v[24:25], 0x3f56c16c1852b7b0
	s_delay_alu instid0(VALU_DEP_2) | instskip(NEXT) | instid1(VALU_DEP_2)
	v_add_f64_e64 v[4:5], v[4:5], -v[20:21]
	v_fmaak_f64 v[20:21], v[18:19], v[24:25], 0x3f81111111122322
	s_delay_alu instid0(VALU_DEP_1) | instskip(NEXT) | instid1(VALU_DEP_1)
	v_fmaak_f64 v[20:21], v[18:19], v[20:21], 0x3fa55555555502a1
	v_fmaak_f64 v[20:21], v[18:19], v[20:21], 0x3fc5555555555511
	s_delay_alu instid0(VALU_DEP_1) | instskip(NEXT) | instid1(VALU_DEP_1)
	v_fmaak_f64 v[20:21], v[18:19], v[20:21], 0x3fe000000000000b
	v_fma_f64 v[20:21], v[18:19], v[20:21], 1.0
	v_mul_f64_e32 v[4:5], 0.5, v[4:5]
	s_delay_alu instid0(VALU_DEP_2) | instskip(NEXT) | instid1(VALU_DEP_2)
	v_fma_f64 v[20:21], v[18:19], v[20:21], 1.0
	v_mul_f64_e64 v[18:19], |v[16:17]|, v[4:5]
                                        ; implicit-def: $vgpr4_vgpr5
	v_cmpx_ngt_f64_e32 0, v[16:17]
	s_xor_b32 s11, exec_lo, s11
	s_cbranch_execz .LBB9_1475
; %bb.1474:
	s_delay_alu instid0(VALU_DEP_3) | instskip(SKIP_1) | instid1(VALU_DEP_2)
	v_ldexp_f64 v[4:5], v[20:21], v3
	v_cmp_nlt_f64_e64 vcc_lo, 0x40900000, |v[16:17]|
                                        ; implicit-def: $vgpr20_vgpr21
                                        ; implicit-def: $vgpr3
                                        ; implicit-def: $vgpr16_vgpr17
	v_cndmask_b32_e32 v5, 0x7ff00000, v5, vcc_lo
	s_delay_alu instid0(VALU_DEP_3) | instskip(NEXT) | instid1(VALU_DEP_1)
	v_cndmask_b32_e32 v4, 0, v4, vcc_lo
	v_mul_f64_e32 v[4:5], v[4:5], v[18:19]
                                        ; implicit-def: $vgpr18_vgpr19
.LBB9_1475:
	s_and_not1_saveexec_b32 s11, s11
	s_cbranch_execz .LBB9_1477
; %bb.1476:
	s_delay_alu instid0(VALU_DEP_3) | instskip(SKIP_1) | instid1(VALU_DEP_2)
	v_ldexp_f64 v[4:5], -v[20:21], v3
	v_cmp_nlt_f64_e64 vcc_lo, 0x40900000, |v[16:17]|
	v_cndmask_b32_e32 v5, 0xfff00000, v5, vcc_lo
	s_delay_alu instid0(VALU_DEP_3) | instskip(NEXT) | instid1(VALU_DEP_1)
	v_cndmask_b32_e32 v4, 0, v4, vcc_lo
	v_mul_f64_e32 v[4:5], v[4:5], v[18:19]
.LBB9_1477:
	s_or_b32 exec_lo, exec_lo, s11
                                        ; implicit-def: $vgpr16_vgpr17
.LBB9_1478:
	s_and_not1_saveexec_b32 s11, s0
	s_cbranch_execz .LBB9_1484
; %bb.1479:
	v_and_b32_e32 v5, 0x7fffffff, v17
	v_mov_b32_e32 v4, v16
	s_mov_b64 s[12:13], 0x3c61556db352e8e6
	v_cmp_ngt_f64_e64 s0, 0, v[16:17]
	s_delay_alu instid0(VALU_DEP_2) | instskip(SKIP_1) | instid1(VALU_DEP_2)
	v_div_scale_f64 v[18:19], null, v[4:5], v[4:5], 0x40400000
	v_div_scale_f64 v[4:5], vcc_lo, 0x40400000, v[4:5], 0x40400000
	v_rcp_f64_e32 v[20:21], v[18:19]
	v_nop
	s_delay_alu instid0(TRANS32_DEP_1) | instskip(NEXT) | instid1(VALU_DEP_1)
	v_fma_f64 v[22:23], -v[18:19], v[20:21], 1.0
	v_fmac_f64_e32 v[20:21], v[20:21], v[22:23]
	s_delay_alu instid0(VALU_DEP_1) | instskip(NEXT) | instid1(VALU_DEP_1)
	v_fma_f64 v[22:23], -v[18:19], v[20:21], 1.0
	v_fmac_f64_e32 v[20:21], v[20:21], v[22:23]
	s_delay_alu instid0(VALU_DEP_1) | instskip(NEXT) | instid1(VALU_DEP_1)
	v_mul_f64_e32 v[22:23], v[4:5], v[20:21]
	v_fma_f64 v[4:5], -v[18:19], v[22:23], v[4:5]
	s_delay_alu instid0(VALU_DEP_1) | instskip(SKIP_1) | instid1(VALU_DEP_2)
	v_div_fmas_f64 v[4:5], v[4:5], v[20:21], v[22:23]
	v_cmp_nlt_f64_e64 vcc_lo, 0x40900000, |v[16:17]|
	v_div_fixup_f64 v[4:5], v[4:5], |v[16:17]|, 0x40400000
	s_delay_alu instid0(VALU_DEP_1) | instskip(NEXT) | instid1(VALU_DEP_1)
	v_add_f64_e32 v[4:5], -2.0, v[4:5]
	v_fmaak_f64 v[18:19], s[12:13], v[4:5], 0x3c545b8aea87b950
	s_mov_b64 s[12:13], 0x3ff71547652b82fe
	s_delay_alu instid0(SALU_CYCLE_1) | instskip(SKIP_1) | instid1(VALU_DEP_2)
	v_mul_f64_e64 v[22:23], |v[16:17]|, s[12:13]
	s_mov_b64 s[12:13], 0xbfe62e42fefa39ef
	v_fmaak_f64 v[20:21], v[4:5], v[18:19], 0xbc61556db352e8e6
	s_delay_alu instid0(VALU_DEP_1) | instskip(NEXT) | instid1(VALU_DEP_3)
	v_add_f64_e32 v[20:21], 0xbc8acea3b2532277, v[20:21]
	v_rndne_f64_e32 v[22:23], v[22:23]
	s_delay_alu instid0(VALU_DEP_2) | instskip(NEXT) | instid1(VALU_DEP_2)
	v_fma_f64 v[18:19], v[4:5], v[20:21], -v[18:19]
	v_fma_f64 v[24:25], v[22:23], s[12:13], |v[16:17]|
	s_mov_b64 s[12:13], 0x3e5ade156a5dcb37
	v_cvt_i32_f64_e32 v3, v[22:23]
	s_delay_alu instid0(VALU_DEP_3) | instskip(NEXT) | instid1(VALU_DEP_3)
	v_add_f64_e32 v[18:19], 0xbc82806c9c773320, v[18:19]
	v_fmamk_f64 v[24:25], v[22:23], 0xbc7abc9e3b39803f, v[24:25]
	s_delay_alu instid0(VALU_DEP_1) | instskip(NEXT) | instid1(VALU_DEP_3)
	v_fmaak_f64 v[26:27], s[12:13], v[24:25], 0x3e928af3fca7ab0c
	v_fma_f64 v[20:21], v[4:5], v[18:19], -v[20:21]
	s_delay_alu instid0(VALU_DEP_2) | instskip(NEXT) | instid1(VALU_DEP_1)
	v_fmaak_f64 v[26:27], v[24:25], v[26:27], 0x3ec71dee623fde64
	v_fmaak_f64 v[26:27], v[24:25], v[26:27], 0x3efa01997c89e6b0
	s_delay_alu instid0(VALU_DEP_1) | instskip(NEXT) | instid1(VALU_DEP_1)
	v_fmaak_f64 v[26:27], v[24:25], v[26:27], 0x3f2a01a014761f6e
	v_fmaak_f64 v[26:27], v[24:25], v[26:27], 0x3f56c16c1852b7b0
	s_delay_alu instid0(VALU_DEP_1) | instskip(SKIP_1) | instid1(VALU_DEP_2)
	v_fmaak_f64 v[26:27], v[24:25], v[26:27], 0x3f81111111122322
	v_add_f64_e32 v[20:21], 0x3cb55915fceb588a, v[20:21]
	v_fmaak_f64 v[26:27], v[24:25], v[26:27], 0x3fa55555555502a1
	s_delay_alu instid0(VALU_DEP_1) | instskip(NEXT) | instid1(VALU_DEP_1)
	v_fmaak_f64 v[26:27], v[24:25], v[26:27], 0x3fc5555555555511
	v_fmaak_f64 v[26:27], v[24:25], v[26:27], 0x3fe000000000000b
	s_delay_alu instid0(VALU_DEP_1) | instskip(SKIP_1) | instid1(VALU_DEP_1)
	v_fma_f64 v[26:27], v[24:25], v[26:27], 1.0
	v_fma_f64 v[18:19], v[4:5], v[20:21], -v[18:19]
	v_add_f64_e32 v[18:19], 0x3cb7d68e5f04a2d1, v[18:19]
	s_delay_alu instid0(VALU_DEP_1) | instskip(NEXT) | instid1(VALU_DEP_1)
	v_fma_f64 v[20:21], v[4:5], v[18:19], -v[20:21]
	v_add_f64_e32 v[20:21], 0xbce0efcd8bc4d22a, v[20:21]
	s_delay_alu instid0(VALU_DEP_1) | instskip(NEXT) | instid1(VALU_DEP_1)
	;; [unrolled: 3-line block ×18, first 2 shown]
	v_fma_f64 v[18:19], v[4:5], v[20:21], -v[18:19]
	v_add_f64_e32 v[18:19], 0xbf83fda053fcdb4c, v[18:19]
	s_delay_alu instid0(VALU_DEP_1) | instskip(SKIP_1) | instid1(VALU_DEP_2)
	v_fma_f64 v[4:5], v[4:5], v[18:19], -v[20:21]
	v_fma_f64 v[18:19], v[24:25], v[26:27], 1.0
	v_add_f64_e32 v[4:5], 0x3fe8ea18b55b1514, v[4:5]
	s_delay_alu instid0(VALU_DEP_2) | instskip(NEXT) | instid1(VALU_DEP_2)
	v_ldexp_f64 v[18:19], v[18:19], v3
	v_add_f64_e64 v[20:21], v[4:5], -v[20:21]
	s_delay_alu instid0(VALU_DEP_2) | instskip(NEXT) | instid1(VALU_DEP_3)
	v_cndmask_b32_e32 v19, 0x7ff00000, v19, vcc_lo
	v_cndmask_b32_e32 v18, 0, v18, vcc_lo
                                        ; implicit-def: $vgpr4_vgpr5
	s_and_saveexec_b32 s12, s0
	s_delay_alu instid0(SALU_CYCLE_1)
	s_xor_b32 s0, exec_lo, s12
	s_cbranch_execz .LBB9_1481
; %bb.1480:
	v_cmp_gt_f64_e64 s12, 0x10000000, |v[16:17]|
	s_delay_alu instid0(VALU_DEP_1) | instskip(NEXT) | instid1(VALU_DEP_1)
	v_cndmask_b32_e64 v3, 0, 0x100, s12
	v_ldexp_f64 v[4:5], |v[16:17]|, v3
	v_cndmask_b32_e64 v3, 0, 0xffffff80, s12
	s_delay_alu instid0(VALU_DEP_2) | instskip(SKIP_1) | instid1(TRANS32_DEP_1)
	v_rsq_f64_e32 v[16:17], v[4:5]
	v_cmp_class_f64_e64 vcc_lo, v[4:5], 0x260
	v_mul_f64_e32 v[22:23], v[4:5], v[16:17]
	v_mul_f64_e32 v[16:17], 0.5, v[16:17]
	s_delay_alu instid0(VALU_DEP_1) | instskip(NEXT) | instid1(VALU_DEP_1)
	v_fma_f64 v[24:25], -v[16:17], v[22:23], 0.5
	v_fmac_f64_e32 v[22:23], v[22:23], v[24:25]
	v_fmac_f64_e32 v[16:17], v[16:17], v[24:25]
	s_delay_alu instid0(VALU_DEP_2) | instskip(NEXT) | instid1(VALU_DEP_1)
	v_fma_f64 v[24:25], -v[22:23], v[22:23], v[4:5]
	v_fmac_f64_e32 v[22:23], v[24:25], v[16:17]
	s_delay_alu instid0(VALU_DEP_1) | instskip(NEXT) | instid1(VALU_DEP_1)
	v_fma_f64 v[24:25], -v[22:23], v[22:23], v[4:5]
	v_fmac_f64_e32 v[22:23], v[24:25], v[16:17]
	v_mul_f64_e32 v[16:17], 0.5, v[20:21]
	s_delay_alu instid0(VALU_DEP_2) | instskip(NEXT) | instid1(VALU_DEP_2)
	v_ldexp_f64 v[20:21], v[22:23], v3
	v_mul_f64_e32 v[16:17], v[18:19], v[16:17]
	s_delay_alu instid0(VALU_DEP_2) | instskip(NEXT) | instid1(VALU_DEP_1)
	v_dual_cndmask_b32 v5, v21, v5 :: v_dual_cndmask_b32 v4, v20, v4
	v_div_scale_f64 v[18:19], null, v[4:5], v[4:5], v[16:17]
	s_delay_alu instid0(VALU_DEP_1) | instskip(SKIP_1) | instid1(TRANS32_DEP_1)
	v_rcp_f64_e32 v[20:21], v[18:19]
	v_nop
	v_fma_f64 v[22:23], -v[18:19], v[20:21], 1.0
	s_delay_alu instid0(VALU_DEP_1) | instskip(NEXT) | instid1(VALU_DEP_1)
	v_fmac_f64_e32 v[20:21], v[20:21], v[22:23]
	v_fma_f64 v[22:23], -v[18:19], v[20:21], 1.0
	s_delay_alu instid0(VALU_DEP_1) | instskip(SKIP_1) | instid1(VALU_DEP_1)
	v_fmac_f64_e32 v[20:21], v[20:21], v[22:23]
	v_div_scale_f64 v[22:23], vcc_lo, v[16:17], v[4:5], v[16:17]
	v_mul_f64_e32 v[24:25], v[22:23], v[20:21]
	s_delay_alu instid0(VALU_DEP_1) | instskip(NEXT) | instid1(VALU_DEP_1)
	v_fma_f64 v[18:19], -v[18:19], v[24:25], v[22:23]
	v_div_fmas_f64 v[18:19], v[18:19], v[20:21], v[24:25]
                                        ; implicit-def: $vgpr20_vgpr21
	s_delay_alu instid0(VALU_DEP_1)
	v_div_fixup_f64 v[4:5], v[18:19], v[4:5], v[16:17]
                                        ; implicit-def: $vgpr16_vgpr17
                                        ; implicit-def: $vgpr18_vgpr19
.LBB9_1481:
	s_and_not1_saveexec_b32 s0, s0
	s_cbranch_execz .LBB9_1483
; %bb.1482:
	v_cmp_gt_f64_e64 s12, 0x10000000, |v[16:17]|
	s_delay_alu instid0(VALU_DEP_1) | instskip(NEXT) | instid1(VALU_DEP_1)
	v_cndmask_b32_e64 v3, 0, 0x100, s12
	v_ldexp_f64 v[4:5], |v[16:17]|, v3
	v_cndmask_b32_e64 v3, 0, 0xffffff80, s12
	s_delay_alu instid0(VALU_DEP_2) | instskip(SKIP_1) | instid1(TRANS32_DEP_1)
	v_rsq_f64_e32 v[16:17], v[4:5]
	v_cmp_class_f64_e64 vcc_lo, v[4:5], 0x260
	v_mul_f64_e32 v[22:23], v[4:5], v[16:17]
	v_mul_f64_e32 v[16:17], 0.5, v[16:17]
	s_delay_alu instid0(VALU_DEP_1) | instskip(NEXT) | instid1(VALU_DEP_1)
	v_fma_f64 v[24:25], -v[16:17], v[22:23], 0.5
	v_fmac_f64_e32 v[22:23], v[22:23], v[24:25]
	v_fmac_f64_e32 v[16:17], v[16:17], v[24:25]
	s_delay_alu instid0(VALU_DEP_2) | instskip(NEXT) | instid1(VALU_DEP_1)
	v_fma_f64 v[24:25], -v[22:23], v[22:23], v[4:5]
	v_fmac_f64_e32 v[22:23], v[24:25], v[16:17]
	s_delay_alu instid0(VALU_DEP_1) | instskip(NEXT) | instid1(VALU_DEP_1)
	v_fma_f64 v[24:25], -v[22:23], v[22:23], v[4:5]
	v_fmac_f64_e32 v[22:23], v[24:25], v[16:17]
	v_mul_f64_e32 v[16:17], -0.5, v[20:21]
	s_delay_alu instid0(VALU_DEP_2) | instskip(NEXT) | instid1(VALU_DEP_2)
	v_ldexp_f64 v[20:21], v[22:23], v3
	v_mul_f64_e32 v[16:17], v[18:19], v[16:17]
	s_delay_alu instid0(VALU_DEP_2) | instskip(NEXT) | instid1(VALU_DEP_1)
	v_dual_cndmask_b32 v5, v21, v5 :: v_dual_cndmask_b32 v4, v20, v4
	v_div_scale_f64 v[18:19], null, v[4:5], v[4:5], v[16:17]
	s_delay_alu instid0(VALU_DEP_1) | instskip(SKIP_1) | instid1(TRANS32_DEP_1)
	v_rcp_f64_e32 v[20:21], v[18:19]
	v_nop
	v_fma_f64 v[22:23], -v[18:19], v[20:21], 1.0
	s_delay_alu instid0(VALU_DEP_1) | instskip(NEXT) | instid1(VALU_DEP_1)
	v_fmac_f64_e32 v[20:21], v[20:21], v[22:23]
	v_fma_f64 v[22:23], -v[18:19], v[20:21], 1.0
	s_delay_alu instid0(VALU_DEP_1) | instskip(SKIP_1) | instid1(VALU_DEP_1)
	v_fmac_f64_e32 v[20:21], v[20:21], v[22:23]
	v_div_scale_f64 v[22:23], vcc_lo, v[16:17], v[4:5], v[16:17]
	v_mul_f64_e32 v[24:25], v[22:23], v[20:21]
	s_delay_alu instid0(VALU_DEP_1) | instskip(NEXT) | instid1(VALU_DEP_1)
	v_fma_f64 v[18:19], -v[18:19], v[24:25], v[22:23]
	v_div_fmas_f64 v[18:19], v[18:19], v[20:21], v[24:25]
	s_delay_alu instid0(VALU_DEP_1)
	v_div_fixup_f64 v[4:5], v[18:19], v[4:5], v[16:17]
.LBB9_1483:
	s_or_b32 exec_lo, exec_lo, s0
.LBB9_1484:
	s_delay_alu instid0(SALU_CYCLE_1) | instskip(SKIP_2) | instid1(VALU_DEP_1)
	s_or_b32 exec_lo, exec_lo, s11
	v_mov_b32_e32 v9, 0
	s_cmp_lt_i32 s10, 11
	v_add_nc_u64_e32 v[8:9], s[6:7], v[8:9]
	s_cbranch_scc1 .LBB9_1491
; %bb.1485:
	s_cmp_gt_i32 s10, 25
	s_mov_b32 s11, 0
	s_cbranch_scc0 .LBB9_1493
; %bb.1486:
	s_cmp_gt_i32 s10, 28
	s_cbranch_scc0 .LBB9_1494
; %bb.1487:
	s_cmp_gt_i32 s10, 43
	;; [unrolled: 3-line block ×3, first 2 shown]
	s_cbranch_scc0 .LBB9_1497
; %bb.1489:
	s_cmp_eq_u32 s10, 46
	s_mov_b32 s13, 0
	s_cbranch_scc0 .LBB9_1498
; %bb.1490:
	global_load_b32 v3, v[8:9], off
	s_mov_b32 s0, 0
	s_mov_b32 s12, -1
	s_wait_loadcnt 0x0
	v_lshlrev_b32_e32 v3, 16, v3
	s_delay_alu instid0(VALU_DEP_1)
	v_cvt_f64_f32_e32 v[16:17], v3
	s_branch .LBB9_1500
.LBB9_1491:
	s_mov_b32 s12, 0
                                        ; implicit-def: $vgpr16_vgpr17
	s_cbranch_execnz .LBB9_1566
.LBB9_1492:
	s_and_not1_b32 vcc_lo, exec_lo, s12
	s_cbranch_vccnz .LBB9_1847
	s_branch .LBB9_1614
.LBB9_1493:
	s_mov_b32 s13, -1
	s_mov_b32 s12, 0
	s_mov_b32 s0, 0
                                        ; implicit-def: $vgpr16_vgpr17
	s_branch .LBB9_1529
.LBB9_1494:
	s_mov_b32 s13, -1
	s_mov_b32 s12, 0
	s_mov_b32 s0, 0
                                        ; implicit-def: $vgpr16_vgpr17
	s_branch .LBB9_1510
.LBB9_1495:
	s_mov_b32 s13, -1
	s_mov_b32 s12, 0
	s_mov_b32 s0, 0
                                        ; implicit-def: $vgpr16_vgpr17
	s_branch .LBB9_1505
.LBB9_1496:
	s_or_b32 s1, s1, exec_lo
	s_trap 2
	s_cbranch_execz .LBB9_1423
	s_branch .LBB9_1424
.LBB9_1497:
	s_mov_b32 s13, -1
	s_mov_b32 s12, 0
	s_mov_b32 s0, 0
	s_branch .LBB9_1499
.LBB9_1498:
	s_mov_b32 s0, -1
	s_mov_b32 s12, 0
.LBB9_1499:
                                        ; implicit-def: $vgpr16_vgpr17
.LBB9_1500:
	s_and_b32 vcc_lo, exec_lo, s13
	s_cbranch_vccz .LBB9_1504
; %bb.1501:
	s_cmp_eq_u32 s10, 44
	s_cbranch_scc0 .LBB9_1503
; %bb.1502:
	global_load_u8 v3, v[8:9], off
	s_mov_b32 s0, 0
	s_mov_b32 s12, -1
	s_wait_loadcnt 0x0
	v_lshlrev_b32_e32 v7, 23, v3
	v_cmp_ne_u32_e32 vcc_lo, 0xff, v3
	s_delay_alu instid0(VALU_DEP_2) | instskip(NEXT) | instid1(VALU_DEP_1)
	v_cvt_f64_f32_e32 v[16:17], v7
	v_cndmask_b32_e32 v7, 0x20000000, v16, vcc_lo
	s_delay_alu instid0(VALU_DEP_2) | instskip(SKIP_1) | instid1(VALU_DEP_2)
	v_cndmask_b32_e32 v11, 0x7ff80000, v17, vcc_lo
	v_cmp_ne_u32_e32 vcc_lo, 0, v3
	v_cndmask_b32_e32 v17, 0x38000000, v11, vcc_lo
	s_delay_alu instid0(VALU_DEP_4)
	v_cndmask_b32_e32 v16, 0, v7, vcc_lo
	s_branch .LBB9_1504
.LBB9_1503:
	s_mov_b32 s0, -1
                                        ; implicit-def: $vgpr16_vgpr17
.LBB9_1504:
	s_mov_b32 s13, 0
.LBB9_1505:
	s_delay_alu instid0(SALU_CYCLE_1)
	s_and_b32 vcc_lo, exec_lo, s13
	s_cbranch_vccz .LBB9_1509
; %bb.1506:
	s_cmp_eq_u32 s10, 29
	s_cbranch_scc0 .LBB9_1508
; %bb.1507:
	global_load_b64 v[16:17], v[8:9], off
	s_mov_b32 s0, 0
	s_mov_b32 s12, -1
	s_mov_b32 s13, 0
	s_wait_loadcnt 0x0
	v_cvt_f64_u32_e32 v[18:19], v17
	v_cvt_f64_u32_e32 v[16:17], v16
	s_delay_alu instid0(VALU_DEP_2) | instskip(NEXT) | instid1(VALU_DEP_1)
	v_ldexp_f64 v[18:19], v[18:19], 32
	v_add_f64_e32 v[16:17], v[18:19], v[16:17]
	s_branch .LBB9_1510
.LBB9_1508:
	s_mov_b32 s0, -1
                                        ; implicit-def: $vgpr16_vgpr17
.LBB9_1509:
	s_mov_b32 s13, 0
.LBB9_1510:
	s_delay_alu instid0(SALU_CYCLE_1)
	s_and_b32 vcc_lo, exec_lo, s13
	s_cbranch_vccz .LBB9_1528
; %bb.1511:
	s_cmp_lt_i32 s10, 27
	s_cbranch_scc1 .LBB9_1514
; %bb.1512:
	s_cmp_gt_i32 s10, 27
	s_cbranch_scc0 .LBB9_1515
; %bb.1513:
	global_load_b32 v3, v[8:9], off
	s_mov_b32 s12, 0
	s_wait_loadcnt 0x0
	v_cvt_f64_u32_e32 v[16:17], v3
	s_branch .LBB9_1516
.LBB9_1514:
	s_mov_b32 s12, -1
                                        ; implicit-def: $vgpr16_vgpr17
	s_branch .LBB9_1519
.LBB9_1515:
	s_mov_b32 s12, -1
                                        ; implicit-def: $vgpr16_vgpr17
.LBB9_1516:
	s_delay_alu instid0(SALU_CYCLE_1)
	s_and_not1_b32 vcc_lo, exec_lo, s12
	s_cbranch_vccnz .LBB9_1518
; %bb.1517:
	global_load_u16 v3, v[8:9], off
	s_wait_loadcnt 0x0
	v_cvt_f64_u32_e32 v[16:17], v3
.LBB9_1518:
	s_mov_b32 s12, 0
.LBB9_1519:
	s_delay_alu instid0(SALU_CYCLE_1)
	s_and_not1_b32 vcc_lo, exec_lo, s12
	s_cbranch_vccnz .LBB9_1527
; %bb.1520:
	global_load_u8 v3, v[8:9], off
	s_mov_b32 s12, 0
	s_mov_b32 s13, exec_lo
	s_wait_loadcnt 0x0
	v_cmpx_lt_i16_e32 0x7f, v3
	s_xor_b32 s13, exec_lo, s13
	s_cbranch_execz .LBB9_1541
; %bb.1521:
	s_mov_b32 s12, -1
	s_mov_b32 s14, exec_lo
	v_cmpx_eq_u16_e32 0x80, v3
; %bb.1522:
	s_xor_b32 s12, exec_lo, -1
; %bb.1523:
	s_or_b32 exec_lo, exec_lo, s14
	s_delay_alu instid0(SALU_CYCLE_1)
	s_and_b32 s12, s12, exec_lo
	s_or_saveexec_b32 s13, s13
	v_mov_b64_e32 v[16:17], 0x7ff8000020000000
	s_xor_b32 exec_lo, exec_lo, s13
	s_cbranch_execnz .LBB9_1542
.LBB9_1524:
	s_or_b32 exec_lo, exec_lo, s13
	s_and_saveexec_b32 s13, s12
	s_cbranch_execz .LBB9_1526
.LBB9_1525:
	v_and_b32_e32 v7, 0xffff, v3
	s_delay_alu instid0(VALU_DEP_1) | instskip(SKIP_1) | instid1(VALU_DEP_2)
	v_and_b32_e32 v11, 7, v7
	v_bfe_u32 v16, v7, 3, 4
	v_clz_i32_u32_e32 v13, v11
	s_delay_alu instid0(VALU_DEP_2) | instskip(NEXT) | instid1(VALU_DEP_2)
	v_cmp_eq_u32_e32 vcc_lo, 0, v16
	v_min_u32_e32 v13, 32, v13
	s_delay_alu instid0(VALU_DEP_1) | instskip(NEXT) | instid1(VALU_DEP_1)
	v_subrev_nc_u32_e32 v15, 28, v13
	v_dual_lshlrev_b32 v7, v15, v7 :: v_dual_sub_nc_u32 v13, 29, v13
	s_delay_alu instid0(VALU_DEP_1) | instskip(NEXT) | instid1(VALU_DEP_2)
	v_and_b32_e32 v7, 7, v7
	v_dual_lshlrev_b32 v3, 24, v3 :: v_dual_cndmask_b32 v13, v16, v13, vcc_lo
	s_delay_alu instid0(VALU_DEP_2) | instskip(NEXT) | instid1(VALU_DEP_2)
	v_cndmask_b32_e32 v7, v11, v7, vcc_lo
	v_and_b32_e32 v3, 0x80000000, v3
	s_delay_alu instid0(VALU_DEP_3) | instskip(NEXT) | instid1(VALU_DEP_3)
	v_lshl_add_u32 v11, v13, 23, 0x3b800000
	v_lshlrev_b32_e32 v7, 20, v7
	s_delay_alu instid0(VALU_DEP_1) | instskip(NEXT) | instid1(VALU_DEP_1)
	v_or3_b32 v3, v3, v11, v7
	v_cvt_f64_f32_e32 v[16:17], v3
.LBB9_1526:
	s_or_b32 exec_lo, exec_lo, s13
.LBB9_1527:
	s_mov_b32 s12, -1
.LBB9_1528:
	s_mov_b32 s13, 0
.LBB9_1529:
	s_delay_alu instid0(SALU_CYCLE_1)
	s_and_b32 vcc_lo, exec_lo, s13
	s_cbranch_vccz .LBB9_1562
; %bb.1530:
	s_cmp_gt_i32 s10, 22
	s_cbranch_scc0 .LBB9_1540
; %bb.1531:
	s_cmp_lt_i32 s10, 24
	s_cbranch_scc1 .LBB9_1543
; %bb.1532:
	s_cmp_gt_i32 s10, 24
	s_cbranch_scc0 .LBB9_1544
; %bb.1533:
	global_load_u8 v3, v[8:9], off
	s_mov_b32 s12, exec_lo
	s_wait_loadcnt 0x0
	v_cmpx_lt_i16_e32 0x7f, v3
	s_xor_b32 s12, exec_lo, s12
	s_cbranch_execz .LBB9_1556
; %bb.1534:
	s_mov_b32 s11, -1
	s_mov_b32 s13, exec_lo
	v_cmpx_eq_u16_e32 0x80, v3
; %bb.1535:
	s_xor_b32 s11, exec_lo, -1
; %bb.1536:
	s_or_b32 exec_lo, exec_lo, s13
	s_delay_alu instid0(SALU_CYCLE_1)
	s_and_b32 s11, s11, exec_lo
	s_or_saveexec_b32 s12, s12
	v_mov_b64_e32 v[16:17], 0x7ff8000020000000
	s_xor_b32 exec_lo, exec_lo, s12
	s_cbranch_execnz .LBB9_1557
.LBB9_1537:
	s_or_b32 exec_lo, exec_lo, s12
	s_and_saveexec_b32 s12, s11
	s_cbranch_execz .LBB9_1539
.LBB9_1538:
	v_and_b32_e32 v7, 0xffff, v3
	s_delay_alu instid0(VALU_DEP_1) | instskip(SKIP_1) | instid1(VALU_DEP_2)
	v_and_b32_e32 v11, 3, v7
	v_bfe_u32 v16, v7, 2, 5
	v_clz_i32_u32_e32 v13, v11
	s_delay_alu instid0(VALU_DEP_2) | instskip(NEXT) | instid1(VALU_DEP_2)
	v_cmp_eq_u32_e32 vcc_lo, 0, v16
	v_min_u32_e32 v13, 32, v13
	s_delay_alu instid0(VALU_DEP_1) | instskip(NEXT) | instid1(VALU_DEP_1)
	v_subrev_nc_u32_e32 v15, 29, v13
	v_dual_lshlrev_b32 v7, v15, v7 :: v_dual_sub_nc_u32 v13, 30, v13
	s_delay_alu instid0(VALU_DEP_1) | instskip(NEXT) | instid1(VALU_DEP_2)
	v_and_b32_e32 v7, 3, v7
	v_dual_lshlrev_b32 v3, 24, v3 :: v_dual_cndmask_b32 v13, v16, v13, vcc_lo
	s_delay_alu instid0(VALU_DEP_2) | instskip(NEXT) | instid1(VALU_DEP_2)
	v_cndmask_b32_e32 v7, v11, v7, vcc_lo
	v_and_b32_e32 v3, 0x80000000, v3
	s_delay_alu instid0(VALU_DEP_3) | instskip(NEXT) | instid1(VALU_DEP_3)
	v_lshl_add_u32 v11, v13, 23, 0x37800000
	v_lshlrev_b32_e32 v7, 21, v7
	s_delay_alu instid0(VALU_DEP_1) | instskip(NEXT) | instid1(VALU_DEP_1)
	v_or3_b32 v3, v3, v11, v7
	v_cvt_f64_f32_e32 v[16:17], v3
.LBB9_1539:
	s_or_b32 exec_lo, exec_lo, s12
	s_mov_b32 s11, 0
	s_branch .LBB9_1545
.LBB9_1540:
	s_mov_b32 s11, -1
                                        ; implicit-def: $vgpr16_vgpr17
	s_branch .LBB9_1551
.LBB9_1541:
	s_or_saveexec_b32 s13, s13
	v_mov_b64_e32 v[16:17], 0x7ff8000020000000
	s_xor_b32 exec_lo, exec_lo, s13
	s_cbranch_execz .LBB9_1524
.LBB9_1542:
	v_cmp_ne_u16_e32 vcc_lo, 0, v3
	v_mov_b64_e32 v[16:17], 0
	s_and_not1_b32 s12, s12, exec_lo
	s_and_b32 s14, vcc_lo, exec_lo
	s_delay_alu instid0(SALU_CYCLE_1)
	s_or_b32 s12, s12, s14
	s_or_b32 exec_lo, exec_lo, s13
	s_and_saveexec_b32 s13, s12
	s_cbranch_execnz .LBB9_1525
	s_branch .LBB9_1526
.LBB9_1543:
	s_mov_b32 s11, -1
                                        ; implicit-def: $vgpr16_vgpr17
	s_branch .LBB9_1548
.LBB9_1544:
	s_mov_b32 s11, -1
                                        ; implicit-def: $vgpr16_vgpr17
.LBB9_1545:
	s_delay_alu instid0(SALU_CYCLE_1)
	s_and_b32 vcc_lo, exec_lo, s11
	s_cbranch_vccz .LBB9_1547
; %bb.1546:
	global_load_u8 v3, v[8:9], off
	s_wait_loadcnt 0x0
	v_lshlrev_b32_e32 v3, 24, v3
	s_delay_alu instid0(VALU_DEP_1) | instskip(NEXT) | instid1(VALU_DEP_1)
	v_and_b32_e32 v7, 0x7f000000, v3
	v_clz_i32_u32_e32 v11, v7
	v_add_nc_u32_e32 v15, 0x1000000, v7
	v_cmp_ne_u32_e32 vcc_lo, 0, v7
	s_delay_alu instid0(VALU_DEP_3) | instskip(NEXT) | instid1(VALU_DEP_1)
	v_min_u32_e32 v11, 32, v11
	v_sub_nc_u32_e64 v11, v11, 4 clamp
	s_delay_alu instid0(VALU_DEP_1) | instskip(NEXT) | instid1(VALU_DEP_1)
	v_lshlrev_b32_e32 v13, v11, v7
	v_dual_lshlrev_b32 v11, 23, v11 :: v_dual_lshrrev_b32 v13, 4, v13
	s_delay_alu instid0(VALU_DEP_1) | instskip(SKIP_1) | instid1(VALU_DEP_2)
	v_sub_nc_u32_e32 v11, v13, v11
	v_ashrrev_i32_e32 v13, 8, v15
	v_add_nc_u32_e32 v11, 0x3c000000, v11
	s_delay_alu instid0(VALU_DEP_1) | instskip(NEXT) | instid1(VALU_DEP_1)
	v_and_or_b32 v11, 0x7f800000, v13, v11
	v_cndmask_b32_e32 v7, 0, v11, vcc_lo
	s_delay_alu instid0(VALU_DEP_1) | instskip(NEXT) | instid1(VALU_DEP_1)
	v_and_or_b32 v3, 0x80000000, v3, v7
	v_cvt_f64_f32_e32 v[16:17], v3
.LBB9_1547:
	s_mov_b32 s11, 0
.LBB9_1548:
	s_delay_alu instid0(SALU_CYCLE_1)
	s_and_not1_b32 vcc_lo, exec_lo, s11
	s_cbranch_vccnz .LBB9_1550
; %bb.1549:
	global_load_u8 v3, v[8:9], off
	s_wait_loadcnt 0x0
	v_lshlrev_b32_e32 v7, 25, v3
	v_lshlrev_b16 v3, 8, v3
	s_delay_alu instid0(VALU_DEP_1) | instskip(SKIP_1) | instid1(VALU_DEP_2)
	v_and_or_b32 v13, 0x7f00, v3, 0.5
	v_bfe_i32 v3, v3, 0, 16
	v_dual_add_f32 v13, -0.5, v13 :: v_dual_lshrrev_b32 v11, 4, v7
	v_cmp_gt_u32_e32 vcc_lo, 0x8000000, v7
	s_delay_alu instid0(VALU_DEP_2) | instskip(NEXT) | instid1(VALU_DEP_1)
	v_or_b32_e32 v11, 0x70000000, v11
	v_mul_f32_e32 v11, 0x7800000, v11
	s_delay_alu instid0(VALU_DEP_1) | instskip(NEXT) | instid1(VALU_DEP_1)
	v_cndmask_b32_e32 v7, v11, v13, vcc_lo
	v_and_or_b32 v3, 0x80000000, v3, v7
	s_delay_alu instid0(VALU_DEP_1)
	v_cvt_f64_f32_e32 v[16:17], v3
.LBB9_1550:
	s_mov_b32 s11, 0
	s_mov_b32 s12, -1
.LBB9_1551:
	s_and_not1_b32 vcc_lo, exec_lo, s11
	s_mov_b32 s11, 0
	s_cbranch_vccnz .LBB9_1562
; %bb.1552:
	s_cmp_gt_i32 s10, 14
	s_cbranch_scc0 .LBB9_1555
; %bb.1553:
	s_cmp_eq_u32 s10, 15
	s_cbranch_scc0 .LBB9_1558
; %bb.1554:
	global_load_u16 v3, v[8:9], off
	s_mov_b32 s0, 0
	s_mov_b32 s12, -1
	s_wait_loadcnt 0x0
	v_lshlrev_b32_e32 v3, 16, v3
	s_delay_alu instid0(VALU_DEP_1)
	v_cvt_f64_f32_e32 v[16:17], v3
	s_branch .LBB9_1560
.LBB9_1555:
	s_mov_b32 s11, -1
	s_branch .LBB9_1559
.LBB9_1556:
	s_or_saveexec_b32 s12, s12
	v_mov_b64_e32 v[16:17], 0x7ff8000020000000
	s_xor_b32 exec_lo, exec_lo, s12
	s_cbranch_execz .LBB9_1537
.LBB9_1557:
	v_cmp_ne_u16_e32 vcc_lo, 0, v3
	v_mov_b64_e32 v[16:17], 0
	s_and_not1_b32 s11, s11, exec_lo
	s_and_b32 s13, vcc_lo, exec_lo
	s_delay_alu instid0(SALU_CYCLE_1)
	s_or_b32 s11, s11, s13
	s_or_b32 exec_lo, exec_lo, s12
	s_and_saveexec_b32 s12, s11
	s_cbranch_execnz .LBB9_1538
	s_branch .LBB9_1539
.LBB9_1558:
	s_mov_b32 s0, -1
.LBB9_1559:
                                        ; implicit-def: $vgpr16_vgpr17
.LBB9_1560:
	s_and_b32 vcc_lo, exec_lo, s11
	s_mov_b32 s11, 0
	s_cbranch_vccz .LBB9_1562
; %bb.1561:
	s_cmp_lg_u32 s10, 11
	s_mov_b32 s11, -1
	s_cselect_b32 s0, -1, 0
.LBB9_1562:
	s_delay_alu instid0(SALU_CYCLE_1)
	s_and_b32 vcc_lo, exec_lo, s0
	s_cbranch_vccnz .LBB9_1637
; %bb.1563:
	s_and_not1_b32 vcc_lo, exec_lo, s11
	s_cbranch_vccnz .LBB9_1565
.LBB9_1564:
	global_load_u8 v3, v[8:9], off
	v_mov_b32_e32 v16, 0
	s_mov_b32 s12, -1
	s_wait_loadcnt 0x0
	v_cmp_ne_u16_e32 vcc_lo, 0, v3
	v_cndmask_b32_e64 v17, 0, 0x3ff00000, vcc_lo
.LBB9_1565:
	s_branch .LBB9_1492
.LBB9_1566:
	s_cmp_lt_i32 s10, 5
	s_cbranch_scc1 .LBB9_1571
; %bb.1567:
	s_cmp_lt_i32 s10, 8
	s_cbranch_scc1 .LBB9_1572
; %bb.1568:
	;; [unrolled: 3-line block ×3, first 2 shown]
	s_cmp_gt_i32 s10, 9
	s_cbranch_scc0 .LBB9_1574
; %bb.1570:
	global_load_b64 v[16:17], v[8:9], off
	s_mov_b32 s0, 0
	s_branch .LBB9_1575
.LBB9_1571:
	s_mov_b32 s0, -1
                                        ; implicit-def: $vgpr16_vgpr17
	s_branch .LBB9_1593
.LBB9_1572:
	s_mov_b32 s0, -1
                                        ; implicit-def: $vgpr16_vgpr17
	s_branch .LBB9_1581
.LBB9_1573:
	s_mov_b32 s0, -1
                                        ; implicit-def: $vgpr16_vgpr17
	s_branch .LBB9_1578
.LBB9_1574:
	s_mov_b32 s0, -1
                                        ; implicit-def: $vgpr16_vgpr17
.LBB9_1575:
	s_delay_alu instid0(SALU_CYCLE_1)
	s_and_not1_b32 vcc_lo, exec_lo, s0
	s_cbranch_vccnz .LBB9_1577
; %bb.1576:
	global_load_b32 v3, v[8:9], off
	s_wait_loadcnt 0x0
	v_cvt_f64_f32_e32 v[16:17], v3
.LBB9_1577:
	s_mov_b32 s0, 0
.LBB9_1578:
	s_delay_alu instid0(SALU_CYCLE_1)
	s_and_not1_b32 vcc_lo, exec_lo, s0
	s_cbranch_vccnz .LBB9_1580
; %bb.1579:
	global_load_b32 v3, v[8:9], off
	s_wait_loadcnt 0x0
	v_cvt_f32_f16_e32 v3, v3
	s_delay_alu instid0(VALU_DEP_1)
	v_cvt_f64_f32_e32 v[16:17], v3
.LBB9_1580:
	s_mov_b32 s0, 0
.LBB9_1581:
	s_delay_alu instid0(SALU_CYCLE_1)
	s_and_not1_b32 vcc_lo, exec_lo, s0
	s_cbranch_vccnz .LBB9_1592
; %bb.1582:
	s_cmp_lt_i32 s10, 6
	s_cbranch_scc1 .LBB9_1585
; %bb.1583:
	s_cmp_gt_i32 s10, 6
	s_cbranch_scc0 .LBB9_1586
; %bb.1584:
	s_wait_loadcnt 0x0
	global_load_b64 v[16:17], v[8:9], off
	s_mov_b32 s0, 0
	s_branch .LBB9_1587
.LBB9_1585:
	s_mov_b32 s0, -1
                                        ; implicit-def: $vgpr16_vgpr17
	s_branch .LBB9_1590
.LBB9_1586:
	s_mov_b32 s0, -1
                                        ; implicit-def: $vgpr16_vgpr17
.LBB9_1587:
	s_delay_alu instid0(SALU_CYCLE_1)
	s_and_not1_b32 vcc_lo, exec_lo, s0
	s_cbranch_vccnz .LBB9_1589
; %bb.1588:
	global_load_b32 v3, v[8:9], off
	s_wait_loadcnt 0x0
	v_cvt_f64_f32_e32 v[16:17], v3
.LBB9_1589:
	s_mov_b32 s0, 0
.LBB9_1590:
	s_delay_alu instid0(SALU_CYCLE_1)
	s_and_not1_b32 vcc_lo, exec_lo, s0
	s_cbranch_vccnz .LBB9_1592
; %bb.1591:
	global_load_u16 v3, v[8:9], off
	s_wait_loadcnt 0x0
	v_cvt_f32_f16_e32 v3, v3
	s_delay_alu instid0(VALU_DEP_1)
	v_cvt_f64_f32_e32 v[16:17], v3
.LBB9_1592:
	s_mov_b32 s0, 0
.LBB9_1593:
	s_delay_alu instid0(SALU_CYCLE_1)
	s_and_not1_b32 vcc_lo, exec_lo, s0
	s_cbranch_vccnz .LBB9_1613
; %bb.1594:
	s_cmp_lt_i32 s10, 2
	s_cbranch_scc1 .LBB9_1598
; %bb.1595:
	s_cmp_lt_i32 s10, 3
	s_cbranch_scc1 .LBB9_1599
; %bb.1596:
	s_cmp_gt_i32 s10, 3
	s_cbranch_scc0 .LBB9_1600
; %bb.1597:
	s_wait_loadcnt 0x0
	global_load_b64 v[16:17], v[8:9], off
	s_mov_b32 s0, 0
	s_wait_loadcnt 0x0
	v_cvt_f64_i32_e32 v[18:19], v17
	v_cvt_f64_u32_e32 v[16:17], v16
	s_delay_alu instid0(VALU_DEP_2) | instskip(NEXT) | instid1(VALU_DEP_1)
	v_ldexp_f64 v[18:19], v[18:19], 32
	v_add_f64_e32 v[16:17], v[18:19], v[16:17]
	s_branch .LBB9_1601
.LBB9_1598:
	s_mov_b32 s0, -1
                                        ; implicit-def: $vgpr16_vgpr17
	s_branch .LBB9_1607
.LBB9_1599:
	s_mov_b32 s0, -1
                                        ; implicit-def: $vgpr16_vgpr17
	s_branch .LBB9_1604
.LBB9_1600:
	s_mov_b32 s0, -1
                                        ; implicit-def: $vgpr16_vgpr17
.LBB9_1601:
	s_delay_alu instid0(SALU_CYCLE_1)
	s_and_not1_b32 vcc_lo, exec_lo, s0
	s_cbranch_vccnz .LBB9_1603
; %bb.1602:
	global_load_b32 v3, v[8:9], off
	s_wait_loadcnt 0x0
	v_cvt_f64_i32_e32 v[16:17], v3
.LBB9_1603:
	s_mov_b32 s0, 0
.LBB9_1604:
	s_delay_alu instid0(SALU_CYCLE_1)
	s_and_not1_b32 vcc_lo, exec_lo, s0
	s_cbranch_vccnz .LBB9_1606
; %bb.1605:
	global_load_i16 v3, v[8:9], off
	s_wait_loadcnt 0x0
	v_cvt_f64_i32_e32 v[16:17], v3
.LBB9_1606:
	s_mov_b32 s0, 0
.LBB9_1607:
	s_delay_alu instid0(SALU_CYCLE_1)
	s_and_not1_b32 vcc_lo, exec_lo, s0
	s_cbranch_vccnz .LBB9_1613
; %bb.1608:
	s_cmp_gt_i32 s10, 0
	s_mov_b32 s0, 0
	s_cbranch_scc0 .LBB9_1610
; %bb.1609:
	global_load_i8 v3, v[8:9], off
	s_wait_loadcnt 0x0
	v_cvt_f64_i32_e32 v[16:17], v3
	s_branch .LBB9_1611
.LBB9_1610:
	s_mov_b32 s0, -1
                                        ; implicit-def: $vgpr16_vgpr17
.LBB9_1611:
	s_delay_alu instid0(SALU_CYCLE_1)
	s_and_not1_b32 vcc_lo, exec_lo, s0
	s_cbranch_vccnz .LBB9_1613
; %bb.1612:
	global_load_u8 v3, v[8:9], off
	s_wait_loadcnt 0x0
	v_cvt_f64_u32_e32 v[16:17], v3
.LBB9_1613:
.LBB9_1614:
	s_wait_loadcnt 0x0
	s_delay_alu instid0(VALU_DEP_1) | instskip(SKIP_2) | instid1(SALU_CYCLE_1)
	v_cmp_ge_f64_e64 s0, 0x40200000, |v[16:17]|
                                        ; implicit-def: $vgpr8_vgpr9
	s_wait_xcnt 0x0
	s_and_saveexec_b32 s11, s0
	s_xor_b32 s0, exec_lo, s11
	s_cbranch_execz .LBB9_1620
; %bb.1615:
	v_fma_f64 v[8:9], |v[16:17]|, 0.5, -2.0
	s_mov_b64 s[12:13], 0x3c499f2a0c3c4014
	s_mov_b32 s11, exec_lo
	s_delay_alu instid0(VALU_DEP_1) | instskip(SKIP_1) | instid1(SALU_CYCLE_1)
	v_fmaak_f64 v[18:19], s[12:13], v[8:9], 0xbc7857d0c38a0576
	s_mov_b64 s[12:13], 0x3ff71547652b82fe
	v_mul_f64_e64 v[22:23], |v[16:17]|, s[12:13]
	s_mov_b64 s[12:13], 0xbfe62e42fefa39ef
	s_delay_alu instid0(VALU_DEP_2) | instskip(NEXT) | instid1(VALU_DEP_1)
	v_fmaak_f64 v[20:21], v[8:9], v[18:19], 0xbc499f2a0c3c4014
	v_add_f64_e32 v[20:21], 0x3ca663e3e593bfac, v[20:21]
	s_delay_alu instid0(VALU_DEP_3) | instskip(NEXT) | instid1(VALU_DEP_2)
	v_rndne_f64_e32 v[22:23], v[22:23]
	v_fma_f64 v[18:19], v[8:9], v[20:21], -v[18:19]
	s_delay_alu instid0(VALU_DEP_2) | instskip(SKIP_2) | instid1(VALU_DEP_3)
	v_fma_f64 v[24:25], v[22:23], s[12:13], |v[16:17]|
	s_mov_b64 s[12:13], 0x3e5ade156a5dcb37
	v_cvt_i32_f64_e32 v3, v[22:23]
	v_add_f64_e32 v[18:19], 0xbcd3eaaa7e0d1573, v[18:19]
	s_delay_alu instid0(VALU_DEP_1) | instskip(NEXT) | instid1(VALU_DEP_1)
	v_fma_f64 v[20:21], v[8:9], v[18:19], -v[20:21]
	v_add_f64_e32 v[20:21], 0x3d011d7f0615290c, v[20:21]
	s_delay_alu instid0(VALU_DEP_1) | instskip(NEXT) | instid1(VALU_DEP_1)
	v_fma_f64 v[18:19], v[8:9], v[20:21], -v[18:19]
	;; [unrolled: 3-line block ×24, first 2 shown]
	v_add_f64_e32 v[18:19], 0xbfc694d10469192e, v[18:19]
	s_delay_alu instid0(VALU_DEP_1) | instskip(SKIP_1) | instid1(VALU_DEP_1)
	v_fma_f64 v[8:9], v[8:9], v[18:19], -v[20:21]
	v_fmamk_f64 v[18:19], v[22:23], 0xbc7abc9e3b39803f, v[24:25]
	v_fmaak_f64 v[24:25], s[12:13], v[18:19], 0x3e928af3fca7ab0c
	s_delay_alu instid0(VALU_DEP_1) | instskip(NEXT) | instid1(VALU_DEP_1)
	v_fmaak_f64 v[24:25], v[18:19], v[24:25], 0x3ec71dee623fde64
	v_fmaak_f64 v[24:25], v[18:19], v[24:25], 0x3efa01997c89e6b0
	s_delay_alu instid0(VALU_DEP_1) | instskip(SKIP_1) | instid1(VALU_DEP_2)
	v_fmaak_f64 v[24:25], v[18:19], v[24:25], 0x3f2a01a014761f6e
	v_add_f64_e32 v[8:9], 0x3fd02a63724a7ffa, v[8:9]
	v_fmaak_f64 v[24:25], v[18:19], v[24:25], 0x3f56c16c1852b7b0
	s_delay_alu instid0(VALU_DEP_2) | instskip(NEXT) | instid1(VALU_DEP_2)
	v_add_f64_e64 v[8:9], v[8:9], -v[20:21]
	v_fmaak_f64 v[20:21], v[18:19], v[24:25], 0x3f81111111122322
	s_delay_alu instid0(VALU_DEP_1) | instskip(NEXT) | instid1(VALU_DEP_1)
	v_fmaak_f64 v[20:21], v[18:19], v[20:21], 0x3fa55555555502a1
	v_fmaak_f64 v[20:21], v[18:19], v[20:21], 0x3fc5555555555511
	s_delay_alu instid0(VALU_DEP_1) | instskip(NEXT) | instid1(VALU_DEP_1)
	v_fmaak_f64 v[20:21], v[18:19], v[20:21], 0x3fe000000000000b
	v_fma_f64 v[20:21], v[18:19], v[20:21], 1.0
	v_mul_f64_e32 v[8:9], 0.5, v[8:9]
	s_delay_alu instid0(VALU_DEP_2) | instskip(NEXT) | instid1(VALU_DEP_2)
	v_fma_f64 v[20:21], v[18:19], v[20:21], 1.0
	v_mul_f64_e64 v[18:19], |v[16:17]|, v[8:9]
                                        ; implicit-def: $vgpr8_vgpr9
	v_cmpx_ngt_f64_e32 0, v[16:17]
	s_xor_b32 s11, exec_lo, s11
	s_cbranch_execz .LBB9_1617
; %bb.1616:
	s_delay_alu instid0(VALU_DEP_3) | instskip(SKIP_1) | instid1(VALU_DEP_2)
	v_ldexp_f64 v[8:9], v[20:21], v3
	v_cmp_nlt_f64_e64 vcc_lo, 0x40900000, |v[16:17]|
                                        ; implicit-def: $vgpr20_vgpr21
                                        ; implicit-def: $vgpr3
                                        ; implicit-def: $vgpr16_vgpr17
	v_cndmask_b32_e32 v9, 0x7ff00000, v9, vcc_lo
	s_delay_alu instid0(VALU_DEP_3) | instskip(NEXT) | instid1(VALU_DEP_1)
	v_cndmask_b32_e32 v8, 0, v8, vcc_lo
	v_mul_f64_e32 v[8:9], v[8:9], v[18:19]
                                        ; implicit-def: $vgpr18_vgpr19
.LBB9_1617:
	s_and_not1_saveexec_b32 s11, s11
	s_cbranch_execz .LBB9_1619
; %bb.1618:
	s_delay_alu instid0(VALU_DEP_3) | instskip(SKIP_1) | instid1(VALU_DEP_2)
	v_ldexp_f64 v[8:9], -v[20:21], v3
	v_cmp_nlt_f64_e64 vcc_lo, 0x40900000, |v[16:17]|
	v_cndmask_b32_e32 v9, 0xfff00000, v9, vcc_lo
	s_delay_alu instid0(VALU_DEP_3) | instskip(NEXT) | instid1(VALU_DEP_1)
	v_cndmask_b32_e32 v8, 0, v8, vcc_lo
	v_mul_f64_e32 v[8:9], v[8:9], v[18:19]
.LBB9_1619:
	s_or_b32 exec_lo, exec_lo, s11
                                        ; implicit-def: $vgpr16_vgpr17
.LBB9_1620:
	s_and_not1_saveexec_b32 s11, s0
	s_cbranch_execz .LBB9_1626
; %bb.1621:
	v_and_b32_e32 v9, 0x7fffffff, v17
	v_mov_b32_e32 v8, v16
	s_mov_b64 s[12:13], 0x3c61556db352e8e6
	v_cmp_ngt_f64_e64 s0, 0, v[16:17]
	s_delay_alu instid0(VALU_DEP_2) | instskip(SKIP_1) | instid1(VALU_DEP_2)
	v_div_scale_f64 v[18:19], null, v[8:9], v[8:9], 0x40400000
	v_div_scale_f64 v[8:9], vcc_lo, 0x40400000, v[8:9], 0x40400000
	v_rcp_f64_e32 v[20:21], v[18:19]
	v_nop
	s_delay_alu instid0(TRANS32_DEP_1) | instskip(NEXT) | instid1(VALU_DEP_1)
	v_fma_f64 v[22:23], -v[18:19], v[20:21], 1.0
	v_fmac_f64_e32 v[20:21], v[20:21], v[22:23]
	s_delay_alu instid0(VALU_DEP_1) | instskip(NEXT) | instid1(VALU_DEP_1)
	v_fma_f64 v[22:23], -v[18:19], v[20:21], 1.0
	v_fmac_f64_e32 v[20:21], v[20:21], v[22:23]
	s_delay_alu instid0(VALU_DEP_1) | instskip(NEXT) | instid1(VALU_DEP_1)
	v_mul_f64_e32 v[22:23], v[8:9], v[20:21]
	v_fma_f64 v[8:9], -v[18:19], v[22:23], v[8:9]
	s_delay_alu instid0(VALU_DEP_1) | instskip(SKIP_1) | instid1(VALU_DEP_2)
	v_div_fmas_f64 v[8:9], v[8:9], v[20:21], v[22:23]
	v_cmp_nlt_f64_e64 vcc_lo, 0x40900000, |v[16:17]|
	v_div_fixup_f64 v[8:9], v[8:9], |v[16:17]|, 0x40400000
	s_delay_alu instid0(VALU_DEP_1) | instskip(NEXT) | instid1(VALU_DEP_1)
	v_add_f64_e32 v[8:9], -2.0, v[8:9]
	v_fmaak_f64 v[18:19], s[12:13], v[8:9], 0x3c545b8aea87b950
	s_mov_b64 s[12:13], 0x3ff71547652b82fe
	s_delay_alu instid0(SALU_CYCLE_1) | instskip(SKIP_1) | instid1(VALU_DEP_2)
	v_mul_f64_e64 v[22:23], |v[16:17]|, s[12:13]
	s_mov_b64 s[12:13], 0xbfe62e42fefa39ef
	v_fmaak_f64 v[20:21], v[8:9], v[18:19], 0xbc61556db352e8e6
	s_delay_alu instid0(VALU_DEP_1) | instskip(NEXT) | instid1(VALU_DEP_3)
	v_add_f64_e32 v[20:21], 0xbc8acea3b2532277, v[20:21]
	v_rndne_f64_e32 v[22:23], v[22:23]
	s_delay_alu instid0(VALU_DEP_2) | instskip(NEXT) | instid1(VALU_DEP_2)
	v_fma_f64 v[18:19], v[8:9], v[20:21], -v[18:19]
	v_fma_f64 v[24:25], v[22:23], s[12:13], |v[16:17]|
	s_mov_b64 s[12:13], 0x3e5ade156a5dcb37
	v_cvt_i32_f64_e32 v3, v[22:23]
	s_delay_alu instid0(VALU_DEP_3) | instskip(NEXT) | instid1(VALU_DEP_3)
	v_add_f64_e32 v[18:19], 0xbc82806c9c773320, v[18:19]
	v_fmamk_f64 v[24:25], v[22:23], 0xbc7abc9e3b39803f, v[24:25]
	s_delay_alu instid0(VALU_DEP_1) | instskip(NEXT) | instid1(VALU_DEP_3)
	v_fmaak_f64 v[26:27], s[12:13], v[24:25], 0x3e928af3fca7ab0c
	v_fma_f64 v[20:21], v[8:9], v[18:19], -v[20:21]
	s_delay_alu instid0(VALU_DEP_2) | instskip(NEXT) | instid1(VALU_DEP_1)
	v_fmaak_f64 v[26:27], v[24:25], v[26:27], 0x3ec71dee623fde64
	v_fmaak_f64 v[26:27], v[24:25], v[26:27], 0x3efa01997c89e6b0
	s_delay_alu instid0(VALU_DEP_1) | instskip(NEXT) | instid1(VALU_DEP_1)
	v_fmaak_f64 v[26:27], v[24:25], v[26:27], 0x3f2a01a014761f6e
	v_fmaak_f64 v[26:27], v[24:25], v[26:27], 0x3f56c16c1852b7b0
	s_delay_alu instid0(VALU_DEP_1) | instskip(SKIP_1) | instid1(VALU_DEP_2)
	v_fmaak_f64 v[26:27], v[24:25], v[26:27], 0x3f81111111122322
	v_add_f64_e32 v[20:21], 0x3cb55915fceb588a, v[20:21]
	v_fmaak_f64 v[26:27], v[24:25], v[26:27], 0x3fa55555555502a1
	s_delay_alu instid0(VALU_DEP_1) | instskip(NEXT) | instid1(VALU_DEP_1)
	v_fmaak_f64 v[26:27], v[24:25], v[26:27], 0x3fc5555555555511
	v_fmaak_f64 v[26:27], v[24:25], v[26:27], 0x3fe000000000000b
	s_delay_alu instid0(VALU_DEP_1) | instskip(SKIP_1) | instid1(VALU_DEP_1)
	v_fma_f64 v[26:27], v[24:25], v[26:27], 1.0
	v_fma_f64 v[18:19], v[8:9], v[20:21], -v[18:19]
	v_add_f64_e32 v[18:19], 0x3cb7d68e5f04a2d1, v[18:19]
	s_delay_alu instid0(VALU_DEP_1) | instskip(NEXT) | instid1(VALU_DEP_1)
	v_fma_f64 v[20:21], v[8:9], v[18:19], -v[20:21]
	v_add_f64_e32 v[20:21], 0xbce0efcd8bc4d22a, v[20:21]
	s_delay_alu instid0(VALU_DEP_1) | instskip(NEXT) | instid1(VALU_DEP_1)
	;; [unrolled: 3-line block ×18, first 2 shown]
	v_fma_f64 v[18:19], v[8:9], v[20:21], -v[18:19]
	v_add_f64_e32 v[18:19], 0xbf83fda053fcdb4c, v[18:19]
	s_delay_alu instid0(VALU_DEP_1) | instskip(SKIP_1) | instid1(VALU_DEP_2)
	v_fma_f64 v[8:9], v[8:9], v[18:19], -v[20:21]
	v_fma_f64 v[18:19], v[24:25], v[26:27], 1.0
	v_add_f64_e32 v[8:9], 0x3fe8ea18b55b1514, v[8:9]
	s_delay_alu instid0(VALU_DEP_2) | instskip(NEXT) | instid1(VALU_DEP_2)
	v_ldexp_f64 v[18:19], v[18:19], v3
	v_add_f64_e64 v[20:21], v[8:9], -v[20:21]
	s_delay_alu instid0(VALU_DEP_2) | instskip(NEXT) | instid1(VALU_DEP_3)
	v_cndmask_b32_e32 v19, 0x7ff00000, v19, vcc_lo
	v_cndmask_b32_e32 v18, 0, v18, vcc_lo
                                        ; implicit-def: $vgpr8_vgpr9
	s_and_saveexec_b32 s12, s0
	s_delay_alu instid0(SALU_CYCLE_1)
	s_xor_b32 s0, exec_lo, s12
	s_cbranch_execz .LBB9_1623
; %bb.1622:
	v_cmp_gt_f64_e64 s12, 0x10000000, |v[16:17]|
	s_delay_alu instid0(VALU_DEP_1) | instskip(NEXT) | instid1(VALU_DEP_1)
	v_cndmask_b32_e64 v3, 0, 0x100, s12
	v_ldexp_f64 v[8:9], |v[16:17]|, v3
	v_cndmask_b32_e64 v3, 0, 0xffffff80, s12
	s_delay_alu instid0(VALU_DEP_2) | instskip(SKIP_1) | instid1(TRANS32_DEP_1)
	v_rsq_f64_e32 v[16:17], v[8:9]
	v_cmp_class_f64_e64 vcc_lo, v[8:9], 0x260
	v_mul_f64_e32 v[22:23], v[8:9], v[16:17]
	v_mul_f64_e32 v[16:17], 0.5, v[16:17]
	s_delay_alu instid0(VALU_DEP_1) | instskip(NEXT) | instid1(VALU_DEP_1)
	v_fma_f64 v[24:25], -v[16:17], v[22:23], 0.5
	v_fmac_f64_e32 v[22:23], v[22:23], v[24:25]
	v_fmac_f64_e32 v[16:17], v[16:17], v[24:25]
	s_delay_alu instid0(VALU_DEP_2) | instskip(NEXT) | instid1(VALU_DEP_1)
	v_fma_f64 v[24:25], -v[22:23], v[22:23], v[8:9]
	v_fmac_f64_e32 v[22:23], v[24:25], v[16:17]
	s_delay_alu instid0(VALU_DEP_1) | instskip(NEXT) | instid1(VALU_DEP_1)
	v_fma_f64 v[24:25], -v[22:23], v[22:23], v[8:9]
	v_fmac_f64_e32 v[22:23], v[24:25], v[16:17]
	v_mul_f64_e32 v[16:17], 0.5, v[20:21]
	s_delay_alu instid0(VALU_DEP_2) | instskip(NEXT) | instid1(VALU_DEP_2)
	v_ldexp_f64 v[20:21], v[22:23], v3
	v_mul_f64_e32 v[16:17], v[18:19], v[16:17]
	s_delay_alu instid0(VALU_DEP_2) | instskip(NEXT) | instid1(VALU_DEP_1)
	v_dual_cndmask_b32 v9, v21, v9 :: v_dual_cndmask_b32 v8, v20, v8
	v_div_scale_f64 v[18:19], null, v[8:9], v[8:9], v[16:17]
	s_delay_alu instid0(VALU_DEP_1) | instskip(SKIP_1) | instid1(TRANS32_DEP_1)
	v_rcp_f64_e32 v[20:21], v[18:19]
	v_nop
	v_fma_f64 v[22:23], -v[18:19], v[20:21], 1.0
	s_delay_alu instid0(VALU_DEP_1) | instskip(NEXT) | instid1(VALU_DEP_1)
	v_fmac_f64_e32 v[20:21], v[20:21], v[22:23]
	v_fma_f64 v[22:23], -v[18:19], v[20:21], 1.0
	s_delay_alu instid0(VALU_DEP_1) | instskip(SKIP_1) | instid1(VALU_DEP_1)
	v_fmac_f64_e32 v[20:21], v[20:21], v[22:23]
	v_div_scale_f64 v[22:23], vcc_lo, v[16:17], v[8:9], v[16:17]
	v_mul_f64_e32 v[24:25], v[22:23], v[20:21]
	s_delay_alu instid0(VALU_DEP_1) | instskip(NEXT) | instid1(VALU_DEP_1)
	v_fma_f64 v[18:19], -v[18:19], v[24:25], v[22:23]
	v_div_fmas_f64 v[18:19], v[18:19], v[20:21], v[24:25]
                                        ; implicit-def: $vgpr20_vgpr21
	s_delay_alu instid0(VALU_DEP_1)
	v_div_fixup_f64 v[8:9], v[18:19], v[8:9], v[16:17]
                                        ; implicit-def: $vgpr16_vgpr17
                                        ; implicit-def: $vgpr18_vgpr19
.LBB9_1623:
	s_and_not1_saveexec_b32 s0, s0
	s_cbranch_execz .LBB9_1625
; %bb.1624:
	v_cmp_gt_f64_e64 s12, 0x10000000, |v[16:17]|
	s_delay_alu instid0(VALU_DEP_1) | instskip(NEXT) | instid1(VALU_DEP_1)
	v_cndmask_b32_e64 v3, 0, 0x100, s12
	v_ldexp_f64 v[8:9], |v[16:17]|, v3
	v_cndmask_b32_e64 v3, 0, 0xffffff80, s12
	s_delay_alu instid0(VALU_DEP_2) | instskip(SKIP_1) | instid1(TRANS32_DEP_1)
	v_rsq_f64_e32 v[16:17], v[8:9]
	v_cmp_class_f64_e64 vcc_lo, v[8:9], 0x260
	v_mul_f64_e32 v[22:23], v[8:9], v[16:17]
	v_mul_f64_e32 v[16:17], 0.5, v[16:17]
	s_delay_alu instid0(VALU_DEP_1) | instskip(NEXT) | instid1(VALU_DEP_1)
	v_fma_f64 v[24:25], -v[16:17], v[22:23], 0.5
	v_fmac_f64_e32 v[22:23], v[22:23], v[24:25]
	v_fmac_f64_e32 v[16:17], v[16:17], v[24:25]
	s_delay_alu instid0(VALU_DEP_2) | instskip(NEXT) | instid1(VALU_DEP_1)
	v_fma_f64 v[24:25], -v[22:23], v[22:23], v[8:9]
	v_fmac_f64_e32 v[22:23], v[24:25], v[16:17]
	s_delay_alu instid0(VALU_DEP_1) | instskip(NEXT) | instid1(VALU_DEP_1)
	v_fma_f64 v[24:25], -v[22:23], v[22:23], v[8:9]
	v_fmac_f64_e32 v[22:23], v[24:25], v[16:17]
	v_mul_f64_e32 v[16:17], -0.5, v[20:21]
	s_delay_alu instid0(VALU_DEP_2) | instskip(NEXT) | instid1(VALU_DEP_2)
	v_ldexp_f64 v[20:21], v[22:23], v3
	v_mul_f64_e32 v[16:17], v[18:19], v[16:17]
	s_delay_alu instid0(VALU_DEP_2) | instskip(NEXT) | instid1(VALU_DEP_1)
	v_dual_cndmask_b32 v9, v21, v9 :: v_dual_cndmask_b32 v8, v20, v8
	v_div_scale_f64 v[18:19], null, v[8:9], v[8:9], v[16:17]
	s_delay_alu instid0(VALU_DEP_1) | instskip(SKIP_1) | instid1(TRANS32_DEP_1)
	v_rcp_f64_e32 v[20:21], v[18:19]
	v_nop
	v_fma_f64 v[22:23], -v[18:19], v[20:21], 1.0
	s_delay_alu instid0(VALU_DEP_1) | instskip(NEXT) | instid1(VALU_DEP_1)
	v_fmac_f64_e32 v[20:21], v[20:21], v[22:23]
	v_fma_f64 v[22:23], -v[18:19], v[20:21], 1.0
	s_delay_alu instid0(VALU_DEP_1) | instskip(SKIP_1) | instid1(VALU_DEP_1)
	v_fmac_f64_e32 v[20:21], v[20:21], v[22:23]
	v_div_scale_f64 v[22:23], vcc_lo, v[16:17], v[8:9], v[16:17]
	v_mul_f64_e32 v[24:25], v[22:23], v[20:21]
	s_delay_alu instid0(VALU_DEP_1) | instskip(NEXT) | instid1(VALU_DEP_1)
	v_fma_f64 v[18:19], -v[18:19], v[24:25], v[22:23]
	v_div_fmas_f64 v[18:19], v[18:19], v[20:21], v[24:25]
	s_delay_alu instid0(VALU_DEP_1)
	v_div_fixup_f64 v[8:9], v[18:19], v[8:9], v[16:17]
.LBB9_1625:
	s_or_b32 exec_lo, exec_lo, s0
.LBB9_1626:
	s_delay_alu instid0(SALU_CYCLE_1) | instskip(SKIP_2) | instid1(VALU_DEP_1)
	s_or_b32 exec_lo, exec_lo, s11
	v_mov_b32_e32 v13, 0
	s_cmp_lt_i32 s10, 11
	v_add_nc_u64_e32 v[12:13], s[6:7], v[12:13]
	s_cbranch_scc1 .LBB9_1633
; %bb.1627:
	s_cmp_gt_i32 s10, 25
	s_mov_b32 s6, 0
	s_cbranch_scc0 .LBB9_1634
; %bb.1628:
	s_cmp_gt_i32 s10, 28
	s_cbranch_scc0 .LBB9_1635
; %bb.1629:
	s_cmp_gt_i32 s10, 43
	s_cbranch_scc0 .LBB9_1636
; %bb.1630:
	s_cmp_gt_i32 s10, 45
	s_cbranch_scc0 .LBB9_1638
; %bb.1631:
	s_cmp_eq_u32 s10, 46
	s_mov_b32 s11, 0
	s_cbranch_scc0 .LBB9_1639
; %bb.1632:
	global_load_b32 v3, v[12:13], off
	s_mov_b32 s0, 0
	s_mov_b32 s7, -1
	s_wait_loadcnt 0x0
	v_lshlrev_b32_e32 v3, 16, v3
	s_delay_alu instid0(VALU_DEP_1)
	v_cvt_f64_f32_e32 v[16:17], v3
	s_branch .LBB9_1641
.LBB9_1633:
	s_mov_b32 s0, -1
	s_mov_b32 s7, 0
                                        ; implicit-def: $vgpr16_vgpr17
	s_branch .LBB9_1707
.LBB9_1634:
	s_mov_b32 s11, -1
	s_mov_b32 s7, 0
	s_mov_b32 s0, 0
                                        ; implicit-def: $vgpr16_vgpr17
	s_branch .LBB9_1670
.LBB9_1635:
	s_mov_b32 s11, -1
	s_mov_b32 s7, 0
	s_mov_b32 s0, 0
                                        ; implicit-def: $vgpr16_vgpr17
	s_branch .LBB9_1651
.LBB9_1636:
	s_mov_b32 s11, -1
	s_mov_b32 s7, 0
	s_mov_b32 s0, 0
                                        ; implicit-def: $vgpr16_vgpr17
	s_branch .LBB9_1646
.LBB9_1637:
	s_or_b32 s1, s1, exec_lo
	s_trap 2
	s_cbranch_execz .LBB9_1564
	s_branch .LBB9_1565
.LBB9_1638:
	s_mov_b32 s11, -1
	s_mov_b32 s7, 0
	s_mov_b32 s0, 0
	s_branch .LBB9_1640
.LBB9_1639:
	s_mov_b32 s0, -1
	s_mov_b32 s7, 0
.LBB9_1640:
                                        ; implicit-def: $vgpr16_vgpr17
.LBB9_1641:
	s_and_b32 vcc_lo, exec_lo, s11
	s_cbranch_vccz .LBB9_1645
; %bb.1642:
	s_cmp_eq_u32 s10, 44
	s_cbranch_scc0 .LBB9_1644
; %bb.1643:
	global_load_u8 v3, v[12:13], off
	s_mov_b32 s0, 0
	s_mov_b32 s7, -1
	s_wait_loadcnt 0x0
	v_lshlrev_b32_e32 v7, 23, v3
	v_cmp_ne_u32_e32 vcc_lo, 0xff, v3
	s_delay_alu instid0(VALU_DEP_2) | instskip(NEXT) | instid1(VALU_DEP_1)
	v_cvt_f64_f32_e32 v[16:17], v7
	v_cndmask_b32_e32 v7, 0x20000000, v16, vcc_lo
	s_delay_alu instid0(VALU_DEP_2) | instskip(SKIP_1) | instid1(VALU_DEP_2)
	v_cndmask_b32_e32 v11, 0x7ff80000, v17, vcc_lo
	v_cmp_ne_u32_e32 vcc_lo, 0, v3
	v_cndmask_b32_e32 v17, 0x38000000, v11, vcc_lo
	s_delay_alu instid0(VALU_DEP_4)
	v_cndmask_b32_e32 v16, 0, v7, vcc_lo
	s_branch .LBB9_1645
.LBB9_1644:
	s_mov_b32 s0, -1
                                        ; implicit-def: $vgpr16_vgpr17
.LBB9_1645:
	s_mov_b32 s11, 0
.LBB9_1646:
	s_delay_alu instid0(SALU_CYCLE_1)
	s_and_b32 vcc_lo, exec_lo, s11
	s_cbranch_vccz .LBB9_1650
; %bb.1647:
	s_cmp_eq_u32 s10, 29
	s_cbranch_scc0 .LBB9_1649
; %bb.1648:
	global_load_b64 v[16:17], v[12:13], off
	s_mov_b32 s0, 0
	s_mov_b32 s7, -1
	s_mov_b32 s11, 0
	s_wait_loadcnt 0x0
	v_cvt_f64_u32_e32 v[18:19], v17
	v_cvt_f64_u32_e32 v[16:17], v16
	s_delay_alu instid0(VALU_DEP_2) | instskip(NEXT) | instid1(VALU_DEP_1)
	v_ldexp_f64 v[18:19], v[18:19], 32
	v_add_f64_e32 v[16:17], v[18:19], v[16:17]
	s_branch .LBB9_1651
.LBB9_1649:
	s_mov_b32 s0, -1
                                        ; implicit-def: $vgpr16_vgpr17
.LBB9_1650:
	s_mov_b32 s11, 0
.LBB9_1651:
	s_delay_alu instid0(SALU_CYCLE_1)
	s_and_b32 vcc_lo, exec_lo, s11
	s_cbranch_vccz .LBB9_1669
; %bb.1652:
	s_cmp_lt_i32 s10, 27
	s_cbranch_scc1 .LBB9_1655
; %bb.1653:
	s_cmp_gt_i32 s10, 27
	s_cbranch_scc0 .LBB9_1656
; %bb.1654:
	global_load_b32 v3, v[12:13], off
	s_mov_b32 s7, 0
	s_wait_loadcnt 0x0
	v_cvt_f64_u32_e32 v[16:17], v3
	s_branch .LBB9_1657
.LBB9_1655:
	s_mov_b32 s7, -1
                                        ; implicit-def: $vgpr16_vgpr17
	s_branch .LBB9_1660
.LBB9_1656:
	s_mov_b32 s7, -1
                                        ; implicit-def: $vgpr16_vgpr17
.LBB9_1657:
	s_delay_alu instid0(SALU_CYCLE_1)
	s_and_not1_b32 vcc_lo, exec_lo, s7
	s_cbranch_vccnz .LBB9_1659
; %bb.1658:
	global_load_u16 v3, v[12:13], off
	s_wait_loadcnt 0x0
	v_cvt_f64_u32_e32 v[16:17], v3
.LBB9_1659:
	s_mov_b32 s7, 0
.LBB9_1660:
	s_delay_alu instid0(SALU_CYCLE_1)
	s_and_not1_b32 vcc_lo, exec_lo, s7
	s_cbranch_vccnz .LBB9_1668
; %bb.1661:
	global_load_u8 v3, v[12:13], off
	s_mov_b32 s7, 0
	s_mov_b32 s11, exec_lo
	s_wait_loadcnt 0x0
	v_cmpx_lt_i16_e32 0x7f, v3
	s_xor_b32 s11, exec_lo, s11
	s_cbranch_execz .LBB9_1682
; %bb.1662:
	s_mov_b32 s7, -1
	s_mov_b32 s12, exec_lo
	v_cmpx_eq_u16_e32 0x80, v3
; %bb.1663:
	s_xor_b32 s7, exec_lo, -1
; %bb.1664:
	s_or_b32 exec_lo, exec_lo, s12
	s_delay_alu instid0(SALU_CYCLE_1)
	s_and_b32 s7, s7, exec_lo
	s_or_saveexec_b32 s11, s11
	v_mov_b64_e32 v[16:17], 0x7ff8000020000000
	s_xor_b32 exec_lo, exec_lo, s11
	s_cbranch_execnz .LBB9_1683
.LBB9_1665:
	s_or_b32 exec_lo, exec_lo, s11
	s_and_saveexec_b32 s11, s7
	s_cbranch_execz .LBB9_1667
.LBB9_1666:
	v_and_b32_e32 v7, 0xffff, v3
	v_lshlrev_b32_e32 v3, 24, v3
	s_delay_alu instid0(VALU_DEP_2) | instskip(SKIP_1) | instid1(VALU_DEP_3)
	v_and_b32_e32 v11, 7, v7
	v_bfe_u32 v17, v7, 3, 4
	v_and_b32_e32 v3, 0x80000000, v3
	s_delay_alu instid0(VALU_DEP_3) | instskip(NEXT) | instid1(VALU_DEP_3)
	v_clz_i32_u32_e32 v15, v11
	v_cmp_eq_u32_e32 vcc_lo, 0, v17
	s_delay_alu instid0(VALU_DEP_2) | instskip(NEXT) | instid1(VALU_DEP_1)
	v_min_u32_e32 v15, 32, v15
	v_subrev_nc_u32_e32 v16, 28, v15
	v_sub_nc_u32_e32 v15, 29, v15
	s_delay_alu instid0(VALU_DEP_2) | instskip(NEXT) | instid1(VALU_DEP_2)
	v_lshlrev_b32_e32 v7, v16, v7
	v_cndmask_b32_e32 v15, v17, v15, vcc_lo
	s_delay_alu instid0(VALU_DEP_2) | instskip(NEXT) | instid1(VALU_DEP_1)
	v_and_b32_e32 v7, 7, v7
	v_cndmask_b32_e32 v7, v11, v7, vcc_lo
	s_delay_alu instid0(VALU_DEP_3) | instskip(NEXT) | instid1(VALU_DEP_2)
	v_lshl_add_u32 v11, v15, 23, 0x3b800000
	v_lshlrev_b32_e32 v7, 20, v7
	s_delay_alu instid0(VALU_DEP_1) | instskip(NEXT) | instid1(VALU_DEP_1)
	v_or3_b32 v3, v3, v11, v7
	v_cvt_f64_f32_e32 v[16:17], v3
.LBB9_1667:
	s_or_b32 exec_lo, exec_lo, s11
.LBB9_1668:
	s_mov_b32 s7, -1
.LBB9_1669:
	s_mov_b32 s11, 0
.LBB9_1670:
	s_delay_alu instid0(SALU_CYCLE_1)
	s_and_b32 vcc_lo, exec_lo, s11
	s_cbranch_vccz .LBB9_1703
; %bb.1671:
	s_cmp_gt_i32 s10, 22
	s_cbranch_scc0 .LBB9_1681
; %bb.1672:
	s_cmp_lt_i32 s10, 24
	s_cbranch_scc1 .LBB9_1684
; %bb.1673:
	s_cmp_gt_i32 s10, 24
	s_cbranch_scc0 .LBB9_1685
; %bb.1674:
	global_load_u8 v3, v[12:13], off
	s_mov_b32 s7, exec_lo
	s_wait_loadcnt 0x0
	v_cmpx_lt_i16_e32 0x7f, v3
	s_xor_b32 s7, exec_lo, s7
	s_cbranch_execz .LBB9_1697
; %bb.1675:
	s_mov_b32 s6, -1
	s_mov_b32 s11, exec_lo
	v_cmpx_eq_u16_e32 0x80, v3
; %bb.1676:
	s_xor_b32 s6, exec_lo, -1
; %bb.1677:
	s_or_b32 exec_lo, exec_lo, s11
	s_delay_alu instid0(SALU_CYCLE_1)
	s_and_b32 s6, s6, exec_lo
	s_or_saveexec_b32 s7, s7
	v_mov_b64_e32 v[16:17], 0x7ff8000020000000
	s_xor_b32 exec_lo, exec_lo, s7
	s_cbranch_execnz .LBB9_1698
.LBB9_1678:
	s_or_b32 exec_lo, exec_lo, s7
	s_and_saveexec_b32 s7, s6
	s_cbranch_execz .LBB9_1680
.LBB9_1679:
	v_and_b32_e32 v7, 0xffff, v3
	v_lshlrev_b32_e32 v3, 24, v3
	s_delay_alu instid0(VALU_DEP_2) | instskip(SKIP_1) | instid1(VALU_DEP_3)
	v_and_b32_e32 v11, 3, v7
	v_bfe_u32 v17, v7, 2, 5
	v_and_b32_e32 v3, 0x80000000, v3
	s_delay_alu instid0(VALU_DEP_3) | instskip(NEXT) | instid1(VALU_DEP_3)
	v_clz_i32_u32_e32 v15, v11
	v_cmp_eq_u32_e32 vcc_lo, 0, v17
	s_delay_alu instid0(VALU_DEP_2) | instskip(NEXT) | instid1(VALU_DEP_1)
	v_min_u32_e32 v15, 32, v15
	v_subrev_nc_u32_e32 v16, 29, v15
	v_sub_nc_u32_e32 v15, 30, v15
	s_delay_alu instid0(VALU_DEP_2) | instskip(NEXT) | instid1(VALU_DEP_2)
	v_lshlrev_b32_e32 v7, v16, v7
	v_cndmask_b32_e32 v15, v17, v15, vcc_lo
	s_delay_alu instid0(VALU_DEP_2) | instskip(NEXT) | instid1(VALU_DEP_1)
	v_and_b32_e32 v7, 3, v7
	v_cndmask_b32_e32 v7, v11, v7, vcc_lo
	s_delay_alu instid0(VALU_DEP_3) | instskip(NEXT) | instid1(VALU_DEP_2)
	v_lshl_add_u32 v11, v15, 23, 0x37800000
	v_lshlrev_b32_e32 v7, 21, v7
	s_delay_alu instid0(VALU_DEP_1) | instskip(NEXT) | instid1(VALU_DEP_1)
	v_or3_b32 v3, v3, v11, v7
	v_cvt_f64_f32_e32 v[16:17], v3
.LBB9_1680:
	s_or_b32 exec_lo, exec_lo, s7
	s_mov_b32 s6, 0
	s_branch .LBB9_1686
.LBB9_1681:
	s_mov_b32 s6, -1
                                        ; implicit-def: $vgpr16_vgpr17
	s_branch .LBB9_1692
.LBB9_1682:
	s_or_saveexec_b32 s11, s11
	v_mov_b64_e32 v[16:17], 0x7ff8000020000000
	s_xor_b32 exec_lo, exec_lo, s11
	s_cbranch_execz .LBB9_1665
.LBB9_1683:
	v_cmp_ne_u16_e32 vcc_lo, 0, v3
	v_mov_b64_e32 v[16:17], 0
	s_and_not1_b32 s7, s7, exec_lo
	s_and_b32 s12, vcc_lo, exec_lo
	s_delay_alu instid0(SALU_CYCLE_1)
	s_or_b32 s7, s7, s12
	s_or_b32 exec_lo, exec_lo, s11
	s_and_saveexec_b32 s11, s7
	s_cbranch_execnz .LBB9_1666
	s_branch .LBB9_1667
.LBB9_1684:
	s_mov_b32 s6, -1
                                        ; implicit-def: $vgpr16_vgpr17
	s_branch .LBB9_1689
.LBB9_1685:
	s_mov_b32 s6, -1
                                        ; implicit-def: $vgpr16_vgpr17
.LBB9_1686:
	s_delay_alu instid0(SALU_CYCLE_1)
	s_and_b32 vcc_lo, exec_lo, s6
	s_cbranch_vccz .LBB9_1688
; %bb.1687:
	global_load_u8 v3, v[12:13], off
	s_wait_loadcnt 0x0
	v_lshlrev_b32_e32 v3, 24, v3
	s_delay_alu instid0(VALU_DEP_1) | instskip(NEXT) | instid1(VALU_DEP_1)
	v_and_b32_e32 v7, 0x7f000000, v3
	v_clz_i32_u32_e32 v11, v7
	v_add_nc_u32_e32 v16, 0x1000000, v7
	v_cmp_ne_u32_e32 vcc_lo, 0, v7
	s_delay_alu instid0(VALU_DEP_3) | instskip(NEXT) | instid1(VALU_DEP_1)
	v_min_u32_e32 v11, 32, v11
	v_sub_nc_u32_e64 v11, v11, 4 clamp
	s_delay_alu instid0(VALU_DEP_1) | instskip(SKIP_1) | instid1(VALU_DEP_2)
	v_lshlrev_b32_e32 v15, v11, v7
	v_lshlrev_b32_e32 v11, 23, v11
	v_lshrrev_b32_e32 v15, 4, v15
	s_delay_alu instid0(VALU_DEP_1) | instskip(NEXT) | instid1(VALU_DEP_1)
	v_dual_sub_nc_u32 v11, v15, v11 :: v_dual_ashrrev_i32 v15, 8, v16
	v_add_nc_u32_e32 v11, 0x3c000000, v11
	s_delay_alu instid0(VALU_DEP_1) | instskip(NEXT) | instid1(VALU_DEP_1)
	v_and_or_b32 v11, 0x7f800000, v15, v11
	v_cndmask_b32_e32 v7, 0, v11, vcc_lo
	s_delay_alu instid0(VALU_DEP_1) | instskip(NEXT) | instid1(VALU_DEP_1)
	v_and_or_b32 v3, 0x80000000, v3, v7
	v_cvt_f64_f32_e32 v[16:17], v3
.LBB9_1688:
	s_mov_b32 s6, 0
.LBB9_1689:
	s_delay_alu instid0(SALU_CYCLE_1)
	s_and_not1_b32 vcc_lo, exec_lo, s6
	s_cbranch_vccnz .LBB9_1691
; %bb.1690:
	global_load_u8 v3, v[12:13], off
	s_wait_loadcnt 0x0
	v_lshlrev_b32_e32 v7, 25, v3
	v_lshlrev_b16 v3, 8, v3
	s_delay_alu instid0(VALU_DEP_2) | instskip(NEXT) | instid1(VALU_DEP_2)
	v_lshrrev_b32_e32 v11, 4, v7
	v_and_or_b32 v15, 0x7f00, v3, 0.5
	v_cmp_gt_u32_e32 vcc_lo, 0x8000000, v7
	v_bfe_i32 v3, v3, 0, 16
	s_delay_alu instid0(VALU_DEP_4) | instskip(NEXT) | instid1(VALU_DEP_4)
	v_or_b32_e32 v11, 0x70000000, v11
	v_add_f32_e32 v15, -0.5, v15
	s_delay_alu instid0(VALU_DEP_2) | instskip(NEXT) | instid1(VALU_DEP_1)
	v_mul_f32_e32 v11, 0x7800000, v11
	v_cndmask_b32_e32 v7, v11, v15, vcc_lo
	s_delay_alu instid0(VALU_DEP_1) | instskip(NEXT) | instid1(VALU_DEP_1)
	v_and_or_b32 v3, 0x80000000, v3, v7
	v_cvt_f64_f32_e32 v[16:17], v3
.LBB9_1691:
	s_mov_b32 s6, 0
	s_mov_b32 s7, -1
.LBB9_1692:
	s_and_not1_b32 vcc_lo, exec_lo, s6
	s_mov_b32 s6, 0
	s_cbranch_vccnz .LBB9_1703
; %bb.1693:
	s_cmp_gt_i32 s10, 14
	s_cbranch_scc0 .LBB9_1696
; %bb.1694:
	s_cmp_eq_u32 s10, 15
	s_cbranch_scc0 .LBB9_1699
; %bb.1695:
	global_load_u16 v3, v[12:13], off
	s_mov_b32 s0, 0
	s_mov_b32 s7, -1
	s_wait_loadcnt 0x0
	v_lshlrev_b32_e32 v3, 16, v3
	s_delay_alu instid0(VALU_DEP_1)
	v_cvt_f64_f32_e32 v[16:17], v3
	s_branch .LBB9_1701
.LBB9_1696:
	s_mov_b32 s6, -1
	s_branch .LBB9_1700
.LBB9_1697:
	s_or_saveexec_b32 s7, s7
	v_mov_b64_e32 v[16:17], 0x7ff8000020000000
	s_xor_b32 exec_lo, exec_lo, s7
	s_cbranch_execz .LBB9_1678
.LBB9_1698:
	v_cmp_ne_u16_e32 vcc_lo, 0, v3
	v_mov_b64_e32 v[16:17], 0
	s_and_not1_b32 s6, s6, exec_lo
	s_and_b32 s11, vcc_lo, exec_lo
	s_delay_alu instid0(SALU_CYCLE_1)
	s_or_b32 s6, s6, s11
	s_or_b32 exec_lo, exec_lo, s7
	s_and_saveexec_b32 s7, s6
	s_cbranch_execnz .LBB9_1679
	s_branch .LBB9_1680
.LBB9_1699:
	s_mov_b32 s0, -1
.LBB9_1700:
                                        ; implicit-def: $vgpr16_vgpr17
.LBB9_1701:
	s_and_b32 vcc_lo, exec_lo, s6
	s_mov_b32 s6, 0
	s_cbranch_vccz .LBB9_1703
; %bb.1702:
	s_cmp_lg_u32 s10, 11
	s_mov_b32 s6, -1
	s_cselect_b32 s0, -1, 0
.LBB9_1703:
	s_delay_alu instid0(SALU_CYCLE_1)
	s_and_b32 vcc_lo, exec_lo, s0
	s_cbranch_vccnz .LBB9_2249
; %bb.1704:
	s_and_not1_b32 vcc_lo, exec_lo, s6
	s_cbranch_vccnz .LBB9_1706
.LBB9_1705:
	global_load_u8 v3, v[12:13], off
	v_mov_b32_e32 v16, 0
	s_mov_b32 s7, -1
	s_wait_loadcnt 0x0
	v_cmp_ne_u16_e32 vcc_lo, 0, v3
	v_cndmask_b32_e64 v17, 0, 0x3ff00000, vcc_lo
.LBB9_1706:
	s_mov_b32 s0, 0
.LBB9_1707:
	s_delay_alu instid0(SALU_CYCLE_1)
	s_and_b32 vcc_lo, exec_lo, s0
	s_cbranch_vccz .LBB9_1756
; %bb.1708:
	s_cmp_lt_i32 s10, 5
	s_cbranch_scc1 .LBB9_1713
; %bb.1709:
	s_cmp_lt_i32 s10, 8
	s_cbranch_scc1 .LBB9_1714
	;; [unrolled: 3-line block ×3, first 2 shown]
; %bb.1711:
	s_cmp_gt_i32 s10, 9
	s_cbranch_scc0 .LBB9_1716
; %bb.1712:
	global_load_b64 v[16:17], v[12:13], off
	s_mov_b32 s0, 0
	s_branch .LBB9_1717
.LBB9_1713:
	s_mov_b32 s0, -1
                                        ; implicit-def: $vgpr16_vgpr17
	s_branch .LBB9_1735
.LBB9_1714:
	s_mov_b32 s0, -1
                                        ; implicit-def: $vgpr16_vgpr17
	s_branch .LBB9_1723
.LBB9_1715:
	s_mov_b32 s0, -1
                                        ; implicit-def: $vgpr16_vgpr17
	s_branch .LBB9_1720
.LBB9_1716:
	s_mov_b32 s0, -1
                                        ; implicit-def: $vgpr16_vgpr17
.LBB9_1717:
	s_delay_alu instid0(SALU_CYCLE_1)
	s_and_not1_b32 vcc_lo, exec_lo, s0
	s_cbranch_vccnz .LBB9_1719
; %bb.1718:
	global_load_b32 v3, v[12:13], off
	s_wait_loadcnt 0x0
	v_cvt_f64_f32_e32 v[16:17], v3
.LBB9_1719:
	s_mov_b32 s0, 0
.LBB9_1720:
	s_delay_alu instid0(SALU_CYCLE_1)
	s_and_not1_b32 vcc_lo, exec_lo, s0
	s_cbranch_vccnz .LBB9_1722
; %bb.1721:
	global_load_b32 v3, v[12:13], off
	s_wait_loadcnt 0x0
	v_cvt_f32_f16_e32 v3, v3
	s_delay_alu instid0(VALU_DEP_1)
	v_cvt_f64_f32_e32 v[16:17], v3
.LBB9_1722:
	s_mov_b32 s0, 0
.LBB9_1723:
	s_delay_alu instid0(SALU_CYCLE_1)
	s_and_not1_b32 vcc_lo, exec_lo, s0
	s_cbranch_vccnz .LBB9_1734
; %bb.1724:
	s_cmp_lt_i32 s10, 6
	s_cbranch_scc1 .LBB9_1727
; %bb.1725:
	s_cmp_gt_i32 s10, 6
	s_cbranch_scc0 .LBB9_1728
; %bb.1726:
	s_wait_loadcnt 0x0
	global_load_b64 v[16:17], v[12:13], off
	s_mov_b32 s0, 0
	s_branch .LBB9_1729
.LBB9_1727:
	s_mov_b32 s0, -1
                                        ; implicit-def: $vgpr16_vgpr17
	s_branch .LBB9_1732
.LBB9_1728:
	s_mov_b32 s0, -1
                                        ; implicit-def: $vgpr16_vgpr17
.LBB9_1729:
	s_delay_alu instid0(SALU_CYCLE_1)
	s_and_not1_b32 vcc_lo, exec_lo, s0
	s_cbranch_vccnz .LBB9_1731
; %bb.1730:
	global_load_b32 v3, v[12:13], off
	s_wait_loadcnt 0x0
	v_cvt_f64_f32_e32 v[16:17], v3
.LBB9_1731:
	s_mov_b32 s0, 0
.LBB9_1732:
	s_delay_alu instid0(SALU_CYCLE_1)
	s_and_not1_b32 vcc_lo, exec_lo, s0
	s_cbranch_vccnz .LBB9_1734
; %bb.1733:
	global_load_u16 v3, v[12:13], off
	s_wait_loadcnt 0x0
	v_cvt_f32_f16_e32 v3, v3
	s_delay_alu instid0(VALU_DEP_1)
	v_cvt_f64_f32_e32 v[16:17], v3
.LBB9_1734:
	s_mov_b32 s0, 0
.LBB9_1735:
	s_delay_alu instid0(SALU_CYCLE_1)
	s_and_not1_b32 vcc_lo, exec_lo, s0
	s_cbranch_vccnz .LBB9_1755
; %bb.1736:
	s_cmp_lt_i32 s10, 2
	s_cbranch_scc1 .LBB9_1740
; %bb.1737:
	s_cmp_lt_i32 s10, 3
	s_cbranch_scc1 .LBB9_1741
; %bb.1738:
	s_cmp_gt_i32 s10, 3
	s_cbranch_scc0 .LBB9_1742
; %bb.1739:
	s_wait_loadcnt 0x0
	global_load_b64 v[16:17], v[12:13], off
	s_mov_b32 s0, 0
	s_wait_loadcnt 0x0
	v_cvt_f64_i32_e32 v[18:19], v17
	v_cvt_f64_u32_e32 v[16:17], v16
	s_delay_alu instid0(VALU_DEP_2) | instskip(NEXT) | instid1(VALU_DEP_1)
	v_ldexp_f64 v[18:19], v[18:19], 32
	v_add_f64_e32 v[16:17], v[18:19], v[16:17]
	s_branch .LBB9_1743
.LBB9_1740:
	s_mov_b32 s0, -1
                                        ; implicit-def: $vgpr16_vgpr17
	s_branch .LBB9_1749
.LBB9_1741:
	s_mov_b32 s0, -1
                                        ; implicit-def: $vgpr16_vgpr17
	s_branch .LBB9_1746
.LBB9_1742:
	s_mov_b32 s0, -1
                                        ; implicit-def: $vgpr16_vgpr17
.LBB9_1743:
	s_delay_alu instid0(SALU_CYCLE_1)
	s_and_not1_b32 vcc_lo, exec_lo, s0
	s_cbranch_vccnz .LBB9_1745
; %bb.1744:
	global_load_b32 v3, v[12:13], off
	s_wait_loadcnt 0x0
	v_cvt_f64_i32_e32 v[16:17], v3
.LBB9_1745:
	s_mov_b32 s0, 0
.LBB9_1746:
	s_delay_alu instid0(SALU_CYCLE_1)
	s_and_not1_b32 vcc_lo, exec_lo, s0
	s_cbranch_vccnz .LBB9_1748
; %bb.1747:
	global_load_i16 v3, v[12:13], off
	s_wait_loadcnt 0x0
	v_cvt_f64_i32_e32 v[16:17], v3
.LBB9_1748:
	s_mov_b32 s0, 0
.LBB9_1749:
	s_delay_alu instid0(SALU_CYCLE_1)
	s_and_not1_b32 vcc_lo, exec_lo, s0
	s_cbranch_vccnz .LBB9_1755
; %bb.1750:
	s_cmp_gt_i32 s10, 0
	s_mov_b32 s0, 0
	s_cbranch_scc0 .LBB9_1752
; %bb.1751:
	global_load_i8 v3, v[12:13], off
	s_wait_loadcnt 0x0
	v_cvt_f64_i32_e32 v[16:17], v3
	s_branch .LBB9_1753
.LBB9_1752:
	s_mov_b32 s0, -1
                                        ; implicit-def: $vgpr16_vgpr17
.LBB9_1753:
	s_delay_alu instid0(SALU_CYCLE_1)
	s_and_not1_b32 vcc_lo, exec_lo, s0
	s_cbranch_vccnz .LBB9_1755
; %bb.1754:
	global_load_u8 v3, v[12:13], off
	s_wait_loadcnt 0x0
	v_cvt_f64_u32_e32 v[16:17], v3
.LBB9_1755:
	s_mov_b32 s7, -1
.LBB9_1756:
	s_delay_alu instid0(SALU_CYCLE_1)
	s_and_not1_b32 vcc_lo, exec_lo, s7
	s_cbranch_vccnz .LBB9_1847
; %bb.1757:
	s_wait_loadcnt 0x0
	s_delay_alu instid0(VALU_DEP_1) | instskip(SKIP_2) | instid1(SALU_CYCLE_1)
	v_cmp_ge_f64_e64 s0, 0x40200000, |v[16:17]|
                                        ; implicit-def: $vgpr12_vgpr13
	s_wait_xcnt 0x0
	s_and_saveexec_b32 s6, s0
	s_xor_b32 s0, exec_lo, s6
	s_cbranch_execz .LBB9_1763
; %bb.1758:
	v_fma_f64 v[12:13], |v[16:17]|, 0.5, -2.0
	s_mov_b64 s[6:7], 0x3c499f2a0c3c4014
	s_delay_alu instid0(VALU_DEP_1) | instid1(SALU_CYCLE_1)
	v_fmaak_f64 v[18:19], s[6:7], v[12:13], 0xbc7857d0c38a0576
	s_mov_b64 s[6:7], 0x3ff71547652b82fe
	s_delay_alu instid0(SALU_CYCLE_1) | instskip(SKIP_1) | instid1(VALU_DEP_2)
	v_mul_f64_e64 v[22:23], |v[16:17]|, s[6:7]
	s_mov_b64 s[6:7], 0xbfe62e42fefa39ef
	v_fmaak_f64 v[20:21], v[12:13], v[18:19], 0xbc499f2a0c3c4014
	s_delay_alu instid0(VALU_DEP_1) | instskip(NEXT) | instid1(VALU_DEP_3)
	v_add_f64_e32 v[20:21], 0x3ca663e3e593bfac, v[20:21]
	v_rndne_f64_e32 v[22:23], v[22:23]
	s_delay_alu instid0(VALU_DEP_2) | instskip(NEXT) | instid1(VALU_DEP_2)
	v_fma_f64 v[18:19], v[12:13], v[20:21], -v[18:19]
	v_fma_f64 v[24:25], v[22:23], s[6:7], |v[16:17]|
	s_mov_b64 s[6:7], 0x3e5ade156a5dcb37
	v_cvt_i32_f64_e32 v3, v[22:23]
	s_delay_alu instid0(VALU_DEP_3) | instskip(NEXT) | instid1(VALU_DEP_1)
	v_add_f64_e32 v[18:19], 0xbcd3eaaa7e0d1573, v[18:19]
	v_fma_f64 v[20:21], v[12:13], v[18:19], -v[20:21]
	s_delay_alu instid0(VALU_DEP_1) | instskip(NEXT) | instid1(VALU_DEP_1)
	v_add_f64_e32 v[20:21], 0x3d011d7f0615290c, v[20:21]
	v_fma_f64 v[18:19], v[12:13], v[20:21], -v[18:19]
	s_delay_alu instid0(VALU_DEP_1) | instskip(NEXT) | instid1(VALU_DEP_1)
	;; [unrolled: 3-line block ×24, first 2 shown]
	v_add_f64_e32 v[18:19], 0xbfc694d10469192e, v[18:19]
	v_fma_f64 v[12:13], v[12:13], v[18:19], -v[20:21]
	v_fmamk_f64 v[18:19], v[22:23], 0xbc7abc9e3b39803f, v[24:25]
	s_delay_alu instid0(VALU_DEP_1) | instskip(SKIP_1) | instid1(VALU_DEP_1)
	v_fmaak_f64 v[24:25], s[6:7], v[18:19], 0x3e928af3fca7ab0c
	s_mov_b32 s6, exec_lo
	v_fmaak_f64 v[24:25], v[18:19], v[24:25], 0x3ec71dee623fde64
	s_delay_alu instid0(VALU_DEP_1) | instskip(NEXT) | instid1(VALU_DEP_1)
	v_fmaak_f64 v[24:25], v[18:19], v[24:25], 0x3efa01997c89e6b0
	v_fmaak_f64 v[24:25], v[18:19], v[24:25], 0x3f2a01a014761f6e
	v_add_f64_e32 v[12:13], 0x3fd02a63724a7ffa, v[12:13]
	s_delay_alu instid0(VALU_DEP_2) | instskip(NEXT) | instid1(VALU_DEP_2)
	v_fmaak_f64 v[24:25], v[18:19], v[24:25], 0x3f56c16c1852b7b0
	v_add_f64_e64 v[12:13], v[12:13], -v[20:21]
	s_delay_alu instid0(VALU_DEP_2) | instskip(NEXT) | instid1(VALU_DEP_1)
	v_fmaak_f64 v[20:21], v[18:19], v[24:25], 0x3f81111111122322
	v_fmaak_f64 v[20:21], v[18:19], v[20:21], 0x3fa55555555502a1
	s_delay_alu instid0(VALU_DEP_1) | instskip(NEXT) | instid1(VALU_DEP_1)
	v_fmaak_f64 v[20:21], v[18:19], v[20:21], 0x3fc5555555555511
	v_fmaak_f64 v[20:21], v[18:19], v[20:21], 0x3fe000000000000b
	s_delay_alu instid0(VALU_DEP_1) | instskip(SKIP_1) | instid1(VALU_DEP_2)
	v_fma_f64 v[20:21], v[18:19], v[20:21], 1.0
	v_mul_f64_e32 v[12:13], 0.5, v[12:13]
	v_fma_f64 v[20:21], v[18:19], v[20:21], 1.0
	s_delay_alu instid0(VALU_DEP_2)
	v_mul_f64_e64 v[18:19], |v[16:17]|, v[12:13]
                                        ; implicit-def: $vgpr12_vgpr13
	v_cmpx_ngt_f64_e32 0, v[16:17]
	s_xor_b32 s6, exec_lo, s6
	s_cbranch_execz .LBB9_1760
; %bb.1759:
	s_delay_alu instid0(VALU_DEP_3) | instskip(SKIP_1) | instid1(VALU_DEP_2)
	v_ldexp_f64 v[12:13], v[20:21], v3
	v_cmp_nlt_f64_e64 vcc_lo, 0x40900000, |v[16:17]|
                                        ; implicit-def: $vgpr20_vgpr21
                                        ; implicit-def: $vgpr3
                                        ; implicit-def: $vgpr16_vgpr17
	v_cndmask_b32_e32 v13, 0x7ff00000, v13, vcc_lo
	s_delay_alu instid0(VALU_DEP_3) | instskip(NEXT) | instid1(VALU_DEP_1)
	v_cndmask_b32_e32 v12, 0, v12, vcc_lo
	v_mul_f64_e32 v[12:13], v[12:13], v[18:19]
                                        ; implicit-def: $vgpr18_vgpr19
.LBB9_1760:
	s_and_not1_saveexec_b32 s6, s6
	s_cbranch_execz .LBB9_1762
; %bb.1761:
	s_delay_alu instid0(VALU_DEP_3) | instskip(SKIP_1) | instid1(VALU_DEP_2)
	v_ldexp_f64 v[12:13], -v[20:21], v3
	v_cmp_nlt_f64_e64 vcc_lo, 0x40900000, |v[16:17]|
	v_cndmask_b32_e32 v13, 0xfff00000, v13, vcc_lo
	s_delay_alu instid0(VALU_DEP_3) | instskip(NEXT) | instid1(VALU_DEP_1)
	v_cndmask_b32_e32 v12, 0, v12, vcc_lo
	v_mul_f64_e32 v[12:13], v[12:13], v[18:19]
.LBB9_1762:
	s_or_b32 exec_lo, exec_lo, s6
                                        ; implicit-def: $vgpr16_vgpr17
.LBB9_1763:
	s_and_not1_saveexec_b32 s6, s0
	s_cbranch_execz .LBB9_1769
; %bb.1764:
	v_and_b32_e32 v13, 0x7fffffff, v17
	v_mov_b32_e32 v12, v16
	s_mov_b64 s[10:11], 0x3c61556db352e8e6
	v_cmp_ngt_f64_e64 s0, 0, v[16:17]
	s_delay_alu instid0(VALU_DEP_2) | instskip(SKIP_1) | instid1(VALU_DEP_2)
	v_div_scale_f64 v[18:19], null, v[12:13], v[12:13], 0x40400000
	v_div_scale_f64 v[12:13], vcc_lo, 0x40400000, v[12:13], 0x40400000
	v_rcp_f64_e32 v[20:21], v[18:19]
	v_nop
	s_delay_alu instid0(TRANS32_DEP_1) | instskip(NEXT) | instid1(VALU_DEP_1)
	v_fma_f64 v[22:23], -v[18:19], v[20:21], 1.0
	v_fmac_f64_e32 v[20:21], v[20:21], v[22:23]
	s_delay_alu instid0(VALU_DEP_1) | instskip(NEXT) | instid1(VALU_DEP_1)
	v_fma_f64 v[22:23], -v[18:19], v[20:21], 1.0
	v_fmac_f64_e32 v[20:21], v[20:21], v[22:23]
	s_delay_alu instid0(VALU_DEP_1) | instskip(NEXT) | instid1(VALU_DEP_1)
	v_mul_f64_e32 v[22:23], v[12:13], v[20:21]
	v_fma_f64 v[12:13], -v[18:19], v[22:23], v[12:13]
	s_delay_alu instid0(VALU_DEP_1) | instskip(SKIP_1) | instid1(VALU_DEP_2)
	v_div_fmas_f64 v[12:13], v[12:13], v[20:21], v[22:23]
	v_cmp_nlt_f64_e64 vcc_lo, 0x40900000, |v[16:17]|
	v_div_fixup_f64 v[12:13], v[12:13], |v[16:17]|, 0x40400000
	s_delay_alu instid0(VALU_DEP_1) | instskip(NEXT) | instid1(VALU_DEP_1)
	v_add_f64_e32 v[12:13], -2.0, v[12:13]
	v_fmaak_f64 v[18:19], s[10:11], v[12:13], 0x3c545b8aea87b950
	s_mov_b64 s[10:11], 0x3ff71547652b82fe
	s_delay_alu instid0(SALU_CYCLE_1) | instskip(SKIP_1) | instid1(VALU_DEP_2)
	v_mul_f64_e64 v[22:23], |v[16:17]|, s[10:11]
	s_mov_b64 s[10:11], 0xbfe62e42fefa39ef
	v_fmaak_f64 v[20:21], v[12:13], v[18:19], 0xbc61556db352e8e6
	s_delay_alu instid0(VALU_DEP_1) | instskip(NEXT) | instid1(VALU_DEP_3)
	v_add_f64_e32 v[20:21], 0xbc8acea3b2532277, v[20:21]
	v_rndne_f64_e32 v[22:23], v[22:23]
	s_delay_alu instid0(VALU_DEP_2) | instskip(NEXT) | instid1(VALU_DEP_2)
	v_fma_f64 v[18:19], v[12:13], v[20:21], -v[18:19]
	v_fma_f64 v[24:25], v[22:23], s[10:11], |v[16:17]|
	s_mov_b64 s[10:11], 0x3e5ade156a5dcb37
	v_cvt_i32_f64_e32 v3, v[22:23]
	s_delay_alu instid0(VALU_DEP_3) | instskip(NEXT) | instid1(VALU_DEP_3)
	v_add_f64_e32 v[18:19], 0xbc82806c9c773320, v[18:19]
	v_fmamk_f64 v[24:25], v[22:23], 0xbc7abc9e3b39803f, v[24:25]
	s_delay_alu instid0(VALU_DEP_1) | instskip(NEXT) | instid1(VALU_DEP_3)
	v_fmaak_f64 v[26:27], s[10:11], v[24:25], 0x3e928af3fca7ab0c
	v_fma_f64 v[20:21], v[12:13], v[18:19], -v[20:21]
	s_delay_alu instid0(VALU_DEP_2) | instskip(NEXT) | instid1(VALU_DEP_1)
	v_fmaak_f64 v[26:27], v[24:25], v[26:27], 0x3ec71dee623fde64
	v_fmaak_f64 v[26:27], v[24:25], v[26:27], 0x3efa01997c89e6b0
	s_delay_alu instid0(VALU_DEP_1) | instskip(NEXT) | instid1(VALU_DEP_1)
	v_fmaak_f64 v[26:27], v[24:25], v[26:27], 0x3f2a01a014761f6e
	v_fmaak_f64 v[26:27], v[24:25], v[26:27], 0x3f56c16c1852b7b0
	s_delay_alu instid0(VALU_DEP_1) | instskip(SKIP_1) | instid1(VALU_DEP_2)
	v_fmaak_f64 v[26:27], v[24:25], v[26:27], 0x3f81111111122322
	v_add_f64_e32 v[20:21], 0x3cb55915fceb588a, v[20:21]
	v_fmaak_f64 v[26:27], v[24:25], v[26:27], 0x3fa55555555502a1
	s_delay_alu instid0(VALU_DEP_1) | instskip(NEXT) | instid1(VALU_DEP_1)
	v_fmaak_f64 v[26:27], v[24:25], v[26:27], 0x3fc5555555555511
	v_fmaak_f64 v[26:27], v[24:25], v[26:27], 0x3fe000000000000b
	s_delay_alu instid0(VALU_DEP_1) | instskip(SKIP_1) | instid1(VALU_DEP_1)
	v_fma_f64 v[26:27], v[24:25], v[26:27], 1.0
	v_fma_f64 v[18:19], v[12:13], v[20:21], -v[18:19]
	v_add_f64_e32 v[18:19], 0x3cb7d68e5f04a2d1, v[18:19]
	s_delay_alu instid0(VALU_DEP_1) | instskip(NEXT) | instid1(VALU_DEP_1)
	v_fma_f64 v[20:21], v[12:13], v[18:19], -v[20:21]
	v_add_f64_e32 v[20:21], 0xbce0efcd8bc4d22a, v[20:21]
	s_delay_alu instid0(VALU_DEP_1) | instskip(NEXT) | instid1(VALU_DEP_1)
	;; [unrolled: 3-line block ×18, first 2 shown]
	v_fma_f64 v[18:19], v[12:13], v[20:21], -v[18:19]
	v_add_f64_e32 v[18:19], 0xbf83fda053fcdb4c, v[18:19]
	s_delay_alu instid0(VALU_DEP_1) | instskip(SKIP_1) | instid1(VALU_DEP_2)
	v_fma_f64 v[12:13], v[12:13], v[18:19], -v[20:21]
	v_fma_f64 v[18:19], v[24:25], v[26:27], 1.0
	v_add_f64_e32 v[12:13], 0x3fe8ea18b55b1514, v[12:13]
	s_delay_alu instid0(VALU_DEP_2) | instskip(NEXT) | instid1(VALU_DEP_2)
	v_ldexp_f64 v[18:19], v[18:19], v3
	v_add_f64_e64 v[20:21], v[12:13], -v[20:21]
	s_delay_alu instid0(VALU_DEP_2) | instskip(NEXT) | instid1(VALU_DEP_3)
	v_cndmask_b32_e32 v19, 0x7ff00000, v19, vcc_lo
	v_cndmask_b32_e32 v18, 0, v18, vcc_lo
                                        ; implicit-def: $vgpr12_vgpr13
	s_and_saveexec_b32 s7, s0
	s_delay_alu instid0(SALU_CYCLE_1)
	s_xor_b32 s0, exec_lo, s7
	s_cbranch_execz .LBB9_1766
; %bb.1765:
	v_cmp_gt_f64_e64 s7, 0x10000000, |v[16:17]|
	s_delay_alu instid0(VALU_DEP_1) | instskip(NEXT) | instid1(VALU_DEP_1)
	v_cndmask_b32_e64 v3, 0, 0x100, s7
	v_ldexp_f64 v[12:13], |v[16:17]|, v3
	v_cndmask_b32_e64 v3, 0, 0xffffff80, s7
	s_delay_alu instid0(VALU_DEP_2) | instskip(SKIP_1) | instid1(TRANS32_DEP_1)
	v_rsq_f64_e32 v[16:17], v[12:13]
	v_cmp_class_f64_e64 vcc_lo, v[12:13], 0x260
	v_mul_f64_e32 v[22:23], v[12:13], v[16:17]
	v_mul_f64_e32 v[16:17], 0.5, v[16:17]
	s_delay_alu instid0(VALU_DEP_1) | instskip(NEXT) | instid1(VALU_DEP_1)
	v_fma_f64 v[24:25], -v[16:17], v[22:23], 0.5
	v_fmac_f64_e32 v[22:23], v[22:23], v[24:25]
	v_fmac_f64_e32 v[16:17], v[16:17], v[24:25]
	s_delay_alu instid0(VALU_DEP_2) | instskip(NEXT) | instid1(VALU_DEP_1)
	v_fma_f64 v[24:25], -v[22:23], v[22:23], v[12:13]
	v_fmac_f64_e32 v[22:23], v[24:25], v[16:17]
	s_delay_alu instid0(VALU_DEP_1) | instskip(NEXT) | instid1(VALU_DEP_1)
	v_fma_f64 v[24:25], -v[22:23], v[22:23], v[12:13]
	v_fmac_f64_e32 v[22:23], v[24:25], v[16:17]
	v_mul_f64_e32 v[16:17], 0.5, v[20:21]
	s_delay_alu instid0(VALU_DEP_2) | instskip(NEXT) | instid1(VALU_DEP_2)
	v_ldexp_f64 v[20:21], v[22:23], v3
	v_mul_f64_e32 v[16:17], v[18:19], v[16:17]
	s_delay_alu instid0(VALU_DEP_2) | instskip(NEXT) | instid1(VALU_DEP_1)
	v_dual_cndmask_b32 v13, v21, v13 :: v_dual_cndmask_b32 v12, v20, v12
	v_div_scale_f64 v[18:19], null, v[12:13], v[12:13], v[16:17]
	s_delay_alu instid0(VALU_DEP_1) | instskip(SKIP_1) | instid1(TRANS32_DEP_1)
	v_rcp_f64_e32 v[20:21], v[18:19]
	v_nop
	v_fma_f64 v[22:23], -v[18:19], v[20:21], 1.0
	s_delay_alu instid0(VALU_DEP_1) | instskip(NEXT) | instid1(VALU_DEP_1)
	v_fmac_f64_e32 v[20:21], v[20:21], v[22:23]
	v_fma_f64 v[22:23], -v[18:19], v[20:21], 1.0
	s_delay_alu instid0(VALU_DEP_1) | instskip(SKIP_1) | instid1(VALU_DEP_1)
	v_fmac_f64_e32 v[20:21], v[20:21], v[22:23]
	v_div_scale_f64 v[22:23], vcc_lo, v[16:17], v[12:13], v[16:17]
	v_mul_f64_e32 v[24:25], v[22:23], v[20:21]
	s_delay_alu instid0(VALU_DEP_1) | instskip(NEXT) | instid1(VALU_DEP_1)
	v_fma_f64 v[18:19], -v[18:19], v[24:25], v[22:23]
	v_div_fmas_f64 v[18:19], v[18:19], v[20:21], v[24:25]
                                        ; implicit-def: $vgpr20_vgpr21
	s_delay_alu instid0(VALU_DEP_1)
	v_div_fixup_f64 v[12:13], v[18:19], v[12:13], v[16:17]
                                        ; implicit-def: $vgpr16_vgpr17
                                        ; implicit-def: $vgpr18_vgpr19
.LBB9_1766:
	s_and_not1_saveexec_b32 s0, s0
	s_cbranch_execz .LBB9_1768
; %bb.1767:
	v_cmp_gt_f64_e64 s7, 0x10000000, |v[16:17]|
	s_delay_alu instid0(VALU_DEP_1) | instskip(NEXT) | instid1(VALU_DEP_1)
	v_cndmask_b32_e64 v3, 0, 0x100, s7
	v_ldexp_f64 v[12:13], |v[16:17]|, v3
	v_cndmask_b32_e64 v3, 0, 0xffffff80, s7
	s_delay_alu instid0(VALU_DEP_2) | instskip(SKIP_1) | instid1(TRANS32_DEP_1)
	v_rsq_f64_e32 v[16:17], v[12:13]
	v_cmp_class_f64_e64 vcc_lo, v[12:13], 0x260
	v_mul_f64_e32 v[22:23], v[12:13], v[16:17]
	v_mul_f64_e32 v[16:17], 0.5, v[16:17]
	s_delay_alu instid0(VALU_DEP_1) | instskip(NEXT) | instid1(VALU_DEP_1)
	v_fma_f64 v[24:25], -v[16:17], v[22:23], 0.5
	v_fmac_f64_e32 v[22:23], v[22:23], v[24:25]
	v_fmac_f64_e32 v[16:17], v[16:17], v[24:25]
	s_delay_alu instid0(VALU_DEP_2) | instskip(NEXT) | instid1(VALU_DEP_1)
	v_fma_f64 v[24:25], -v[22:23], v[22:23], v[12:13]
	v_fmac_f64_e32 v[22:23], v[24:25], v[16:17]
	s_delay_alu instid0(VALU_DEP_1) | instskip(NEXT) | instid1(VALU_DEP_1)
	v_fma_f64 v[24:25], -v[22:23], v[22:23], v[12:13]
	v_fmac_f64_e32 v[22:23], v[24:25], v[16:17]
	v_mul_f64_e32 v[16:17], -0.5, v[20:21]
	s_delay_alu instid0(VALU_DEP_2) | instskip(NEXT) | instid1(VALU_DEP_2)
	v_ldexp_f64 v[20:21], v[22:23], v3
	v_mul_f64_e32 v[16:17], v[18:19], v[16:17]
	s_delay_alu instid0(VALU_DEP_2) | instskip(NEXT) | instid1(VALU_DEP_1)
	v_dual_cndmask_b32 v13, v21, v13 :: v_dual_cndmask_b32 v12, v20, v12
	v_div_scale_f64 v[18:19], null, v[12:13], v[12:13], v[16:17]
	s_delay_alu instid0(VALU_DEP_1) | instskip(SKIP_1) | instid1(TRANS32_DEP_1)
	v_rcp_f64_e32 v[20:21], v[18:19]
	v_nop
	v_fma_f64 v[22:23], -v[18:19], v[20:21], 1.0
	s_delay_alu instid0(VALU_DEP_1) | instskip(NEXT) | instid1(VALU_DEP_1)
	v_fmac_f64_e32 v[20:21], v[20:21], v[22:23]
	v_fma_f64 v[22:23], -v[18:19], v[20:21], 1.0
	s_delay_alu instid0(VALU_DEP_1) | instskip(SKIP_1) | instid1(VALU_DEP_1)
	v_fmac_f64_e32 v[20:21], v[20:21], v[22:23]
	v_div_scale_f64 v[22:23], vcc_lo, v[16:17], v[12:13], v[16:17]
	v_mul_f64_e32 v[24:25], v[22:23], v[20:21]
	s_delay_alu instid0(VALU_DEP_1) | instskip(NEXT) | instid1(VALU_DEP_1)
	v_fma_f64 v[18:19], -v[18:19], v[24:25], v[22:23]
	v_div_fmas_f64 v[18:19], v[18:19], v[20:21], v[24:25]
	s_delay_alu instid0(VALU_DEP_1)
	v_div_fixup_f64 v[12:13], v[18:19], v[12:13], v[16:17]
.LBB9_1768:
	s_or_b32 exec_lo, exec_lo, s0
.LBB9_1769:
	s_delay_alu instid0(SALU_CYCLE_1)
	s_or_b32 exec_lo, exec_lo, s6
	v_mov_b32_e32 v3, 0
	global_load_u8 v7, v3, s[2:3] offset:345
	v_add_nc_u64_e32 v[16:17], s[4:5], v[2:3]
	s_wait_loadcnt 0x0
	v_and_b32_e32 v11, 0xffff, v7
	v_readfirstlane_b32 s6, v7
	s_delay_alu instid0(VALU_DEP_2)
	v_cmp_gt_i32_e32 vcc_lo, 11, v11
	s_cbranch_vccnz .LBB9_1892
; %bb.1770:
	s_wait_xcnt 0x0
	s_and_b32 s2, 0xffff, s6
	s_mov_b32 s10, -1
	s_mov_b32 s3, 0
	s_cmp_gt_i32 s2, 25
	s_mov_b32 s7, 0
	s_mov_b32 s0, 0
	s_cbranch_scc0 .LBB9_1803
; %bb.1771:
	s_cmp_gt_i32 s2, 28
	s_cbranch_scc0 .LBB9_1786
; %bb.1772:
	s_cmp_gt_i32 s2, 43
	;; [unrolled: 3-line block ×3, first 2 shown]
	s_cbranch_scc0 .LBB9_1776
; %bb.1774:
	s_mov_b32 s0, -1
	s_mov_b32 s10, 0
	s_cmp_eq_u32 s2, 46
	s_cbranch_scc0 .LBB9_1776
; %bb.1775:
	v_cvt_f32_f64_e32 v2, v[0:1]
	s_mov_b32 s0, 0
	s_mov_b32 s7, -1
	s_delay_alu instid0(VALU_DEP_1) | instskip(SKIP_1) | instid1(VALU_DEP_2)
	v_bfe_u32 v3, v2, 16, 1
	v_cmp_o_f32_e32 vcc_lo, v2, v2
	v_add3_u32 v3, v2, v3, 0x7fff
	s_delay_alu instid0(VALU_DEP_1) | instskip(NEXT) | instid1(VALU_DEP_1)
	v_lshrrev_b32_e32 v3, 16, v3
	v_cndmask_b32_e32 v2, 0x7fc0, v3, vcc_lo
	global_store_b32 v[16:17], v2, off
.LBB9_1776:
	s_and_b32 vcc_lo, exec_lo, s10
	s_cbranch_vccz .LBB9_1781
; %bb.1777:
	s_cmp_eq_u32 s2, 44
	s_mov_b32 s0, -1
	s_cbranch_scc0 .LBB9_1781
; %bb.1778:
	s_wait_xcnt 0x0
	v_cvt_f32_f64_e32 v2, v[0:1]
	v_mov_b32_e32 v3, 0xff
	s_mov_b32 s7, exec_lo
	s_delay_alu instid0(VALU_DEP_2) | instskip(NEXT) | instid1(VALU_DEP_1)
	v_bfe_u32 v7, v2, 23, 8
	v_cmpx_ne_u32_e32 0xff, v7
	s_cbranch_execz .LBB9_1780
; %bb.1779:
	v_and_b32_e32 v3, 0x400000, v2
	v_and_or_b32 v7, 0x3fffff, v2, v7
	v_lshrrev_b32_e32 v2, 23, v2
	s_delay_alu instid0(VALU_DEP_3) | instskip(NEXT) | instid1(VALU_DEP_3)
	v_cmp_ne_u32_e32 vcc_lo, 0, v3
	v_cmp_ne_u32_e64 s0, 0, v7
	s_and_b32 s0, vcc_lo, s0
	s_delay_alu instid0(SALU_CYCLE_1) | instskip(NEXT) | instid1(VALU_DEP_1)
	v_cndmask_b32_e64 v3, 0, 1, s0
	v_add_nc_u32_e32 v3, v2, v3
.LBB9_1780:
	s_or_b32 exec_lo, exec_lo, s7
	s_mov_b32 s0, 0
	s_mov_b32 s7, -1
	global_store_b8 v[16:17], v3, off
.LBB9_1781:
	s_mov_b32 s10, 0
.LBB9_1782:
	s_delay_alu instid0(SALU_CYCLE_1)
	s_and_b32 vcc_lo, exec_lo, s10
	s_cbranch_vccz .LBB9_1785
; %bb.1783:
	s_cmp_eq_u32 s2, 29
	s_mov_b32 s0, -1
	s_cbranch_scc0 .LBB9_1785
; %bb.1784:
	s_wait_xcnt 0x0
	v_trunc_f64_e32 v[2:3], v[0:1]
	s_mov_b32 s0, 0
	s_mov_b32 s7, -1
	s_delay_alu instid0(VALU_DEP_1) | instskip(NEXT) | instid1(VALU_DEP_1)
	v_ldexp_f64 v[18:19], v[2:3], 0xffffffe0
	v_floor_f64_e32 v[18:19], v[18:19]
	s_delay_alu instid0(VALU_DEP_1) | instskip(SKIP_1) | instid1(VALU_DEP_2)
	v_fmamk_f64 v[2:3], v[18:19], 0xc1f00000, v[2:3]
	v_cvt_u32_f64_e32 v19, v[18:19]
	v_cvt_u32_f64_e32 v18, v[2:3]
	global_store_b64 v[16:17], v[18:19], off
.LBB9_1785:
	s_mov_b32 s10, 0
.LBB9_1786:
	s_delay_alu instid0(SALU_CYCLE_1)
	s_and_b32 vcc_lo, exec_lo, s10
	s_cbranch_vccz .LBB9_1802
; %bb.1787:
	s_cmp_lt_i32 s2, 27
	s_mov_b32 s7, -1
	s_cbranch_scc1 .LBB9_1793
; %bb.1788:
	s_wait_xcnt 0x0
	v_cvt_u32_f64_e32 v2, v[0:1]
	s_cmp_gt_i32 s2, 27
	s_cbranch_scc0 .LBB9_1790
; %bb.1789:
	s_mov_b32 s7, 0
	global_store_b32 v[16:17], v2, off
.LBB9_1790:
	s_and_not1_b32 vcc_lo, exec_lo, s7
	s_cbranch_vccnz .LBB9_1792
; %bb.1791:
	global_store_b16 v[16:17], v2, off
.LBB9_1792:
	s_mov_b32 s7, 0
.LBB9_1793:
	s_delay_alu instid0(SALU_CYCLE_1)
	s_and_not1_b32 vcc_lo, exec_lo, s7
	s_cbranch_vccnz .LBB9_1801
; %bb.1794:
	s_wait_xcnt 0x0
	v_cvt_f32_f64_e32 v2, v[0:1]
	v_mov_b32_e32 v7, 0x80
	s_mov_b32 s7, exec_lo
	s_delay_alu instid0(VALU_DEP_2) | instskip(NEXT) | instid1(VALU_DEP_1)
	v_and_b32_e32 v3, 0x7fffffff, v2
	v_cmpx_gt_u32_e32 0x43800000, v3
	s_cbranch_execz .LBB9_1800
; %bb.1795:
	v_cmp_lt_u32_e32 vcc_lo, 0x3bffffff, v3
	s_mov_b32 s10, 0
                                        ; implicit-def: $vgpr3
	s_and_saveexec_b32 s11, vcc_lo
	s_delay_alu instid0(SALU_CYCLE_1)
	s_xor_b32 s11, exec_lo, s11
	s_cbranch_execz .LBB9_2250
; %bb.1796:
	v_bfe_u32 v3, v2, 20, 1
	s_mov_b32 s10, exec_lo
	s_delay_alu instid0(VALU_DEP_1) | instskip(NEXT) | instid1(VALU_DEP_1)
	v_add3_u32 v3, v2, v3, 0x487ffff
	v_lshrrev_b32_e32 v3, 20, v3
	s_and_not1_saveexec_b32 s11, s11
	s_cbranch_execnz .LBB9_2251
.LBB9_1797:
	s_or_b32 exec_lo, exec_lo, s11
	v_mov_b32_e32 v7, 0
	s_and_saveexec_b32 s11, s10
.LBB9_1798:
	v_lshrrev_b32_e32 v2, 24, v2
	s_delay_alu instid0(VALU_DEP_1)
	v_and_or_b32 v7, 0x80, v2, v3
.LBB9_1799:
	s_or_b32 exec_lo, exec_lo, s11
.LBB9_1800:
	s_delay_alu instid0(SALU_CYCLE_1)
	s_or_b32 exec_lo, exec_lo, s7
	global_store_b8 v[16:17], v7, off
.LBB9_1801:
	s_mov_b32 s7, -1
.LBB9_1802:
	s_mov_b32 s10, 0
.LBB9_1803:
	s_delay_alu instid0(SALU_CYCLE_1)
	s_and_b32 vcc_lo, exec_lo, s10
	s_cbranch_vccz .LBB9_1843
; %bb.1804:
	s_cmp_gt_i32 s2, 22
	s_mov_b32 s3, -1
	s_cbranch_scc0 .LBB9_1836
; %bb.1805:
	s_cmp_lt_i32 s2, 24
	s_cbranch_scc1 .LBB9_1825
; %bb.1806:
	s_cmp_gt_i32 s2, 24
	s_cbranch_scc0 .LBB9_1814
; %bb.1807:
	s_wait_xcnt 0x0
	v_cvt_f32_f64_e32 v2, v[0:1]
	v_mov_b32_e32 v7, 0x80
	s_mov_b32 s3, exec_lo
	s_delay_alu instid0(VALU_DEP_2) | instskip(NEXT) | instid1(VALU_DEP_1)
	v_and_b32_e32 v3, 0x7fffffff, v2
	v_cmpx_gt_u32_e32 0x47800000, v3
	s_cbranch_execz .LBB9_1813
; %bb.1808:
	v_cmp_lt_u32_e32 vcc_lo, 0x37ffffff, v3
	s_mov_b32 s7, 0
                                        ; implicit-def: $vgpr3
	s_and_saveexec_b32 s10, vcc_lo
	s_delay_alu instid0(SALU_CYCLE_1)
	s_xor_b32 s10, exec_lo, s10
	s_cbranch_execz .LBB9_2253
; %bb.1809:
	v_bfe_u32 v3, v2, 21, 1
	s_mov_b32 s7, exec_lo
	s_delay_alu instid0(VALU_DEP_1) | instskip(NEXT) | instid1(VALU_DEP_1)
	v_add3_u32 v3, v2, v3, 0x88fffff
	v_lshrrev_b32_e32 v3, 21, v3
	s_and_not1_saveexec_b32 s10, s10
	s_cbranch_execnz .LBB9_2254
.LBB9_1810:
	s_or_b32 exec_lo, exec_lo, s10
	v_mov_b32_e32 v7, 0
	s_and_saveexec_b32 s10, s7
.LBB9_1811:
	v_lshrrev_b32_e32 v2, 24, v2
	s_delay_alu instid0(VALU_DEP_1)
	v_and_or_b32 v7, 0x80, v2, v3
.LBB9_1812:
	s_or_b32 exec_lo, exec_lo, s10
.LBB9_1813:
	s_delay_alu instid0(SALU_CYCLE_1)
	s_or_b32 exec_lo, exec_lo, s3
	s_mov_b32 s3, 0
	global_store_b8 v[16:17], v7, off
.LBB9_1814:
	s_and_b32 vcc_lo, exec_lo, s3
	s_cbranch_vccz .LBB9_1824
; %bb.1815:
	s_wait_xcnt 0x0
	v_cvt_f32_f64_e32 v2, v[0:1]
	s_mov_b32 s3, exec_lo
                                        ; implicit-def: $vgpr3
	s_delay_alu instid0(VALU_DEP_1) | instskip(NEXT) | instid1(VALU_DEP_1)
	v_and_b32_e32 v7, 0x7fffffff, v2
	v_cmpx_gt_u32_e32 0x43f00000, v7
	s_xor_b32 s3, exec_lo, s3
	s_cbranch_execz .LBB9_1821
; %bb.1816:
	s_mov_b32 s7, exec_lo
                                        ; implicit-def: $vgpr3
	v_cmpx_lt_u32_e32 0x3c7fffff, v7
	s_xor_b32 s7, exec_lo, s7
; %bb.1817:
	v_bfe_u32 v3, v2, 20, 1
	s_delay_alu instid0(VALU_DEP_1) | instskip(NEXT) | instid1(VALU_DEP_1)
	v_add3_u32 v3, v2, v3, 0x407ffff
	v_and_b32_e32 v7, 0xff00000, v3
	v_lshrrev_b32_e32 v3, 20, v3
	s_delay_alu instid0(VALU_DEP_2) | instskip(NEXT) | instid1(VALU_DEP_2)
	v_cmp_ne_u32_e32 vcc_lo, 0x7f00000, v7
	v_cndmask_b32_e32 v3, 0x7e, v3, vcc_lo
; %bb.1818:
	s_and_not1_saveexec_b32 s7, s7
; %bb.1819:
	v_add_f32_e64 v3, 0x46800000, |v2|
; %bb.1820:
	s_or_b32 exec_lo, exec_lo, s7
                                        ; implicit-def: $vgpr7
.LBB9_1821:
	s_and_not1_saveexec_b32 s3, s3
; %bb.1822:
	v_mov_b32_e32 v3, 0x7f
	v_cmp_lt_u32_e32 vcc_lo, 0x7f800000, v7
	s_delay_alu instid0(VALU_DEP_2)
	v_cndmask_b32_e32 v3, 0x7e, v3, vcc_lo
; %bb.1823:
	s_or_b32 exec_lo, exec_lo, s3
	v_lshrrev_b32_e32 v2, 24, v2
	s_delay_alu instid0(VALU_DEP_1)
	v_and_or_b32 v2, 0x80, v2, v3
	global_store_b8 v[16:17], v2, off
.LBB9_1824:
	s_mov_b32 s3, 0
.LBB9_1825:
	s_delay_alu instid0(SALU_CYCLE_1)
	s_and_not1_b32 vcc_lo, exec_lo, s3
	s_cbranch_vccnz .LBB9_1835
; %bb.1826:
	s_wait_xcnt 0x0
	v_cvt_f32_f64_e32 v2, v[0:1]
	s_mov_b32 s3, exec_lo
                                        ; implicit-def: $vgpr3
	s_delay_alu instid0(VALU_DEP_1) | instskip(NEXT) | instid1(VALU_DEP_1)
	v_and_b32_e32 v7, 0x7fffffff, v2
	v_cmpx_gt_u32_e32 0x47800000, v7
	s_xor_b32 s3, exec_lo, s3
	s_cbranch_execz .LBB9_1832
; %bb.1827:
	s_mov_b32 s7, exec_lo
                                        ; implicit-def: $vgpr3
	v_cmpx_lt_u32_e32 0x387fffff, v7
	s_xor_b32 s7, exec_lo, s7
; %bb.1828:
	v_bfe_u32 v3, v2, 21, 1
	s_delay_alu instid0(VALU_DEP_1) | instskip(NEXT) | instid1(VALU_DEP_1)
	v_add3_u32 v3, v2, v3, 0x80fffff
	v_lshrrev_b32_e32 v3, 21, v3
; %bb.1829:
	s_and_not1_saveexec_b32 s7, s7
; %bb.1830:
	v_add_f32_e64 v3, 0x43000000, |v2|
; %bb.1831:
	s_or_b32 exec_lo, exec_lo, s7
                                        ; implicit-def: $vgpr7
.LBB9_1832:
	s_and_not1_saveexec_b32 s3, s3
; %bb.1833:
	v_mov_b32_e32 v3, 0x7f
	v_cmp_lt_u32_e32 vcc_lo, 0x7f800000, v7
	s_delay_alu instid0(VALU_DEP_2)
	v_cndmask_b32_e32 v3, 0x7c, v3, vcc_lo
; %bb.1834:
	s_or_b32 exec_lo, exec_lo, s3
	v_lshrrev_b32_e32 v2, 24, v2
	s_delay_alu instid0(VALU_DEP_1)
	v_and_or_b32 v2, 0x80, v2, v3
	global_store_b8 v[16:17], v2, off
.LBB9_1835:
	s_mov_b32 s3, 0
	s_mov_b32 s7, -1
.LBB9_1836:
	s_and_not1_b32 vcc_lo, exec_lo, s3
	s_mov_b32 s3, 0
	s_cbranch_vccnz .LBB9_1843
; %bb.1837:
	s_cmp_gt_i32 s2, 14
	s_mov_b32 s3, -1
	s_cbranch_scc0 .LBB9_1841
; %bb.1838:
	s_cmp_eq_u32 s2, 15
	s_mov_b32 s0, -1
	s_cbranch_scc0 .LBB9_1840
; %bb.1839:
	s_wait_xcnt 0x0
	v_cvt_f32_f64_e32 v2, v[0:1]
	s_mov_b32 s0, 0
	s_mov_b32 s7, -1
	s_delay_alu instid0(VALU_DEP_1) | instskip(SKIP_1) | instid1(VALU_DEP_2)
	v_bfe_u32 v3, v2, 16, 1
	v_cmp_o_f32_e32 vcc_lo, v2, v2
	v_add3_u32 v3, v2, v3, 0x7fff
	s_delay_alu instid0(VALU_DEP_1) | instskip(NEXT) | instid1(VALU_DEP_1)
	v_lshrrev_b32_e32 v3, 16, v3
	v_cndmask_b32_e32 v2, 0x7fc0, v3, vcc_lo
	global_store_b16 v[16:17], v2, off
.LBB9_1840:
	s_mov_b32 s3, 0
.LBB9_1841:
	s_delay_alu instid0(SALU_CYCLE_1)
	s_and_b32 vcc_lo, exec_lo, s3
	s_mov_b32 s3, 0
	s_cbranch_vccz .LBB9_1843
; %bb.1842:
	s_cmp_lg_u32 s2, 11
	s_mov_b32 s3, -1
	s_cselect_b32 s0, -1, 0
.LBB9_1843:
	s_delay_alu instid0(SALU_CYCLE_1)
	s_and_b32 vcc_lo, exec_lo, s0
	s_cbranch_vccnz .LBB9_2252
; %bb.1844:
	s_and_not1_b32 vcc_lo, exec_lo, s3
	s_cbranch_vccnz .LBB9_1846
.LBB9_1845:
	v_cmp_neq_f64_e32 vcc_lo, 0, v[0:1]
	s_mov_b32 s7, -1
	s_wait_xcnt 0x0
	v_cndmask_b32_e64 v2, 0, 1, vcc_lo
	global_store_b8 v[16:17], v2, off
.LBB9_1846:
	s_mov_b32 s0, 0
	s_branch .LBB9_1893
.LBB9_1847:
	s_mov_b32 s0, 0
	s_mov_b32 s3, 0
                                        ; implicit-def: $vgpr0_vgpr1
                                        ; implicit-def: $sgpr6
                                        ; implicit-def: $vgpr12_vgpr13
.LBB9_1848:
	s_and_not1_b32 s2, s8, exec_lo
	s_and_b32 s1, s1, exec_lo
	s_and_b32 s0, s0, exec_lo
	;; [unrolled: 1-line block ×3, first 2 shown]
	s_or_b32 s8, s2, s1
.LBB9_1849:
	s_wait_xcnt 0x0
	s_or_b32 exec_lo, exec_lo, s9
	s_and_saveexec_b32 s1, s8
	s_cbranch_execz .LBB9_1852
; %bb.1850:
	; divergent unreachable
	s_or_b32 exec_lo, exec_lo, s1
	s_and_saveexec_b32 s1, s30
	s_delay_alu instid0(SALU_CYCLE_1)
	s_xor_b32 s1, exec_lo, s1
	s_cbranch_execnz .LBB9_1853
.LBB9_1851:
	s_or_b32 exec_lo, exec_lo, s1
	s_and_saveexec_b32 s1, s0
	s_cbranch_execnz .LBB9_1854
	s_branch .LBB9_1891
.LBB9_1852:
	s_or_b32 exec_lo, exec_lo, s1
	s_and_saveexec_b32 s1, s30
	s_delay_alu instid0(SALU_CYCLE_1)
	s_xor_b32 s1, exec_lo, s1
	s_cbranch_execz .LBB9_1851
.LBB9_1853:
	v_cmp_neq_f64_e32 vcc_lo, 0, v[12:13]
	v_cndmask_b32_e64 v2, 0, 1, vcc_lo
	global_store_b8 v[0:1], v2, off
	s_wait_xcnt 0x0
	s_or_b32 exec_lo, exec_lo, s1
	s_and_saveexec_b32 s1, s0
	s_cbranch_execz .LBB9_1891
.LBB9_1854:
	s_sext_i32_i16 s1, s6
	s_mov_b32 s0, -1
	s_cmp_lt_i32 s1, 5
	s_cbranch_scc1 .LBB9_1875
; %bb.1855:
	s_cmp_lt_i32 s1, 8
	s_cbranch_scc1 .LBB9_1865
; %bb.1856:
	;; [unrolled: 3-line block ×3, first 2 shown]
	s_cmp_gt_i32 s1, 9
	s_cbranch_scc0 .LBB9_1859
; %bb.1858:
	v_mov_b32_e32 v14, 0
	s_mov_b32 s0, 0
	s_delay_alu instid0(VALU_DEP_1)
	v_mov_b32_e32 v15, v14
	global_store_b128 v[0:1], v[12:15], off
.LBB9_1859:
	s_and_not1_b32 vcc_lo, exec_lo, s0
	s_cbranch_vccnz .LBB9_1861
; %bb.1860:
	v_cvt_f32_f64_e32 v2, v[12:13]
	v_mov_b32_e32 v3, 0
	global_store_b64 v[0:1], v[2:3], off
.LBB9_1861:
	s_mov_b32 s0, 0
.LBB9_1862:
	s_delay_alu instid0(SALU_CYCLE_1)
	s_and_not1_b32 vcc_lo, exec_lo, s0
	s_cbranch_vccnz .LBB9_1864
; %bb.1863:
	s_wait_xcnt 0x0
	v_and_or_b32 v2, 0x1ff, v13, v12
	v_lshrrev_b32_e32 v3, 8, v13
	s_wait_loadcnt 0x0
	v_bfe_u32 v4, v13, 20, 11
	s_delay_alu instid0(VALU_DEP_3) | instskip(NEXT) | instid1(VALU_DEP_2)
	v_cmp_ne_u32_e32 vcc_lo, 0, v2
	v_sub_nc_u32_e32 v5, 0x3f1, v4
	v_add_nc_u32_e32 v4, 0xfffffc10, v4
	v_cndmask_b32_e64 v2, 0, 1, vcc_lo
	s_delay_alu instid0(VALU_DEP_1) | instskip(NEXT) | instid1(VALU_DEP_4)
	v_and_or_b32 v2, 0xffe, v3, v2
	v_med3_i32 v3, v5, 0, 13
	s_delay_alu instid0(VALU_DEP_2) | instskip(NEXT) | instid1(VALU_DEP_1)
	v_or_b32_e32 v5, 0x1000, v2
	v_lshrrev_b32_e32 v6, v3, v5
	s_delay_alu instid0(VALU_DEP_1) | instskip(NEXT) | instid1(VALU_DEP_1)
	v_lshlrev_b32_e32 v3, v3, v6
	v_cmp_ne_u32_e32 vcc_lo, v3, v5
	v_lshl_or_b32 v5, v4, 12, v2
	v_cndmask_b32_e64 v3, 0, 1, vcc_lo
	v_cmp_gt_i32_e32 vcc_lo, 1, v4
	s_delay_alu instid0(VALU_DEP_2) | instskip(NEXT) | instid1(VALU_DEP_1)
	v_or_b32_e32 v3, v6, v3
	v_cndmask_b32_e32 v3, v5, v3, vcc_lo
	s_delay_alu instid0(VALU_DEP_1) | instskip(NEXT) | instid1(VALU_DEP_1)
	v_dual_lshrrev_b32 v3, 2, v3 :: v_dual_bitop2_b32 v5, 7, v3 bitop3:0x40
	v_cmp_lt_i32_e32 vcc_lo, 5, v5
	v_cndmask_b32_e64 v6, 0, 1, vcc_lo
	v_cmp_eq_u32_e32 vcc_lo, 3, v5
	v_cndmask_b32_e64 v5, 0, 1, vcc_lo
	v_cmp_ne_u32_e32 vcc_lo, 0, v2
	s_delay_alu instid0(VALU_DEP_2) | instskip(NEXT) | instid1(VALU_DEP_1)
	v_or_b32_e32 v5, v5, v6
	v_dual_mov_b32 v6, 0x7e00 :: v_dual_add_nc_u32 v3, v3, v5
	s_delay_alu instid0(VALU_DEP_1) | instskip(SKIP_2) | instid1(VALU_DEP_4)
	v_cndmask_b32_e32 v2, 0x7c00, v6, vcc_lo
	v_cmp_gt_i32_e32 vcc_lo, 31, v4
	v_lshrrev_b32_e32 v5, 16, v13
	v_cndmask_b32_e32 v3, 0x7c00, v3, vcc_lo
	v_cmp_eq_u32_e32 vcc_lo, 0x40f, v4
	s_delay_alu instid0(VALU_DEP_2) | instskip(NEXT) | instid1(VALU_DEP_4)
	v_cndmask_b32_e32 v2, v3, v2, vcc_lo
	v_and_b32_e32 v3, 0x8000, v5
	s_delay_alu instid0(VALU_DEP_1)
	v_bitop3_b32 v2, v3, 0xffff, v2 bitop3:0xc8
	global_store_b32 v[0:1], v2, off
.LBB9_1864:
	s_mov_b32 s0, 0
.LBB9_1865:
	s_delay_alu instid0(SALU_CYCLE_1)
	s_and_not1_b32 vcc_lo, exec_lo, s0
	s_cbranch_vccnz .LBB9_1874
; %bb.1866:
	s_sext_i32_i16 s1, s6
	s_mov_b32 s0, -1
	s_cmp_lt_i32 s1, 6
	s_cbranch_scc1 .LBB9_1872
; %bb.1867:
	s_cmp_gt_i32 s1, 6
	s_cbranch_scc0 .LBB9_1869
; %bb.1868:
	s_mov_b32 s0, 0
	global_store_b64 v[0:1], v[12:13], off
.LBB9_1869:
	s_and_not1_b32 vcc_lo, exec_lo, s0
	s_cbranch_vccnz .LBB9_1871
; %bb.1870:
	s_wait_xcnt 0x0
	v_cvt_f32_f64_e32 v2, v[12:13]
	global_store_b32 v[0:1], v2, off
.LBB9_1871:
	s_mov_b32 s0, 0
.LBB9_1872:
	s_delay_alu instid0(SALU_CYCLE_1)
	s_and_not1_b32 vcc_lo, exec_lo, s0
	s_cbranch_vccnz .LBB9_1874
; %bb.1873:
	s_wait_xcnt 0x0
	v_and_or_b32 v2, 0x1ff, v13, v12
	v_lshrrev_b32_e32 v3, 8, v13
	s_wait_loadcnt 0x0
	v_bfe_u32 v4, v13, 20, 11
	s_delay_alu instid0(VALU_DEP_3) | instskip(NEXT) | instid1(VALU_DEP_2)
	v_cmp_ne_u32_e32 vcc_lo, 0, v2
	v_sub_nc_u32_e32 v5, 0x3f1, v4
	v_add_nc_u32_e32 v4, 0xfffffc10, v4
	v_cndmask_b32_e64 v2, 0, 1, vcc_lo
	s_delay_alu instid0(VALU_DEP_1) | instskip(NEXT) | instid1(VALU_DEP_4)
	v_and_or_b32 v2, 0xffe, v3, v2
	v_med3_i32 v3, v5, 0, 13
	s_delay_alu instid0(VALU_DEP_2) | instskip(NEXT) | instid1(VALU_DEP_1)
	v_or_b32_e32 v5, 0x1000, v2
	v_lshrrev_b32_e32 v6, v3, v5
	s_delay_alu instid0(VALU_DEP_1) | instskip(NEXT) | instid1(VALU_DEP_1)
	v_lshlrev_b32_e32 v3, v3, v6
	v_cmp_ne_u32_e32 vcc_lo, v3, v5
	v_lshl_or_b32 v5, v4, 12, v2
	v_cndmask_b32_e64 v3, 0, 1, vcc_lo
	v_cmp_gt_i32_e32 vcc_lo, 1, v4
	s_delay_alu instid0(VALU_DEP_2) | instskip(NEXT) | instid1(VALU_DEP_1)
	v_or_b32_e32 v3, v6, v3
	v_cndmask_b32_e32 v3, v5, v3, vcc_lo
	s_delay_alu instid0(VALU_DEP_1) | instskip(NEXT) | instid1(VALU_DEP_1)
	v_dual_lshrrev_b32 v3, 2, v3 :: v_dual_bitop2_b32 v5, 7, v3 bitop3:0x40
	v_cmp_lt_i32_e32 vcc_lo, 5, v5
	v_cndmask_b32_e64 v6, 0, 1, vcc_lo
	v_cmp_eq_u32_e32 vcc_lo, 3, v5
	v_cndmask_b32_e64 v5, 0, 1, vcc_lo
	v_cmp_ne_u32_e32 vcc_lo, 0, v2
	s_delay_alu instid0(VALU_DEP_2) | instskip(NEXT) | instid1(VALU_DEP_1)
	v_or_b32_e32 v5, v5, v6
	v_dual_mov_b32 v6, 0x7e00 :: v_dual_add_nc_u32 v3, v3, v5
	s_delay_alu instid0(VALU_DEP_1) | instskip(SKIP_1) | instid1(VALU_DEP_3)
	v_cndmask_b32_e32 v2, 0x7c00, v6, vcc_lo
	v_cmp_gt_i32_e32 vcc_lo, 31, v4
	v_cndmask_b32_e32 v3, 0x7c00, v3, vcc_lo
	v_cmp_eq_u32_e32 vcc_lo, 0x40f, v4
	s_delay_alu instid0(VALU_DEP_2) | instskip(NEXT) | instid1(VALU_DEP_1)
	v_dual_cndmask_b32 v2, v3, v2 :: v_dual_lshrrev_b32 v3, 16, v13
	v_and_or_b32 v2, 0x8000, v3, v2
	global_store_b16 v[0:1], v2, off
.LBB9_1874:
	s_mov_b32 s0, 0
.LBB9_1875:
	s_delay_alu instid0(SALU_CYCLE_1)
	s_and_not1_b32 vcc_lo, exec_lo, s0
	s_cbranch_vccnz .LBB9_1891
; %bb.1876:
	s_sext_i32_i16 s1, s6
	s_mov_b32 s0, -1
	s_cmp_lt_i32 s1, 2
	s_cbranch_scc1 .LBB9_1886
; %bb.1877:
	s_cmp_lt_i32 s1, 3
	s_cbranch_scc1 .LBB9_1883
; %bb.1878:
	s_cmp_gt_i32 s1, 3
	s_cbranch_scc0 .LBB9_1880
; %bb.1879:
	s_wait_xcnt 0x0
	v_trunc_f64_e32 v[2:3], v[12:13]
	s_mov_b32 s0, 0
	s_wait_loadcnt 0x0
	s_delay_alu instid0(VALU_DEP_1) | instskip(NEXT) | instid1(VALU_DEP_1)
	v_ldexp_f64 v[4:5], v[2:3], 0xffffffe0
	v_floor_f64_e32 v[4:5], v[4:5]
	s_delay_alu instid0(VALU_DEP_1) | instskip(SKIP_1) | instid1(VALU_DEP_2)
	v_fmamk_f64 v[2:3], v[4:5], 0xc1f00000, v[2:3]
	v_cvt_i32_f64_e32 v5, v[4:5]
	v_cvt_u32_f64_e32 v4, v[2:3]
	global_store_b64 v[0:1], v[4:5], off
.LBB9_1880:
	s_and_not1_b32 vcc_lo, exec_lo, s0
	s_cbranch_vccnz .LBB9_1882
; %bb.1881:
	s_wait_xcnt 0x0
	v_cvt_i32_f64_e32 v2, v[12:13]
	global_store_b32 v[0:1], v2, off
.LBB9_1882:
	s_mov_b32 s0, 0
.LBB9_1883:
	s_delay_alu instid0(SALU_CYCLE_1)
	s_and_not1_b32 vcc_lo, exec_lo, s0
	s_cbranch_vccnz .LBB9_1885
; %bb.1884:
	s_wait_xcnt 0x0
	v_cvt_i32_f64_e32 v2, v[12:13]
	global_store_b16 v[0:1], v2, off
.LBB9_1885:
	s_mov_b32 s0, 0
.LBB9_1886:
	s_delay_alu instid0(SALU_CYCLE_1)
	s_and_not1_b32 vcc_lo, exec_lo, s0
	s_cbranch_vccnz .LBB9_1891
; %bb.1887:
	s_sext_i32_i16 s0, s6
	s_delay_alu instid0(SALU_CYCLE_1)
	s_cmp_gt_i32 s0, 0
	s_mov_b32 s0, -1
	s_cbranch_scc0 .LBB9_1889
; %bb.1888:
	s_wait_xcnt 0x0
	v_cvt_i32_f64_e32 v2, v[12:13]
	s_mov_b32 s0, 0
	global_store_b8 v[0:1], v2, off
.LBB9_1889:
	s_and_not1_b32 vcc_lo, exec_lo, s0
	s_cbranch_vccnz .LBB9_1891
; %bb.1890:
	s_wait_xcnt 0x0
	v_trunc_f64_e32 v[2:3], v[12:13]
	s_wait_loadcnt 0x0
	s_delay_alu instid0(VALU_DEP_1) | instskip(NEXT) | instid1(VALU_DEP_1)
	v_ldexp_f64 v[4:5], v[2:3], 0xffffffe0
	v_floor_f64_e32 v[4:5], v[4:5]
	s_delay_alu instid0(VALU_DEP_1) | instskip(NEXT) | instid1(VALU_DEP_1)
	v_fmamk_f64 v[2:3], v[4:5], 0xc1f00000, v[2:3]
	v_cvt_u32_f64_e32 v2, v[2:3]
	global_store_b8 v[0:1], v2, off
	s_endpgm
.LBB9_1891:
	s_endpgm
.LBB9_1892:
	s_mov_b32 s0, -1
	s_mov_b32 s7, 0
.LBB9_1893:
	s_and_b32 vcc_lo, exec_lo, s0
	s_cbranch_vccz .LBB9_1932
; %bb.1894:
	s_and_b32 s0, 0xffff, s6
	s_wait_xcnt 0x0
	s_mov_b32 s2, -1
	s_cmp_lt_i32 s0, 5
	s_cbranch_scc1 .LBB9_1915
; %bb.1895:
	s_cmp_lt_i32 s0, 8
	s_cbranch_scc1 .LBB9_1905
; %bb.1896:
	;; [unrolled: 3-line block ×3, first 2 shown]
	s_cmp_gt_i32 s0, 9
	s_cbranch_scc0 .LBB9_1899
; %bb.1898:
	v_mov_b32_e32 v2, 0
	s_mov_b32 s2, 0
	s_delay_alu instid0(VALU_DEP_1)
	v_mov_b32_e32 v3, v2
	global_store_b128 v[16:17], v[0:3], off
.LBB9_1899:
	s_and_not1_b32 vcc_lo, exec_lo, s2
	s_cbranch_vccnz .LBB9_1901
; %bb.1900:
	s_wait_xcnt 0x0
	v_cvt_f32_f64_e32 v2, v[0:1]
	v_mov_b32_e32 v3, 0
	global_store_b64 v[16:17], v[2:3], off
.LBB9_1901:
	s_mov_b32 s2, 0
.LBB9_1902:
	s_delay_alu instid0(SALU_CYCLE_1)
	s_and_not1_b32 vcc_lo, exec_lo, s2
	s_cbranch_vccnz .LBB9_1904
; %bb.1903:
	s_wait_xcnt 0x0
	v_and_or_b32 v2, 0x1ff, v1, v0
	v_lshrrev_b32_e32 v3, 8, v1
	v_bfe_u32 v7, v1, 20, 11
	s_delay_alu instid0(VALU_DEP_3) | instskip(NEXT) | instid1(VALU_DEP_2)
	v_cmp_ne_u32_e32 vcc_lo, 0, v2
	v_sub_nc_u32_e32 v11, 0x3f1, v7
	v_add_nc_u32_e32 v7, 0xfffffc10, v7
	v_cndmask_b32_e64 v2, 0, 1, vcc_lo
	s_delay_alu instid0(VALU_DEP_1) | instskip(NEXT) | instid1(VALU_DEP_4)
	v_and_or_b32 v2, 0xffe, v3, v2
	v_med3_i32 v3, v11, 0, 13
	s_delay_alu instid0(VALU_DEP_2) | instskip(NEXT) | instid1(VALU_DEP_1)
	v_or_b32_e32 v11, 0x1000, v2
	v_lshrrev_b32_e32 v15, v3, v11
	s_delay_alu instid0(VALU_DEP_1) | instskip(NEXT) | instid1(VALU_DEP_1)
	v_lshlrev_b32_e32 v3, v3, v15
	v_cmp_ne_u32_e32 vcc_lo, v3, v11
	v_lshl_or_b32 v11, v7, 12, v2
	v_cndmask_b32_e64 v3, 0, 1, vcc_lo
	v_cmp_gt_i32_e32 vcc_lo, 1, v7
	s_delay_alu instid0(VALU_DEP_2) | instskip(NEXT) | instid1(VALU_DEP_1)
	v_or_b32_e32 v3, v15, v3
	v_cndmask_b32_e32 v3, v11, v3, vcc_lo
	s_delay_alu instid0(VALU_DEP_1) | instskip(NEXT) | instid1(VALU_DEP_1)
	v_dual_lshrrev_b32 v3, 2, v3 :: v_dual_bitop2_b32 v11, 7, v3 bitop3:0x40
	v_cmp_lt_i32_e32 vcc_lo, 5, v11
	v_cndmask_b32_e64 v15, 0, 1, vcc_lo
	v_cmp_eq_u32_e32 vcc_lo, 3, v11
	v_cndmask_b32_e64 v11, 0, 1, vcc_lo
	v_cmp_ne_u32_e32 vcc_lo, 0, v2
	s_delay_alu instid0(VALU_DEP_2) | instskip(SKIP_1) | instid1(VALU_DEP_2)
	v_or_b32_e32 v11, v11, v15
	v_mov_b32_e32 v15, 0x7e00
	v_add_nc_u32_e32 v3, v3, v11
	s_delay_alu instid0(VALU_DEP_2) | instskip(SKIP_2) | instid1(VALU_DEP_4)
	v_cndmask_b32_e32 v2, 0x7c00, v15, vcc_lo
	v_cmp_gt_i32_e32 vcc_lo, 31, v7
	v_lshrrev_b32_e32 v11, 16, v1
	v_cndmask_b32_e32 v3, 0x7c00, v3, vcc_lo
	v_cmp_eq_u32_e32 vcc_lo, 0x40f, v7
	s_delay_alu instid0(VALU_DEP_2) | instskip(NEXT) | instid1(VALU_DEP_4)
	v_cndmask_b32_e32 v2, v3, v2, vcc_lo
	v_and_b32_e32 v3, 0x8000, v11
	s_delay_alu instid0(VALU_DEP_1)
	v_bitop3_b32 v2, v3, 0xffff, v2 bitop3:0xc8
	global_store_b32 v[16:17], v2, off
.LBB9_1904:
	s_mov_b32 s2, 0
.LBB9_1905:
	s_delay_alu instid0(SALU_CYCLE_1)
	s_and_not1_b32 vcc_lo, exec_lo, s2
	s_cbranch_vccnz .LBB9_1914
; %bb.1906:
	s_cmp_lt_i32 s0, 6
	s_mov_b32 s2, -1
	s_cbranch_scc1 .LBB9_1912
; %bb.1907:
	s_cmp_gt_i32 s0, 6
	s_cbranch_scc0 .LBB9_1909
; %bb.1908:
	s_mov_b32 s2, 0
	global_store_b64 v[16:17], v[0:1], off
.LBB9_1909:
	s_and_not1_b32 vcc_lo, exec_lo, s2
	s_cbranch_vccnz .LBB9_1911
; %bb.1910:
	s_wait_xcnt 0x0
	v_cvt_f32_f64_e32 v2, v[0:1]
	global_store_b32 v[16:17], v2, off
.LBB9_1911:
	s_mov_b32 s2, 0
.LBB9_1912:
	s_delay_alu instid0(SALU_CYCLE_1)
	s_and_not1_b32 vcc_lo, exec_lo, s2
	s_cbranch_vccnz .LBB9_1914
; %bb.1913:
	s_wait_xcnt 0x0
	v_and_or_b32 v2, 0x1ff, v1, v0
	v_lshrrev_b32_e32 v3, 8, v1
	v_bfe_u32 v7, v1, 20, 11
	s_delay_alu instid0(VALU_DEP_3) | instskip(NEXT) | instid1(VALU_DEP_2)
	v_cmp_ne_u32_e32 vcc_lo, 0, v2
	v_sub_nc_u32_e32 v11, 0x3f1, v7
	v_add_nc_u32_e32 v7, 0xfffffc10, v7
	v_cndmask_b32_e64 v2, 0, 1, vcc_lo
	s_delay_alu instid0(VALU_DEP_1) | instskip(NEXT) | instid1(VALU_DEP_4)
	v_and_or_b32 v2, 0xffe, v3, v2
	v_med3_i32 v3, v11, 0, 13
	s_delay_alu instid0(VALU_DEP_2) | instskip(NEXT) | instid1(VALU_DEP_1)
	v_or_b32_e32 v11, 0x1000, v2
	v_lshrrev_b32_e32 v15, v3, v11
	s_delay_alu instid0(VALU_DEP_1) | instskip(NEXT) | instid1(VALU_DEP_1)
	v_lshlrev_b32_e32 v3, v3, v15
	v_cmp_ne_u32_e32 vcc_lo, v3, v11
	v_lshl_or_b32 v11, v7, 12, v2
	v_cndmask_b32_e64 v3, 0, 1, vcc_lo
	v_cmp_gt_i32_e32 vcc_lo, 1, v7
	s_delay_alu instid0(VALU_DEP_2) | instskip(NEXT) | instid1(VALU_DEP_1)
	v_or_b32_e32 v3, v15, v3
	v_cndmask_b32_e32 v3, v11, v3, vcc_lo
	s_delay_alu instid0(VALU_DEP_1) | instskip(NEXT) | instid1(VALU_DEP_1)
	v_dual_lshrrev_b32 v3, 2, v3 :: v_dual_bitop2_b32 v11, 7, v3 bitop3:0x40
	v_cmp_lt_i32_e32 vcc_lo, 5, v11
	v_cndmask_b32_e64 v15, 0, 1, vcc_lo
	v_cmp_eq_u32_e32 vcc_lo, 3, v11
	v_cndmask_b32_e64 v11, 0, 1, vcc_lo
	v_cmp_ne_u32_e32 vcc_lo, 0, v2
	s_delay_alu instid0(VALU_DEP_2) | instskip(SKIP_1) | instid1(VALU_DEP_2)
	v_or_b32_e32 v11, v11, v15
	v_mov_b32_e32 v15, 0x7e00
	v_add_nc_u32_e32 v3, v3, v11
	s_delay_alu instid0(VALU_DEP_2) | instskip(SKIP_1) | instid1(VALU_DEP_3)
	v_cndmask_b32_e32 v2, 0x7c00, v15, vcc_lo
	v_cmp_gt_i32_e32 vcc_lo, 31, v7
	v_cndmask_b32_e32 v3, 0x7c00, v3, vcc_lo
	v_cmp_eq_u32_e32 vcc_lo, 0x40f, v7
	s_delay_alu instid0(VALU_DEP_2) | instskip(NEXT) | instid1(VALU_DEP_1)
	v_dual_cndmask_b32 v2, v3, v2 :: v_dual_lshrrev_b32 v3, 16, v1
	v_and_or_b32 v2, 0x8000, v3, v2
	global_store_b16 v[16:17], v2, off
.LBB9_1914:
	s_mov_b32 s2, 0
.LBB9_1915:
	s_delay_alu instid0(SALU_CYCLE_1)
	s_and_not1_b32 vcc_lo, exec_lo, s2
	s_cbranch_vccnz .LBB9_1931
; %bb.1916:
	s_cmp_lt_i32 s0, 2
	s_mov_b32 s2, -1
	s_cbranch_scc1 .LBB9_1926
; %bb.1917:
	s_cmp_lt_i32 s0, 3
	s_cbranch_scc1 .LBB9_1923
; %bb.1918:
	s_cmp_gt_i32 s0, 3
	s_cbranch_scc0 .LBB9_1920
; %bb.1919:
	s_wait_xcnt 0x0
	v_trunc_f64_e32 v[2:3], v[0:1]
	s_mov_b32 s2, 0
	s_delay_alu instid0(VALU_DEP_1) | instskip(NEXT) | instid1(VALU_DEP_1)
	v_ldexp_f64 v[18:19], v[2:3], 0xffffffe0
	v_floor_f64_e32 v[18:19], v[18:19]
	s_delay_alu instid0(VALU_DEP_1) | instskip(SKIP_1) | instid1(VALU_DEP_2)
	v_fmamk_f64 v[2:3], v[18:19], 0xc1f00000, v[2:3]
	v_cvt_i32_f64_e32 v19, v[18:19]
	v_cvt_u32_f64_e32 v18, v[2:3]
	global_store_b64 v[16:17], v[18:19], off
.LBB9_1920:
	s_and_not1_b32 vcc_lo, exec_lo, s2
	s_cbranch_vccnz .LBB9_1922
; %bb.1921:
	s_wait_xcnt 0x0
	v_cvt_i32_f64_e32 v2, v[0:1]
	global_store_b32 v[16:17], v2, off
.LBB9_1922:
	s_mov_b32 s2, 0
.LBB9_1923:
	s_delay_alu instid0(SALU_CYCLE_1)
	s_and_not1_b32 vcc_lo, exec_lo, s2
	s_cbranch_vccnz .LBB9_1925
; %bb.1924:
	s_wait_xcnt 0x0
	v_cvt_i32_f64_e32 v2, v[0:1]
	global_store_b16 v[16:17], v2, off
.LBB9_1925:
	s_mov_b32 s2, 0
.LBB9_1926:
	s_delay_alu instid0(SALU_CYCLE_1)
	s_and_not1_b32 vcc_lo, exec_lo, s2
	s_cbranch_vccnz .LBB9_1931
; %bb.1927:
	s_cmp_gt_i32 s0, 0
	s_mov_b32 s0, -1
	s_cbranch_scc0 .LBB9_1929
; %bb.1928:
	s_wait_xcnt 0x0
	v_cvt_i32_f64_e32 v2, v[0:1]
	s_mov_b32 s0, 0
	global_store_b8 v[16:17], v2, off
.LBB9_1929:
	s_and_not1_b32 vcc_lo, exec_lo, s0
	s_cbranch_vccnz .LBB9_1931
; %bb.1930:
	s_wait_xcnt 0x0
	v_trunc_f64_e32 v[0:1], v[0:1]
	s_delay_alu instid0(VALU_DEP_1) | instskip(NEXT) | instid1(VALU_DEP_1)
	v_ldexp_f64 v[2:3], v[0:1], 0xffffffe0
	v_floor_f64_e32 v[2:3], v[2:3]
	s_delay_alu instid0(VALU_DEP_1) | instskip(NEXT) | instid1(VALU_DEP_1)
	v_fmamk_f64 v[0:1], v[2:3], 0xc1f00000, v[0:1]
	v_cvt_u32_f64_e32 v0, v[0:1]
	global_store_b8 v[16:17], v0, off
.LBB9_1931:
	s_mov_b32 s7, -1
.LBB9_1932:
	s_delay_alu instid0(SALU_CYCLE_1)
	s_and_not1_b32 vcc_lo, exec_lo, s7
	s_cbranch_vccnz .LBB9_2247
; %bb.1933:
	s_wait_xcnt 0x0
	v_mov_b32_e32 v7, 0
	s_and_b32 s2, 0xffff, s6
	s_delay_alu instid0(SALU_CYCLE_1) | instskip(NEXT) | instid1(VALU_DEP_1)
	s_cmp_lt_i32 s2, 11
	v_add_nc_u64_e32 v[0:1], s[4:5], v[6:7]
	s_cbranch_scc1 .LBB9_2011
; %bb.1934:
	s_mov_b32 s10, -1
	s_mov_b32 s3, 0
	s_cmp_gt_i32 s2, 25
	s_mov_b32 s7, 0
	s_mov_b32 s0, 0
	s_cbranch_scc0 .LBB9_1967
; %bb.1935:
	s_cmp_gt_i32 s2, 28
	s_cbranch_scc0 .LBB9_1950
; %bb.1936:
	s_cmp_gt_i32 s2, 43
	;; [unrolled: 3-line block ×3, first 2 shown]
	s_cbranch_scc0 .LBB9_1940
; %bb.1938:
	s_mov_b32 s0, -1
	s_mov_b32 s10, 0
	s_cmp_eq_u32 s2, 46
	s_cbranch_scc0 .LBB9_1940
; %bb.1939:
	v_cvt_f32_f64_e32 v2, v[4:5]
	s_mov_b32 s0, 0
	s_mov_b32 s7, -1
	s_delay_alu instid0(VALU_DEP_1) | instskip(SKIP_1) | instid1(VALU_DEP_2)
	v_bfe_u32 v3, v2, 16, 1
	v_cmp_o_f32_e32 vcc_lo, v2, v2
	v_add3_u32 v3, v2, v3, 0x7fff
	s_delay_alu instid0(VALU_DEP_1) | instskip(NEXT) | instid1(VALU_DEP_1)
	v_lshrrev_b32_e32 v3, 16, v3
	v_cndmask_b32_e32 v2, 0x7fc0, v3, vcc_lo
	global_store_b32 v[0:1], v2, off
.LBB9_1940:
	s_and_b32 vcc_lo, exec_lo, s10
	s_cbranch_vccz .LBB9_1945
; %bb.1941:
	s_cmp_eq_u32 s2, 44
	s_mov_b32 s0, -1
	s_cbranch_scc0 .LBB9_1945
; %bb.1942:
	s_wait_xcnt 0x0
	v_cvt_f32_f64_e32 v2, v[4:5]
	v_mov_b32_e32 v3, 0xff
	s_mov_b32 s7, exec_lo
	s_delay_alu instid0(VALU_DEP_2) | instskip(NEXT) | instid1(VALU_DEP_1)
	v_bfe_u32 v6, v2, 23, 8
	v_cmpx_ne_u32_e32 0xff, v6
	s_cbranch_execz .LBB9_1944
; %bb.1943:
	v_and_b32_e32 v3, 0x400000, v2
	v_and_or_b32 v6, 0x3fffff, v2, v6
	v_lshrrev_b32_e32 v2, 23, v2
	s_delay_alu instid0(VALU_DEP_3) | instskip(NEXT) | instid1(VALU_DEP_3)
	v_cmp_ne_u32_e32 vcc_lo, 0, v3
	v_cmp_ne_u32_e64 s0, 0, v6
	s_and_b32 s0, vcc_lo, s0
	s_delay_alu instid0(SALU_CYCLE_1) | instskip(NEXT) | instid1(VALU_DEP_1)
	v_cndmask_b32_e64 v3, 0, 1, s0
	v_add_nc_u32_e32 v3, v2, v3
.LBB9_1944:
	s_or_b32 exec_lo, exec_lo, s7
	s_mov_b32 s0, 0
	s_mov_b32 s7, -1
	global_store_b8 v[0:1], v3, off
.LBB9_1945:
	s_mov_b32 s10, 0
.LBB9_1946:
	s_delay_alu instid0(SALU_CYCLE_1)
	s_and_b32 vcc_lo, exec_lo, s10
	s_cbranch_vccz .LBB9_1949
; %bb.1947:
	s_cmp_eq_u32 s2, 29
	s_mov_b32 s0, -1
	s_cbranch_scc0 .LBB9_1949
; %bb.1948:
	s_wait_xcnt 0x0
	v_trunc_f64_e32 v[2:3], v[4:5]
	s_mov_b32 s0, 0
	s_mov_b32 s7, -1
	s_delay_alu instid0(VALU_DEP_1) | instskip(NEXT) | instid1(VALU_DEP_1)
	v_ldexp_f64 v[6:7], v[2:3], 0xffffffe0
	v_floor_f64_e32 v[6:7], v[6:7]
	s_delay_alu instid0(VALU_DEP_1) | instskip(SKIP_1) | instid1(VALU_DEP_2)
	v_fmamk_f64 v[2:3], v[6:7], 0xc1f00000, v[2:3]
	v_cvt_u32_f64_e32 v7, v[6:7]
	v_cvt_u32_f64_e32 v6, v[2:3]
	global_store_b64 v[0:1], v[6:7], off
.LBB9_1949:
	s_mov_b32 s10, 0
.LBB9_1950:
	s_delay_alu instid0(SALU_CYCLE_1)
	s_and_b32 vcc_lo, exec_lo, s10
	s_cbranch_vccz .LBB9_1966
; %bb.1951:
	s_cmp_lt_i32 s2, 27
	s_mov_b32 s7, -1
	s_cbranch_scc1 .LBB9_1957
; %bb.1952:
	s_cmp_gt_i32 s2, 27
	s_cbranch_scc0 .LBB9_1954
; %bb.1953:
	s_wait_xcnt 0x0
	v_cvt_u32_f64_e32 v2, v[4:5]
	s_mov_b32 s7, 0
	global_store_b32 v[0:1], v2, off
.LBB9_1954:
	s_and_not1_b32 vcc_lo, exec_lo, s7
	s_cbranch_vccnz .LBB9_1956
; %bb.1955:
	s_wait_xcnt 0x0
	v_cvt_u32_f64_e32 v2, v[4:5]
	global_store_b16 v[0:1], v2, off
.LBB9_1956:
	s_mov_b32 s7, 0
.LBB9_1957:
	s_delay_alu instid0(SALU_CYCLE_1)
	s_and_not1_b32 vcc_lo, exec_lo, s7
	s_cbranch_vccnz .LBB9_1965
; %bb.1958:
	s_wait_xcnt 0x0
	v_cvt_f32_f64_e32 v2, v[4:5]
	v_mov_b32_e32 v6, 0x80
	s_mov_b32 s7, exec_lo
	s_delay_alu instid0(VALU_DEP_2) | instskip(NEXT) | instid1(VALU_DEP_1)
	v_and_b32_e32 v3, 0x7fffffff, v2
	v_cmpx_gt_u32_e32 0x43800000, v3
	s_cbranch_execz .LBB9_1964
; %bb.1959:
	v_cmp_lt_u32_e32 vcc_lo, 0x3bffffff, v3
	s_mov_b32 s10, 0
                                        ; implicit-def: $vgpr3
	s_and_saveexec_b32 s11, vcc_lo
	s_delay_alu instid0(SALU_CYCLE_1)
	s_xor_b32 s11, exec_lo, s11
	s_cbranch_execz .LBB9_2255
; %bb.1960:
	v_bfe_u32 v3, v2, 20, 1
	s_mov_b32 s10, exec_lo
	s_delay_alu instid0(VALU_DEP_1) | instskip(NEXT) | instid1(VALU_DEP_1)
	v_add3_u32 v3, v2, v3, 0x487ffff
	v_lshrrev_b32_e32 v3, 20, v3
	s_and_not1_saveexec_b32 s11, s11
	s_cbranch_execnz .LBB9_2256
.LBB9_1961:
	s_or_b32 exec_lo, exec_lo, s11
	v_mov_b32_e32 v6, 0
	s_and_saveexec_b32 s11, s10
.LBB9_1962:
	v_lshrrev_b32_e32 v2, 24, v2
	s_delay_alu instid0(VALU_DEP_1)
	v_and_or_b32 v6, 0x80, v2, v3
.LBB9_1963:
	s_or_b32 exec_lo, exec_lo, s11
.LBB9_1964:
	s_delay_alu instid0(SALU_CYCLE_1)
	s_or_b32 exec_lo, exec_lo, s7
	global_store_b8 v[0:1], v6, off
.LBB9_1965:
	s_mov_b32 s7, -1
.LBB9_1966:
	s_mov_b32 s10, 0
.LBB9_1967:
	s_delay_alu instid0(SALU_CYCLE_1)
	s_and_b32 vcc_lo, exec_lo, s10
	s_cbranch_vccz .LBB9_2007
; %bb.1968:
	s_cmp_gt_i32 s2, 22
	s_mov_b32 s3, -1
	s_cbranch_scc0 .LBB9_2000
; %bb.1969:
	s_cmp_lt_i32 s2, 24
	s_cbranch_scc1 .LBB9_1989
; %bb.1970:
	s_cmp_gt_i32 s2, 24
	s_cbranch_scc0 .LBB9_1978
; %bb.1971:
	s_wait_xcnt 0x0
	v_cvt_f32_f64_e32 v2, v[4:5]
	v_mov_b32_e32 v6, 0x80
	s_mov_b32 s3, exec_lo
	s_delay_alu instid0(VALU_DEP_2) | instskip(NEXT) | instid1(VALU_DEP_1)
	v_and_b32_e32 v3, 0x7fffffff, v2
	v_cmpx_gt_u32_e32 0x47800000, v3
	s_cbranch_execz .LBB9_1977
; %bb.1972:
	v_cmp_lt_u32_e32 vcc_lo, 0x37ffffff, v3
	s_mov_b32 s7, 0
                                        ; implicit-def: $vgpr3
	s_and_saveexec_b32 s10, vcc_lo
	s_delay_alu instid0(SALU_CYCLE_1)
	s_xor_b32 s10, exec_lo, s10
	s_cbranch_execz .LBB9_2258
; %bb.1973:
	v_bfe_u32 v3, v2, 21, 1
	s_mov_b32 s7, exec_lo
	s_delay_alu instid0(VALU_DEP_1) | instskip(NEXT) | instid1(VALU_DEP_1)
	v_add3_u32 v3, v2, v3, 0x88fffff
	v_lshrrev_b32_e32 v3, 21, v3
	s_and_not1_saveexec_b32 s10, s10
	s_cbranch_execnz .LBB9_2259
.LBB9_1974:
	s_or_b32 exec_lo, exec_lo, s10
	v_mov_b32_e32 v6, 0
	s_and_saveexec_b32 s10, s7
.LBB9_1975:
	v_lshrrev_b32_e32 v2, 24, v2
	s_delay_alu instid0(VALU_DEP_1)
	v_and_or_b32 v6, 0x80, v2, v3
.LBB9_1976:
	s_or_b32 exec_lo, exec_lo, s10
.LBB9_1977:
	s_delay_alu instid0(SALU_CYCLE_1)
	s_or_b32 exec_lo, exec_lo, s3
	s_mov_b32 s3, 0
	global_store_b8 v[0:1], v6, off
.LBB9_1978:
	s_and_b32 vcc_lo, exec_lo, s3
	s_cbranch_vccz .LBB9_1988
; %bb.1979:
	s_wait_xcnt 0x0
	v_cvt_f32_f64_e32 v2, v[4:5]
	s_mov_b32 s3, exec_lo
                                        ; implicit-def: $vgpr3
	s_delay_alu instid0(VALU_DEP_1) | instskip(NEXT) | instid1(VALU_DEP_1)
	v_and_b32_e32 v6, 0x7fffffff, v2
	v_cmpx_gt_u32_e32 0x43f00000, v6
	s_xor_b32 s3, exec_lo, s3
	s_cbranch_execz .LBB9_1985
; %bb.1980:
	s_mov_b32 s7, exec_lo
                                        ; implicit-def: $vgpr3
	v_cmpx_lt_u32_e32 0x3c7fffff, v6
	s_xor_b32 s7, exec_lo, s7
; %bb.1981:
	v_bfe_u32 v3, v2, 20, 1
	s_delay_alu instid0(VALU_DEP_1) | instskip(NEXT) | instid1(VALU_DEP_1)
	v_add3_u32 v3, v2, v3, 0x407ffff
	v_and_b32_e32 v6, 0xff00000, v3
	v_lshrrev_b32_e32 v3, 20, v3
	s_delay_alu instid0(VALU_DEP_2) | instskip(NEXT) | instid1(VALU_DEP_2)
	v_cmp_ne_u32_e32 vcc_lo, 0x7f00000, v6
	v_cndmask_b32_e32 v3, 0x7e, v3, vcc_lo
; %bb.1982:
	s_and_not1_saveexec_b32 s7, s7
; %bb.1983:
	v_add_f32_e64 v3, 0x46800000, |v2|
; %bb.1984:
	s_or_b32 exec_lo, exec_lo, s7
                                        ; implicit-def: $vgpr6
.LBB9_1985:
	s_and_not1_saveexec_b32 s3, s3
; %bb.1986:
	v_mov_b32_e32 v3, 0x7f
	v_cmp_lt_u32_e32 vcc_lo, 0x7f800000, v6
	s_delay_alu instid0(VALU_DEP_2)
	v_cndmask_b32_e32 v3, 0x7e, v3, vcc_lo
; %bb.1987:
	s_or_b32 exec_lo, exec_lo, s3
	v_lshrrev_b32_e32 v2, 24, v2
	s_delay_alu instid0(VALU_DEP_1)
	v_and_or_b32 v2, 0x80, v2, v3
	global_store_b8 v[0:1], v2, off
.LBB9_1988:
	s_mov_b32 s3, 0
.LBB9_1989:
	s_delay_alu instid0(SALU_CYCLE_1)
	s_and_not1_b32 vcc_lo, exec_lo, s3
	s_cbranch_vccnz .LBB9_1999
; %bb.1990:
	s_wait_xcnt 0x0
	v_cvt_f32_f64_e32 v2, v[4:5]
	s_mov_b32 s3, exec_lo
                                        ; implicit-def: $vgpr3
	s_delay_alu instid0(VALU_DEP_1) | instskip(NEXT) | instid1(VALU_DEP_1)
	v_and_b32_e32 v6, 0x7fffffff, v2
	v_cmpx_gt_u32_e32 0x47800000, v6
	s_xor_b32 s3, exec_lo, s3
	s_cbranch_execz .LBB9_1996
; %bb.1991:
	s_mov_b32 s7, exec_lo
                                        ; implicit-def: $vgpr3
	v_cmpx_lt_u32_e32 0x387fffff, v6
	s_xor_b32 s7, exec_lo, s7
; %bb.1992:
	v_bfe_u32 v3, v2, 21, 1
	s_delay_alu instid0(VALU_DEP_1) | instskip(NEXT) | instid1(VALU_DEP_1)
	v_add3_u32 v3, v2, v3, 0x80fffff
	v_lshrrev_b32_e32 v3, 21, v3
; %bb.1993:
	s_and_not1_saveexec_b32 s7, s7
; %bb.1994:
	v_add_f32_e64 v3, 0x43000000, |v2|
; %bb.1995:
	s_or_b32 exec_lo, exec_lo, s7
                                        ; implicit-def: $vgpr6
.LBB9_1996:
	s_and_not1_saveexec_b32 s3, s3
; %bb.1997:
	v_mov_b32_e32 v3, 0x7f
	v_cmp_lt_u32_e32 vcc_lo, 0x7f800000, v6
	s_delay_alu instid0(VALU_DEP_2)
	v_cndmask_b32_e32 v3, 0x7c, v3, vcc_lo
; %bb.1998:
	s_or_b32 exec_lo, exec_lo, s3
	v_lshrrev_b32_e32 v2, 24, v2
	s_delay_alu instid0(VALU_DEP_1)
	v_and_or_b32 v2, 0x80, v2, v3
	global_store_b8 v[0:1], v2, off
.LBB9_1999:
	s_mov_b32 s3, 0
	s_mov_b32 s7, -1
.LBB9_2000:
	s_and_not1_b32 vcc_lo, exec_lo, s3
	s_mov_b32 s3, 0
	s_cbranch_vccnz .LBB9_2007
; %bb.2001:
	s_cmp_gt_i32 s2, 14
	s_mov_b32 s3, -1
	s_cbranch_scc0 .LBB9_2005
; %bb.2002:
	s_cmp_eq_u32 s2, 15
	s_mov_b32 s0, -1
	s_cbranch_scc0 .LBB9_2004
; %bb.2003:
	s_wait_xcnt 0x0
	v_cvt_f32_f64_e32 v2, v[4:5]
	s_mov_b32 s0, 0
	s_mov_b32 s7, -1
	s_delay_alu instid0(VALU_DEP_1) | instskip(SKIP_1) | instid1(VALU_DEP_2)
	v_bfe_u32 v3, v2, 16, 1
	v_cmp_o_f32_e32 vcc_lo, v2, v2
	v_add3_u32 v3, v2, v3, 0x7fff
	s_delay_alu instid0(VALU_DEP_1) | instskip(NEXT) | instid1(VALU_DEP_1)
	v_lshrrev_b32_e32 v3, 16, v3
	v_cndmask_b32_e32 v2, 0x7fc0, v3, vcc_lo
	global_store_b16 v[0:1], v2, off
.LBB9_2004:
	s_mov_b32 s3, 0
.LBB9_2005:
	s_delay_alu instid0(SALU_CYCLE_1)
	s_and_b32 vcc_lo, exec_lo, s3
	s_mov_b32 s3, 0
	s_cbranch_vccz .LBB9_2007
; %bb.2006:
	s_cmp_lg_u32 s2, 11
	s_mov_b32 s3, -1
	s_cselect_b32 s0, -1, 0
.LBB9_2007:
	s_delay_alu instid0(SALU_CYCLE_1)
	s_and_b32 vcc_lo, exec_lo, s0
	s_cbranch_vccnz .LBB9_2257
; %bb.2008:
	s_and_not1_b32 vcc_lo, exec_lo, s3
	s_cbranch_vccnz .LBB9_2010
.LBB9_2009:
	v_cmp_neq_f64_e32 vcc_lo, 0, v[4:5]
	s_mov_b32 s7, -1
	s_wait_xcnt 0x0
	v_cndmask_b32_e64 v2, 0, 1, vcc_lo
	global_store_b8 v[0:1], v2, off
.LBB9_2010:
	s_mov_b32 s0, 0
	s_branch .LBB9_2012
.LBB9_2011:
	s_mov_b32 s0, -1
	s_mov_b32 s7, 0
.LBB9_2012:
	s_and_b32 vcc_lo, exec_lo, s0
	s_cbranch_vccz .LBB9_2051
; %bb.2013:
	s_cmp_lt_i32 s2, 5
	s_mov_b32 s0, -1
	s_cbranch_scc1 .LBB9_2034
; %bb.2014:
	s_cmp_lt_i32 s2, 8
	s_cbranch_scc1 .LBB9_2024
; %bb.2015:
	s_cmp_lt_i32 s2, 9
	s_cbranch_scc1 .LBB9_2021
; %bb.2016:
	s_cmp_gt_i32 s2, 9
	s_cbranch_scc0 .LBB9_2018
; %bb.2017:
	s_wait_xcnt 0x0
	v_mov_b32_e32 v6, 0
	s_mov_b32 s0, 0
	s_delay_alu instid0(VALU_DEP_1)
	v_mov_b32_e32 v7, v6
	global_store_b128 v[0:1], v[4:7], off
.LBB9_2018:
	s_and_not1_b32 vcc_lo, exec_lo, s0
	s_cbranch_vccnz .LBB9_2020
; %bb.2019:
	s_wait_xcnt 0x0
	v_cvt_f32_f64_e32 v2, v[4:5]
	v_mov_b32_e32 v3, 0
	global_store_b64 v[0:1], v[2:3], off
.LBB9_2020:
	s_mov_b32 s0, 0
.LBB9_2021:
	s_delay_alu instid0(SALU_CYCLE_1)
	s_and_not1_b32 vcc_lo, exec_lo, s0
	s_cbranch_vccnz .LBB9_2023
; %bb.2022:
	s_wait_xcnt 0x0
	v_and_or_b32 v2, 0x1ff, v5, v4
	v_lshrrev_b32_e32 v3, 8, v5
	v_bfe_u32 v6, v5, 20, 11
	s_delay_alu instid0(VALU_DEP_3) | instskip(NEXT) | instid1(VALU_DEP_2)
	v_cmp_ne_u32_e32 vcc_lo, 0, v2
	v_sub_nc_u32_e32 v7, 0x3f1, v6
	v_cndmask_b32_e64 v2, 0, 1, vcc_lo
	s_delay_alu instid0(VALU_DEP_1) | instskip(NEXT) | instid1(VALU_DEP_3)
	v_and_or_b32 v2, 0xffe, v3, v2
	v_med3_i32 v3, v7, 0, 13
	s_delay_alu instid0(VALU_DEP_2) | instskip(NEXT) | instid1(VALU_DEP_1)
	v_or_b32_e32 v7, 0x1000, v2
	v_lshrrev_b32_e32 v11, v3, v7
	s_delay_alu instid0(VALU_DEP_1) | instskip(NEXT) | instid1(VALU_DEP_1)
	v_lshlrev_b32_e32 v3, v3, v11
	v_cmp_ne_u32_e32 vcc_lo, v3, v7
	v_cndmask_b32_e64 v3, 0, 1, vcc_lo
	s_delay_alu instid0(VALU_DEP_1) | instskip(SKIP_1) | instid1(VALU_DEP_1)
	v_or_b32_e32 v3, v11, v3
	v_add_nc_u32_e32 v6, 0xfffffc10, v6
	v_lshl_or_b32 v7, v6, 12, v2
	v_cmp_gt_i32_e32 vcc_lo, 1, v6
	s_delay_alu instid0(VALU_DEP_2) | instskip(NEXT) | instid1(VALU_DEP_1)
	v_cndmask_b32_e32 v3, v7, v3, vcc_lo
	v_dual_lshrrev_b32 v3, 2, v3 :: v_dual_bitop2_b32 v7, 7, v3 bitop3:0x40
	s_delay_alu instid0(VALU_DEP_1) | instskip(SKIP_4) | instid1(VALU_DEP_2)
	v_cmp_lt_i32_e32 vcc_lo, 5, v7
	v_cndmask_b32_e64 v11, 0, 1, vcc_lo
	v_cmp_eq_u32_e32 vcc_lo, 3, v7
	v_cndmask_b32_e64 v7, 0, 1, vcc_lo
	v_cmp_ne_u32_e32 vcc_lo, 0, v2
	v_or_b32_e32 v7, v7, v11
	v_mov_b32_e32 v11, 0x7e00
	s_delay_alu instid0(VALU_DEP_2) | instskip(NEXT) | instid1(VALU_DEP_2)
	v_add_nc_u32_e32 v3, v3, v7
	v_cndmask_b32_e32 v2, 0x7c00, v11, vcc_lo
	v_cmp_gt_i32_e32 vcc_lo, 31, v6
	v_lshrrev_b32_e32 v7, 16, v5
	s_delay_alu instid0(VALU_DEP_4) | instskip(SKIP_1) | instid1(VALU_DEP_2)
	v_cndmask_b32_e32 v3, 0x7c00, v3, vcc_lo
	v_cmp_eq_u32_e32 vcc_lo, 0x40f, v6
	v_cndmask_b32_e32 v2, v3, v2, vcc_lo
	s_delay_alu instid0(VALU_DEP_4) | instskip(NEXT) | instid1(VALU_DEP_1)
	v_and_b32_e32 v3, 0x8000, v7
	v_bitop3_b32 v2, v3, 0xffff, v2 bitop3:0xc8
	global_store_b32 v[0:1], v2, off
.LBB9_2023:
	s_mov_b32 s0, 0
.LBB9_2024:
	s_delay_alu instid0(SALU_CYCLE_1)
	s_and_not1_b32 vcc_lo, exec_lo, s0
	s_cbranch_vccnz .LBB9_2033
; %bb.2025:
	s_cmp_lt_i32 s2, 6
	s_mov_b32 s0, -1
	s_cbranch_scc1 .LBB9_2031
; %bb.2026:
	s_cmp_gt_i32 s2, 6
	s_cbranch_scc0 .LBB9_2028
; %bb.2027:
	s_mov_b32 s0, 0
	global_store_b64 v[0:1], v[4:5], off
.LBB9_2028:
	s_and_not1_b32 vcc_lo, exec_lo, s0
	s_cbranch_vccnz .LBB9_2030
; %bb.2029:
	s_wait_xcnt 0x0
	v_cvt_f32_f64_e32 v2, v[4:5]
	global_store_b32 v[0:1], v2, off
.LBB9_2030:
	s_mov_b32 s0, 0
.LBB9_2031:
	s_delay_alu instid0(SALU_CYCLE_1)
	s_and_not1_b32 vcc_lo, exec_lo, s0
	s_cbranch_vccnz .LBB9_2033
; %bb.2032:
	s_wait_xcnt 0x0
	v_and_or_b32 v2, 0x1ff, v5, v4
	v_lshrrev_b32_e32 v3, 8, v5
	v_bfe_u32 v6, v5, 20, 11
	s_delay_alu instid0(VALU_DEP_3) | instskip(NEXT) | instid1(VALU_DEP_2)
	v_cmp_ne_u32_e32 vcc_lo, 0, v2
	v_sub_nc_u32_e32 v7, 0x3f1, v6
	v_cndmask_b32_e64 v2, 0, 1, vcc_lo
	s_delay_alu instid0(VALU_DEP_1) | instskip(NEXT) | instid1(VALU_DEP_3)
	v_and_or_b32 v2, 0xffe, v3, v2
	v_med3_i32 v3, v7, 0, 13
	s_delay_alu instid0(VALU_DEP_2) | instskip(NEXT) | instid1(VALU_DEP_1)
	v_or_b32_e32 v7, 0x1000, v2
	v_lshrrev_b32_e32 v11, v3, v7
	s_delay_alu instid0(VALU_DEP_1) | instskip(NEXT) | instid1(VALU_DEP_1)
	v_lshlrev_b32_e32 v3, v3, v11
	v_cmp_ne_u32_e32 vcc_lo, v3, v7
	v_cndmask_b32_e64 v3, 0, 1, vcc_lo
	s_delay_alu instid0(VALU_DEP_1) | instskip(SKIP_1) | instid1(VALU_DEP_1)
	v_or_b32_e32 v3, v11, v3
	v_add_nc_u32_e32 v6, 0xfffffc10, v6
	v_lshl_or_b32 v7, v6, 12, v2
	v_cmp_gt_i32_e32 vcc_lo, 1, v6
	s_delay_alu instid0(VALU_DEP_2) | instskip(NEXT) | instid1(VALU_DEP_1)
	v_cndmask_b32_e32 v3, v7, v3, vcc_lo
	v_dual_lshrrev_b32 v3, 2, v3 :: v_dual_bitop2_b32 v7, 7, v3 bitop3:0x40
	s_delay_alu instid0(VALU_DEP_1) | instskip(SKIP_4) | instid1(VALU_DEP_2)
	v_cmp_lt_i32_e32 vcc_lo, 5, v7
	v_cndmask_b32_e64 v11, 0, 1, vcc_lo
	v_cmp_eq_u32_e32 vcc_lo, 3, v7
	v_cndmask_b32_e64 v7, 0, 1, vcc_lo
	v_cmp_ne_u32_e32 vcc_lo, 0, v2
	v_or_b32_e32 v7, v7, v11
	v_mov_b32_e32 v11, 0x7e00
	s_delay_alu instid0(VALU_DEP_2) | instskip(NEXT) | instid1(VALU_DEP_2)
	v_add_nc_u32_e32 v3, v3, v7
	v_cndmask_b32_e32 v2, 0x7c00, v11, vcc_lo
	v_cmp_gt_i32_e32 vcc_lo, 31, v6
	s_delay_alu instid0(VALU_DEP_3) | instskip(SKIP_1) | instid1(VALU_DEP_2)
	v_cndmask_b32_e32 v3, 0x7c00, v3, vcc_lo
	v_cmp_eq_u32_e32 vcc_lo, 0x40f, v6
	v_dual_cndmask_b32 v2, v3, v2 :: v_dual_lshrrev_b32 v3, 16, v5
	s_delay_alu instid0(VALU_DEP_1)
	v_and_or_b32 v2, 0x8000, v3, v2
	global_store_b16 v[0:1], v2, off
.LBB9_2033:
	s_mov_b32 s0, 0
.LBB9_2034:
	s_delay_alu instid0(SALU_CYCLE_1)
	s_and_not1_b32 vcc_lo, exec_lo, s0
	s_cbranch_vccnz .LBB9_2050
; %bb.2035:
	s_cmp_lt_i32 s2, 2
	s_mov_b32 s0, -1
	s_cbranch_scc1 .LBB9_2045
; %bb.2036:
	s_cmp_lt_i32 s2, 3
	s_cbranch_scc1 .LBB9_2042
; %bb.2037:
	s_cmp_gt_i32 s2, 3
	s_cbranch_scc0 .LBB9_2039
; %bb.2038:
	s_wait_xcnt 0x0
	v_trunc_f64_e32 v[2:3], v[4:5]
	s_mov_b32 s0, 0
	s_delay_alu instid0(VALU_DEP_1) | instskip(NEXT) | instid1(VALU_DEP_1)
	v_ldexp_f64 v[6:7], v[2:3], 0xffffffe0
	v_floor_f64_e32 v[6:7], v[6:7]
	s_delay_alu instid0(VALU_DEP_1) | instskip(SKIP_1) | instid1(VALU_DEP_2)
	v_fmamk_f64 v[2:3], v[6:7], 0xc1f00000, v[2:3]
	v_cvt_i32_f64_e32 v7, v[6:7]
	v_cvt_u32_f64_e32 v6, v[2:3]
	global_store_b64 v[0:1], v[6:7], off
.LBB9_2039:
	s_and_not1_b32 vcc_lo, exec_lo, s0
	s_cbranch_vccnz .LBB9_2041
; %bb.2040:
	s_wait_xcnt 0x0
	v_cvt_i32_f64_e32 v2, v[4:5]
	global_store_b32 v[0:1], v2, off
.LBB9_2041:
	s_mov_b32 s0, 0
.LBB9_2042:
	s_delay_alu instid0(SALU_CYCLE_1)
	s_and_not1_b32 vcc_lo, exec_lo, s0
	s_cbranch_vccnz .LBB9_2044
; %bb.2043:
	s_wait_xcnt 0x0
	v_cvt_i32_f64_e32 v2, v[4:5]
	global_store_b16 v[0:1], v2, off
.LBB9_2044:
	s_mov_b32 s0, 0
.LBB9_2045:
	s_delay_alu instid0(SALU_CYCLE_1)
	s_and_not1_b32 vcc_lo, exec_lo, s0
	s_cbranch_vccnz .LBB9_2050
; %bb.2046:
	s_cmp_gt_i32 s2, 0
	s_mov_b32 s0, -1
	s_cbranch_scc0 .LBB9_2048
; %bb.2047:
	s_wait_xcnt 0x0
	v_cvt_i32_f64_e32 v2, v[4:5]
	s_mov_b32 s0, 0
	global_store_b8 v[0:1], v2, off
.LBB9_2048:
	s_and_not1_b32 vcc_lo, exec_lo, s0
	s_cbranch_vccnz .LBB9_2050
; %bb.2049:
	s_wait_xcnt 0x0
	v_trunc_f64_e32 v[2:3], v[4:5]
	s_delay_alu instid0(VALU_DEP_1) | instskip(NEXT) | instid1(VALU_DEP_1)
	v_ldexp_f64 v[4:5], v[2:3], 0xffffffe0
	v_floor_f64_e32 v[4:5], v[4:5]
	s_delay_alu instid0(VALU_DEP_1) | instskip(NEXT) | instid1(VALU_DEP_1)
	v_fmamk_f64 v[2:3], v[4:5], 0xc1f00000, v[2:3]
	v_cvt_u32_f64_e32 v2, v[2:3]
	global_store_b8 v[0:1], v2, off
.LBB9_2050:
	s_mov_b32 s7, -1
.LBB9_2051:
	s_delay_alu instid0(SALU_CYCLE_1)
	s_and_not1_b32 vcc_lo, exec_lo, s7
	s_cbranch_vccnz .LBB9_2247
; %bb.2052:
	v_mov_b32_e32 v11, 0
	s_cmp_lt_i32 s2, 11
	s_wait_xcnt 0x0
	s_delay_alu instid0(VALU_DEP_1)
	v_add_nc_u64_e32 v[0:1], s[4:5], v[10:11]
	s_cbranch_scc1 .LBB9_2130
; %bb.2053:
	s_mov_b32 s10, -1
	s_mov_b32 s3, 0
	s_cmp_gt_i32 s2, 25
	s_mov_b32 s7, 0
	s_mov_b32 s0, 0
	s_cbranch_scc0 .LBB9_2086
; %bb.2054:
	s_cmp_gt_i32 s2, 28
	s_cbranch_scc0 .LBB9_2069
; %bb.2055:
	s_cmp_gt_i32 s2, 43
	;; [unrolled: 3-line block ×3, first 2 shown]
	s_cbranch_scc0 .LBB9_2059
; %bb.2057:
	s_mov_b32 s0, -1
	s_mov_b32 s10, 0
	s_cmp_eq_u32 s2, 46
	s_cbranch_scc0 .LBB9_2059
; %bb.2058:
	v_cvt_f32_f64_e32 v2, v[8:9]
	s_mov_b32 s0, 0
	s_mov_b32 s7, -1
	s_delay_alu instid0(VALU_DEP_1) | instskip(SKIP_1) | instid1(VALU_DEP_2)
	v_bfe_u32 v3, v2, 16, 1
	v_cmp_o_f32_e32 vcc_lo, v2, v2
	v_add3_u32 v3, v2, v3, 0x7fff
	s_delay_alu instid0(VALU_DEP_1) | instskip(NEXT) | instid1(VALU_DEP_1)
	v_lshrrev_b32_e32 v3, 16, v3
	v_cndmask_b32_e32 v2, 0x7fc0, v3, vcc_lo
	global_store_b32 v[0:1], v2, off
.LBB9_2059:
	s_and_b32 vcc_lo, exec_lo, s10
	s_cbranch_vccz .LBB9_2064
; %bb.2060:
	s_cmp_eq_u32 s2, 44
	s_mov_b32 s0, -1
	s_cbranch_scc0 .LBB9_2064
; %bb.2061:
	s_wait_xcnt 0x0
	v_cvt_f32_f64_e32 v2, v[8:9]
	v_mov_b32_e32 v3, 0xff
	s_mov_b32 s7, exec_lo
	s_delay_alu instid0(VALU_DEP_2) | instskip(NEXT) | instid1(VALU_DEP_1)
	v_bfe_u32 v4, v2, 23, 8
	v_cmpx_ne_u32_e32 0xff, v4
	s_cbranch_execz .LBB9_2063
; %bb.2062:
	v_and_b32_e32 v3, 0x400000, v2
	v_and_or_b32 v4, 0x3fffff, v2, v4
	v_lshrrev_b32_e32 v2, 23, v2
	s_delay_alu instid0(VALU_DEP_3) | instskip(NEXT) | instid1(VALU_DEP_3)
	v_cmp_ne_u32_e32 vcc_lo, 0, v3
	v_cmp_ne_u32_e64 s0, 0, v4
	s_and_b32 s0, vcc_lo, s0
	s_delay_alu instid0(SALU_CYCLE_1) | instskip(NEXT) | instid1(VALU_DEP_1)
	v_cndmask_b32_e64 v3, 0, 1, s0
	v_add_nc_u32_e32 v3, v2, v3
.LBB9_2063:
	s_or_b32 exec_lo, exec_lo, s7
	s_mov_b32 s0, 0
	s_mov_b32 s7, -1
	global_store_b8 v[0:1], v3, off
.LBB9_2064:
	s_mov_b32 s10, 0
.LBB9_2065:
	s_delay_alu instid0(SALU_CYCLE_1)
	s_and_b32 vcc_lo, exec_lo, s10
	s_cbranch_vccz .LBB9_2068
; %bb.2066:
	s_cmp_eq_u32 s2, 29
	s_mov_b32 s0, -1
	s_cbranch_scc0 .LBB9_2068
; %bb.2067:
	s_wait_xcnt 0x0
	v_trunc_f64_e32 v[2:3], v[8:9]
	s_mov_b32 s0, 0
	s_mov_b32 s7, -1
	s_delay_alu instid0(VALU_DEP_1) | instskip(NEXT) | instid1(VALU_DEP_1)
	v_ldexp_f64 v[4:5], v[2:3], 0xffffffe0
	v_floor_f64_e32 v[4:5], v[4:5]
	s_delay_alu instid0(VALU_DEP_1) | instskip(SKIP_1) | instid1(VALU_DEP_2)
	v_fmamk_f64 v[2:3], v[4:5], 0xc1f00000, v[2:3]
	v_cvt_u32_f64_e32 v5, v[4:5]
	v_cvt_u32_f64_e32 v4, v[2:3]
	global_store_b64 v[0:1], v[4:5], off
.LBB9_2068:
	s_mov_b32 s10, 0
.LBB9_2069:
	s_delay_alu instid0(SALU_CYCLE_1)
	s_and_b32 vcc_lo, exec_lo, s10
	s_cbranch_vccz .LBB9_2085
; %bb.2070:
	s_cmp_lt_i32 s2, 27
	s_mov_b32 s7, -1
	s_cbranch_scc1 .LBB9_2076
; %bb.2071:
	s_wait_xcnt 0x0
	v_cvt_u32_f64_e32 v2, v[8:9]
	s_cmp_gt_i32 s2, 27
	s_cbranch_scc0 .LBB9_2073
; %bb.2072:
	s_mov_b32 s7, 0
	global_store_b32 v[0:1], v2, off
.LBB9_2073:
	s_and_not1_b32 vcc_lo, exec_lo, s7
	s_cbranch_vccnz .LBB9_2075
; %bb.2074:
	global_store_b16 v[0:1], v2, off
.LBB9_2075:
	s_mov_b32 s7, 0
.LBB9_2076:
	s_delay_alu instid0(SALU_CYCLE_1)
	s_and_not1_b32 vcc_lo, exec_lo, s7
	s_cbranch_vccnz .LBB9_2084
; %bb.2077:
	s_wait_xcnt 0x0
	v_cvt_f32_f64_e32 v2, v[8:9]
	v_mov_b32_e32 v4, 0x80
	s_mov_b32 s7, exec_lo
	s_delay_alu instid0(VALU_DEP_2) | instskip(NEXT) | instid1(VALU_DEP_1)
	v_and_b32_e32 v3, 0x7fffffff, v2
	v_cmpx_gt_u32_e32 0x43800000, v3
	s_cbranch_execz .LBB9_2083
; %bb.2078:
	v_cmp_lt_u32_e32 vcc_lo, 0x3bffffff, v3
	s_mov_b32 s10, 0
                                        ; implicit-def: $vgpr3
	s_and_saveexec_b32 s11, vcc_lo
	s_delay_alu instid0(SALU_CYCLE_1)
	s_xor_b32 s11, exec_lo, s11
	s_cbranch_execz .LBB9_2260
; %bb.2079:
	v_bfe_u32 v3, v2, 20, 1
	s_mov_b32 s10, exec_lo
	s_delay_alu instid0(VALU_DEP_1) | instskip(NEXT) | instid1(VALU_DEP_1)
	v_add3_u32 v3, v2, v3, 0x487ffff
	v_lshrrev_b32_e32 v3, 20, v3
	s_and_not1_saveexec_b32 s11, s11
	s_cbranch_execnz .LBB9_2261
.LBB9_2080:
	s_or_b32 exec_lo, exec_lo, s11
	v_mov_b32_e32 v4, 0
	s_and_saveexec_b32 s11, s10
.LBB9_2081:
	v_lshrrev_b32_e32 v2, 24, v2
	s_delay_alu instid0(VALU_DEP_1)
	v_and_or_b32 v4, 0x80, v2, v3
.LBB9_2082:
	s_or_b32 exec_lo, exec_lo, s11
.LBB9_2083:
	s_delay_alu instid0(SALU_CYCLE_1)
	s_or_b32 exec_lo, exec_lo, s7
	global_store_b8 v[0:1], v4, off
.LBB9_2084:
	s_mov_b32 s7, -1
.LBB9_2085:
	s_mov_b32 s10, 0
.LBB9_2086:
	s_delay_alu instid0(SALU_CYCLE_1)
	s_and_b32 vcc_lo, exec_lo, s10
	s_cbranch_vccz .LBB9_2126
; %bb.2087:
	s_cmp_gt_i32 s2, 22
	s_mov_b32 s3, -1
	s_cbranch_scc0 .LBB9_2119
; %bb.2088:
	s_cmp_lt_i32 s2, 24
	s_cbranch_scc1 .LBB9_2108
; %bb.2089:
	s_cmp_gt_i32 s2, 24
	s_cbranch_scc0 .LBB9_2097
; %bb.2090:
	s_wait_xcnt 0x0
	v_cvt_f32_f64_e32 v2, v[8:9]
	v_mov_b32_e32 v4, 0x80
	s_mov_b32 s3, exec_lo
	s_delay_alu instid0(VALU_DEP_2) | instskip(NEXT) | instid1(VALU_DEP_1)
	v_and_b32_e32 v3, 0x7fffffff, v2
	v_cmpx_gt_u32_e32 0x47800000, v3
	s_cbranch_execz .LBB9_2096
; %bb.2091:
	v_cmp_lt_u32_e32 vcc_lo, 0x37ffffff, v3
	s_mov_b32 s7, 0
                                        ; implicit-def: $vgpr3
	s_and_saveexec_b32 s10, vcc_lo
	s_delay_alu instid0(SALU_CYCLE_1)
	s_xor_b32 s10, exec_lo, s10
	s_cbranch_execz .LBB9_2263
; %bb.2092:
	v_bfe_u32 v3, v2, 21, 1
	s_mov_b32 s7, exec_lo
	s_delay_alu instid0(VALU_DEP_1) | instskip(NEXT) | instid1(VALU_DEP_1)
	v_add3_u32 v3, v2, v3, 0x88fffff
	v_lshrrev_b32_e32 v3, 21, v3
	s_and_not1_saveexec_b32 s10, s10
	s_cbranch_execnz .LBB9_2264
.LBB9_2093:
	s_or_b32 exec_lo, exec_lo, s10
	v_mov_b32_e32 v4, 0
	s_and_saveexec_b32 s10, s7
.LBB9_2094:
	v_lshrrev_b32_e32 v2, 24, v2
	s_delay_alu instid0(VALU_DEP_1)
	v_and_or_b32 v4, 0x80, v2, v3
.LBB9_2095:
	s_or_b32 exec_lo, exec_lo, s10
.LBB9_2096:
	s_delay_alu instid0(SALU_CYCLE_1)
	s_or_b32 exec_lo, exec_lo, s3
	s_mov_b32 s3, 0
	global_store_b8 v[0:1], v4, off
.LBB9_2097:
	s_and_b32 vcc_lo, exec_lo, s3
	s_cbranch_vccz .LBB9_2107
; %bb.2098:
	s_wait_xcnt 0x0
	v_cvt_f32_f64_e32 v2, v[8:9]
	s_mov_b32 s3, exec_lo
                                        ; implicit-def: $vgpr3
	s_delay_alu instid0(VALU_DEP_1) | instskip(NEXT) | instid1(VALU_DEP_1)
	v_and_b32_e32 v4, 0x7fffffff, v2
	v_cmpx_gt_u32_e32 0x43f00000, v4
	s_xor_b32 s3, exec_lo, s3
	s_cbranch_execz .LBB9_2104
; %bb.2099:
	s_mov_b32 s7, exec_lo
                                        ; implicit-def: $vgpr3
	v_cmpx_lt_u32_e32 0x3c7fffff, v4
	s_xor_b32 s7, exec_lo, s7
; %bb.2100:
	v_bfe_u32 v3, v2, 20, 1
	s_delay_alu instid0(VALU_DEP_1) | instskip(NEXT) | instid1(VALU_DEP_1)
	v_add3_u32 v3, v2, v3, 0x407ffff
	v_and_b32_e32 v4, 0xff00000, v3
	v_lshrrev_b32_e32 v3, 20, v3
	s_delay_alu instid0(VALU_DEP_2) | instskip(NEXT) | instid1(VALU_DEP_2)
	v_cmp_ne_u32_e32 vcc_lo, 0x7f00000, v4
	v_cndmask_b32_e32 v3, 0x7e, v3, vcc_lo
; %bb.2101:
	s_and_not1_saveexec_b32 s7, s7
; %bb.2102:
	v_add_f32_e64 v3, 0x46800000, |v2|
; %bb.2103:
	s_or_b32 exec_lo, exec_lo, s7
                                        ; implicit-def: $vgpr4
.LBB9_2104:
	s_and_not1_saveexec_b32 s3, s3
; %bb.2105:
	v_mov_b32_e32 v3, 0x7f
	v_cmp_lt_u32_e32 vcc_lo, 0x7f800000, v4
	s_delay_alu instid0(VALU_DEP_2)
	v_cndmask_b32_e32 v3, 0x7e, v3, vcc_lo
; %bb.2106:
	s_or_b32 exec_lo, exec_lo, s3
	v_lshrrev_b32_e32 v2, 24, v2
	s_delay_alu instid0(VALU_DEP_1)
	v_and_or_b32 v2, 0x80, v2, v3
	global_store_b8 v[0:1], v2, off
.LBB9_2107:
	s_mov_b32 s3, 0
.LBB9_2108:
	s_delay_alu instid0(SALU_CYCLE_1)
	s_and_not1_b32 vcc_lo, exec_lo, s3
	s_cbranch_vccnz .LBB9_2118
; %bb.2109:
	s_wait_xcnt 0x0
	v_cvt_f32_f64_e32 v2, v[8:9]
	s_mov_b32 s3, exec_lo
                                        ; implicit-def: $vgpr3
	s_delay_alu instid0(VALU_DEP_1) | instskip(NEXT) | instid1(VALU_DEP_1)
	v_and_b32_e32 v4, 0x7fffffff, v2
	v_cmpx_gt_u32_e32 0x47800000, v4
	s_xor_b32 s3, exec_lo, s3
	s_cbranch_execz .LBB9_2115
; %bb.2110:
	s_mov_b32 s7, exec_lo
                                        ; implicit-def: $vgpr3
	v_cmpx_lt_u32_e32 0x387fffff, v4
	s_xor_b32 s7, exec_lo, s7
; %bb.2111:
	v_bfe_u32 v3, v2, 21, 1
	s_delay_alu instid0(VALU_DEP_1) | instskip(NEXT) | instid1(VALU_DEP_1)
	v_add3_u32 v3, v2, v3, 0x80fffff
	v_lshrrev_b32_e32 v3, 21, v3
; %bb.2112:
	s_and_not1_saveexec_b32 s7, s7
; %bb.2113:
	v_add_f32_e64 v3, 0x43000000, |v2|
; %bb.2114:
	s_or_b32 exec_lo, exec_lo, s7
                                        ; implicit-def: $vgpr4
.LBB9_2115:
	s_and_not1_saveexec_b32 s3, s3
; %bb.2116:
	v_mov_b32_e32 v3, 0x7f
	v_cmp_lt_u32_e32 vcc_lo, 0x7f800000, v4
	s_delay_alu instid0(VALU_DEP_2)
	v_cndmask_b32_e32 v3, 0x7c, v3, vcc_lo
; %bb.2117:
	s_or_b32 exec_lo, exec_lo, s3
	v_lshrrev_b32_e32 v2, 24, v2
	s_delay_alu instid0(VALU_DEP_1)
	v_and_or_b32 v2, 0x80, v2, v3
	global_store_b8 v[0:1], v2, off
.LBB9_2118:
	s_mov_b32 s3, 0
	s_mov_b32 s7, -1
.LBB9_2119:
	s_and_not1_b32 vcc_lo, exec_lo, s3
	s_mov_b32 s3, 0
	s_cbranch_vccnz .LBB9_2126
; %bb.2120:
	s_cmp_gt_i32 s2, 14
	s_mov_b32 s3, -1
	s_cbranch_scc0 .LBB9_2124
; %bb.2121:
	s_cmp_eq_u32 s2, 15
	s_mov_b32 s0, -1
	s_cbranch_scc0 .LBB9_2123
; %bb.2122:
	s_wait_xcnt 0x0
	v_cvt_f32_f64_e32 v2, v[8:9]
	s_mov_b32 s0, 0
	s_mov_b32 s7, -1
	s_delay_alu instid0(VALU_DEP_1) | instskip(SKIP_1) | instid1(VALU_DEP_2)
	v_bfe_u32 v3, v2, 16, 1
	v_cmp_o_f32_e32 vcc_lo, v2, v2
	v_add3_u32 v3, v2, v3, 0x7fff
	s_delay_alu instid0(VALU_DEP_1) | instskip(NEXT) | instid1(VALU_DEP_1)
	v_lshrrev_b32_e32 v3, 16, v3
	v_cndmask_b32_e32 v2, 0x7fc0, v3, vcc_lo
	global_store_b16 v[0:1], v2, off
.LBB9_2123:
	s_mov_b32 s3, 0
.LBB9_2124:
	s_delay_alu instid0(SALU_CYCLE_1)
	s_and_b32 vcc_lo, exec_lo, s3
	s_mov_b32 s3, 0
	s_cbranch_vccz .LBB9_2126
; %bb.2125:
	s_cmp_lg_u32 s2, 11
	s_mov_b32 s3, -1
	s_cselect_b32 s0, -1, 0
.LBB9_2126:
	s_delay_alu instid0(SALU_CYCLE_1)
	s_and_b32 vcc_lo, exec_lo, s0
	s_cbranch_vccnz .LBB9_2262
; %bb.2127:
	s_and_not1_b32 vcc_lo, exec_lo, s3
	s_cbranch_vccnz .LBB9_2129
.LBB9_2128:
	v_cmp_neq_f64_e32 vcc_lo, 0, v[8:9]
	s_mov_b32 s7, -1
	s_wait_xcnt 0x0
	v_cndmask_b32_e64 v2, 0, 1, vcc_lo
	global_store_b8 v[0:1], v2, off
.LBB9_2129:
	s_mov_b32 s0, 0
	s_branch .LBB9_2131
.LBB9_2130:
	s_mov_b32 s0, -1
	s_mov_b32 s7, 0
.LBB9_2131:
	s_and_b32 vcc_lo, exec_lo, s0
	s_cbranch_vccz .LBB9_2170
; %bb.2132:
	s_cmp_lt_i32 s2, 5
	s_mov_b32 s0, -1
	s_cbranch_scc1 .LBB9_2153
; %bb.2133:
	s_cmp_lt_i32 s2, 8
	s_cbranch_scc1 .LBB9_2143
; %bb.2134:
	s_cmp_lt_i32 s2, 9
	s_cbranch_scc1 .LBB9_2140
; %bb.2135:
	s_cmp_gt_i32 s2, 9
	s_cbranch_scc0 .LBB9_2137
; %bb.2136:
	v_mov_b32_e32 v10, 0
	s_mov_b32 s0, 0
	s_delay_alu instid0(VALU_DEP_1)
	v_mov_b32_e32 v11, v10
	global_store_b128 v[0:1], v[8:11], off
.LBB9_2137:
	s_and_not1_b32 vcc_lo, exec_lo, s0
	s_cbranch_vccnz .LBB9_2139
; %bb.2138:
	s_wait_xcnt 0x0
	v_cvt_f32_f64_e32 v2, v[8:9]
	v_mov_b32_e32 v3, 0
	global_store_b64 v[0:1], v[2:3], off
.LBB9_2139:
	s_mov_b32 s0, 0
.LBB9_2140:
	s_delay_alu instid0(SALU_CYCLE_1)
	s_and_not1_b32 vcc_lo, exec_lo, s0
	s_cbranch_vccnz .LBB9_2142
; %bb.2141:
	s_wait_xcnt 0x0
	v_and_or_b32 v2, 0x1ff, v9, v8
	v_lshrrev_b32_e32 v3, 8, v9
	v_bfe_u32 v4, v9, 20, 11
	s_delay_alu instid0(VALU_DEP_3) | instskip(NEXT) | instid1(VALU_DEP_2)
	v_cmp_ne_u32_e32 vcc_lo, 0, v2
	v_sub_nc_u32_e32 v5, 0x3f1, v4
	v_add_nc_u32_e32 v4, 0xfffffc10, v4
	v_cndmask_b32_e64 v2, 0, 1, vcc_lo
	s_delay_alu instid0(VALU_DEP_1) | instskip(NEXT) | instid1(VALU_DEP_4)
	v_and_or_b32 v2, 0xffe, v3, v2
	v_med3_i32 v3, v5, 0, 13
	s_delay_alu instid0(VALU_DEP_2) | instskip(NEXT) | instid1(VALU_DEP_1)
	v_or_b32_e32 v5, 0x1000, v2
	v_lshrrev_b32_e32 v6, v3, v5
	s_delay_alu instid0(VALU_DEP_1) | instskip(NEXT) | instid1(VALU_DEP_1)
	v_lshlrev_b32_e32 v3, v3, v6
	v_cmp_ne_u32_e32 vcc_lo, v3, v5
	v_lshl_or_b32 v5, v4, 12, v2
	v_cndmask_b32_e64 v3, 0, 1, vcc_lo
	v_cmp_gt_i32_e32 vcc_lo, 1, v4
	s_delay_alu instid0(VALU_DEP_2) | instskip(NEXT) | instid1(VALU_DEP_1)
	v_or_b32_e32 v3, v6, v3
	v_cndmask_b32_e32 v3, v5, v3, vcc_lo
	s_delay_alu instid0(VALU_DEP_1) | instskip(NEXT) | instid1(VALU_DEP_1)
	v_dual_lshrrev_b32 v3, 2, v3 :: v_dual_bitop2_b32 v5, 7, v3 bitop3:0x40
	v_cmp_lt_i32_e32 vcc_lo, 5, v5
	v_cndmask_b32_e64 v6, 0, 1, vcc_lo
	v_cmp_eq_u32_e32 vcc_lo, 3, v5
	v_cndmask_b32_e64 v5, 0, 1, vcc_lo
	v_cmp_ne_u32_e32 vcc_lo, 0, v2
	s_delay_alu instid0(VALU_DEP_2) | instskip(NEXT) | instid1(VALU_DEP_1)
	v_or_b32_e32 v5, v5, v6
	v_dual_mov_b32 v6, 0x7e00 :: v_dual_add_nc_u32 v3, v3, v5
	s_delay_alu instid0(VALU_DEP_1) | instskip(SKIP_2) | instid1(VALU_DEP_4)
	v_cndmask_b32_e32 v2, 0x7c00, v6, vcc_lo
	v_cmp_gt_i32_e32 vcc_lo, 31, v4
	v_lshrrev_b32_e32 v5, 16, v9
	v_cndmask_b32_e32 v3, 0x7c00, v3, vcc_lo
	v_cmp_eq_u32_e32 vcc_lo, 0x40f, v4
	s_delay_alu instid0(VALU_DEP_2) | instskip(NEXT) | instid1(VALU_DEP_4)
	v_cndmask_b32_e32 v2, v3, v2, vcc_lo
	v_and_b32_e32 v3, 0x8000, v5
	s_delay_alu instid0(VALU_DEP_1)
	v_bitop3_b32 v2, v3, 0xffff, v2 bitop3:0xc8
	global_store_b32 v[0:1], v2, off
.LBB9_2142:
	s_mov_b32 s0, 0
.LBB9_2143:
	s_delay_alu instid0(SALU_CYCLE_1)
	s_and_not1_b32 vcc_lo, exec_lo, s0
	s_cbranch_vccnz .LBB9_2152
; %bb.2144:
	s_cmp_lt_i32 s2, 6
	s_mov_b32 s0, -1
	s_cbranch_scc1 .LBB9_2150
; %bb.2145:
	s_cmp_gt_i32 s2, 6
	s_cbranch_scc0 .LBB9_2147
; %bb.2146:
	s_mov_b32 s0, 0
	global_store_b64 v[0:1], v[8:9], off
.LBB9_2147:
	s_and_not1_b32 vcc_lo, exec_lo, s0
	s_cbranch_vccnz .LBB9_2149
; %bb.2148:
	s_wait_xcnt 0x0
	v_cvt_f32_f64_e32 v2, v[8:9]
	global_store_b32 v[0:1], v2, off
.LBB9_2149:
	s_mov_b32 s0, 0
.LBB9_2150:
	s_delay_alu instid0(SALU_CYCLE_1)
	s_and_not1_b32 vcc_lo, exec_lo, s0
	s_cbranch_vccnz .LBB9_2152
; %bb.2151:
	s_wait_xcnt 0x0
	v_and_or_b32 v2, 0x1ff, v9, v8
	v_lshrrev_b32_e32 v3, 8, v9
	v_bfe_u32 v4, v9, 20, 11
	s_delay_alu instid0(VALU_DEP_3) | instskip(NEXT) | instid1(VALU_DEP_2)
	v_cmp_ne_u32_e32 vcc_lo, 0, v2
	v_sub_nc_u32_e32 v5, 0x3f1, v4
	v_add_nc_u32_e32 v4, 0xfffffc10, v4
	v_cndmask_b32_e64 v2, 0, 1, vcc_lo
	s_delay_alu instid0(VALU_DEP_1) | instskip(NEXT) | instid1(VALU_DEP_4)
	v_and_or_b32 v2, 0xffe, v3, v2
	v_med3_i32 v3, v5, 0, 13
	s_delay_alu instid0(VALU_DEP_2) | instskip(NEXT) | instid1(VALU_DEP_1)
	v_or_b32_e32 v5, 0x1000, v2
	v_lshrrev_b32_e32 v6, v3, v5
	s_delay_alu instid0(VALU_DEP_1) | instskip(NEXT) | instid1(VALU_DEP_1)
	v_lshlrev_b32_e32 v3, v3, v6
	v_cmp_ne_u32_e32 vcc_lo, v3, v5
	v_lshl_or_b32 v5, v4, 12, v2
	v_cndmask_b32_e64 v3, 0, 1, vcc_lo
	v_cmp_gt_i32_e32 vcc_lo, 1, v4
	s_delay_alu instid0(VALU_DEP_2) | instskip(NEXT) | instid1(VALU_DEP_1)
	v_or_b32_e32 v3, v6, v3
	v_cndmask_b32_e32 v3, v5, v3, vcc_lo
	s_delay_alu instid0(VALU_DEP_1) | instskip(NEXT) | instid1(VALU_DEP_1)
	v_dual_lshrrev_b32 v3, 2, v3 :: v_dual_bitop2_b32 v5, 7, v3 bitop3:0x40
	v_cmp_lt_i32_e32 vcc_lo, 5, v5
	v_cndmask_b32_e64 v6, 0, 1, vcc_lo
	v_cmp_eq_u32_e32 vcc_lo, 3, v5
	v_cndmask_b32_e64 v5, 0, 1, vcc_lo
	v_cmp_ne_u32_e32 vcc_lo, 0, v2
	s_delay_alu instid0(VALU_DEP_2) | instskip(NEXT) | instid1(VALU_DEP_1)
	v_or_b32_e32 v5, v5, v6
	v_dual_mov_b32 v6, 0x7e00 :: v_dual_add_nc_u32 v3, v3, v5
	s_delay_alu instid0(VALU_DEP_1) | instskip(SKIP_1) | instid1(VALU_DEP_3)
	v_cndmask_b32_e32 v2, 0x7c00, v6, vcc_lo
	v_cmp_gt_i32_e32 vcc_lo, 31, v4
	v_cndmask_b32_e32 v3, 0x7c00, v3, vcc_lo
	v_cmp_eq_u32_e32 vcc_lo, 0x40f, v4
	s_delay_alu instid0(VALU_DEP_2) | instskip(NEXT) | instid1(VALU_DEP_1)
	v_dual_cndmask_b32 v2, v3, v2 :: v_dual_lshrrev_b32 v3, 16, v9
	v_and_or_b32 v2, 0x8000, v3, v2
	global_store_b16 v[0:1], v2, off
.LBB9_2152:
	s_mov_b32 s0, 0
.LBB9_2153:
	s_delay_alu instid0(SALU_CYCLE_1)
	s_and_not1_b32 vcc_lo, exec_lo, s0
	s_cbranch_vccnz .LBB9_2169
; %bb.2154:
	s_cmp_lt_i32 s2, 2
	s_mov_b32 s0, -1
	s_cbranch_scc1 .LBB9_2164
; %bb.2155:
	s_cmp_lt_i32 s2, 3
	s_cbranch_scc1 .LBB9_2161
; %bb.2156:
	s_cmp_gt_i32 s2, 3
	s_cbranch_scc0 .LBB9_2158
; %bb.2157:
	s_wait_xcnt 0x0
	v_trunc_f64_e32 v[2:3], v[8:9]
	s_mov_b32 s0, 0
	s_delay_alu instid0(VALU_DEP_1) | instskip(NEXT) | instid1(VALU_DEP_1)
	v_ldexp_f64 v[4:5], v[2:3], 0xffffffe0
	v_floor_f64_e32 v[4:5], v[4:5]
	s_delay_alu instid0(VALU_DEP_1) | instskip(SKIP_1) | instid1(VALU_DEP_2)
	v_fmamk_f64 v[2:3], v[4:5], 0xc1f00000, v[2:3]
	v_cvt_i32_f64_e32 v5, v[4:5]
	v_cvt_u32_f64_e32 v4, v[2:3]
	global_store_b64 v[0:1], v[4:5], off
.LBB9_2158:
	s_and_not1_b32 vcc_lo, exec_lo, s0
	s_cbranch_vccnz .LBB9_2160
; %bb.2159:
	s_wait_xcnt 0x0
	v_cvt_i32_f64_e32 v2, v[8:9]
	global_store_b32 v[0:1], v2, off
.LBB9_2160:
	s_mov_b32 s0, 0
.LBB9_2161:
	s_delay_alu instid0(SALU_CYCLE_1)
	s_and_not1_b32 vcc_lo, exec_lo, s0
	s_cbranch_vccnz .LBB9_2163
; %bb.2162:
	s_wait_xcnt 0x0
	v_cvt_i32_f64_e32 v2, v[8:9]
	global_store_b16 v[0:1], v2, off
.LBB9_2163:
	s_mov_b32 s0, 0
.LBB9_2164:
	s_delay_alu instid0(SALU_CYCLE_1)
	s_and_not1_b32 vcc_lo, exec_lo, s0
	s_cbranch_vccnz .LBB9_2169
; %bb.2165:
	s_cmp_gt_i32 s2, 0
	s_mov_b32 s0, -1
	s_cbranch_scc0 .LBB9_2167
; %bb.2166:
	s_wait_xcnt 0x0
	v_cvt_i32_f64_e32 v2, v[8:9]
	s_mov_b32 s0, 0
	global_store_b8 v[0:1], v2, off
.LBB9_2167:
	s_and_not1_b32 vcc_lo, exec_lo, s0
	s_cbranch_vccnz .LBB9_2169
; %bb.2168:
	s_wait_xcnt 0x0
	v_trunc_f64_e32 v[2:3], v[8:9]
	s_delay_alu instid0(VALU_DEP_1) | instskip(NEXT) | instid1(VALU_DEP_1)
	v_ldexp_f64 v[4:5], v[2:3], 0xffffffe0
	v_floor_f64_e32 v[4:5], v[4:5]
	s_delay_alu instid0(VALU_DEP_1) | instskip(NEXT) | instid1(VALU_DEP_1)
	v_fmamk_f64 v[2:3], v[4:5], 0xc1f00000, v[2:3]
	v_cvt_u32_f64_e32 v2, v[2:3]
	global_store_b8 v[0:1], v2, off
.LBB9_2169:
	s_mov_b32 s7, -1
.LBB9_2170:
	s_delay_alu instid0(SALU_CYCLE_1)
	s_and_not1_b32 vcc_lo, exec_lo, s7
	s_cbranch_vccnz .LBB9_2247
; %bb.2171:
	v_mov_b32_e32 v15, 0
	s_cmp_lt_i32 s2, 11
	s_wait_xcnt 0x0
	s_delay_alu instid0(VALU_DEP_1)
	v_add_nc_u64_e32 v[0:1], s[4:5], v[14:15]
	s_cbranch_scc1 .LBB9_2248
; %bb.2172:
	s_mov_b32 s4, -1
	s_mov_b32 s3, 0
	s_cmp_gt_i32 s2, 25
	s_mov_b32 s0, 0
	s_cbranch_scc0 .LBB9_2205
; %bb.2173:
	s_cmp_gt_i32 s2, 28
	s_cbranch_scc0 .LBB9_2189
; %bb.2174:
	s_cmp_gt_i32 s2, 43
	;; [unrolled: 3-line block ×3, first 2 shown]
	s_cbranch_scc0 .LBB9_2179
; %bb.2176:
	s_cmp_eq_u32 s2, 46
	s_mov_b32 s0, -1
	s_cbranch_scc0 .LBB9_2178
; %bb.2177:
	v_cvt_f32_f64_e32 v2, v[12:13]
	s_mov_b32 s0, 0
	s_delay_alu instid0(VALU_DEP_1) | instskip(SKIP_1) | instid1(VALU_DEP_2)
	v_bfe_u32 v3, v2, 16, 1
	v_cmp_o_f32_e32 vcc_lo, v2, v2
	v_add3_u32 v3, v2, v3, 0x7fff
	s_delay_alu instid0(VALU_DEP_1) | instskip(NEXT) | instid1(VALU_DEP_1)
	v_lshrrev_b32_e32 v3, 16, v3
	v_cndmask_b32_e32 v2, 0x7fc0, v3, vcc_lo
	global_store_b32 v[0:1], v2, off
.LBB9_2178:
	s_mov_b32 s4, 0
.LBB9_2179:
	s_delay_alu instid0(SALU_CYCLE_1)
	s_and_b32 vcc_lo, exec_lo, s4
	s_cbranch_vccz .LBB9_2184
; %bb.2180:
	s_cmp_eq_u32 s2, 44
	s_mov_b32 s0, -1
	s_cbranch_scc0 .LBB9_2184
; %bb.2181:
	s_wait_xcnt 0x0
	v_cvt_f32_f64_e32 v2, v[12:13]
	v_mov_b32_e32 v3, 0xff
	s_mov_b32 s4, exec_lo
	s_delay_alu instid0(VALU_DEP_2) | instskip(NEXT) | instid1(VALU_DEP_1)
	v_bfe_u32 v4, v2, 23, 8
	v_cmpx_ne_u32_e32 0xff, v4
	s_cbranch_execz .LBB9_2183
; %bb.2182:
	v_and_b32_e32 v3, 0x400000, v2
	v_and_or_b32 v4, 0x3fffff, v2, v4
	v_lshrrev_b32_e32 v2, 23, v2
	s_delay_alu instid0(VALU_DEP_3) | instskip(NEXT) | instid1(VALU_DEP_3)
	v_cmp_ne_u32_e32 vcc_lo, 0, v3
	v_cmp_ne_u32_e64 s0, 0, v4
	s_and_b32 s0, vcc_lo, s0
	s_delay_alu instid0(SALU_CYCLE_1) | instskip(NEXT) | instid1(VALU_DEP_1)
	v_cndmask_b32_e64 v3, 0, 1, s0
	v_add_nc_u32_e32 v3, v2, v3
.LBB9_2183:
	s_or_b32 exec_lo, exec_lo, s4
	s_mov_b32 s0, 0
	global_store_b8 v[0:1], v3, off
.LBB9_2184:
	s_mov_b32 s4, 0
.LBB9_2185:
	s_delay_alu instid0(SALU_CYCLE_1)
	s_and_b32 vcc_lo, exec_lo, s4
	s_cbranch_vccz .LBB9_2188
; %bb.2186:
	s_cmp_eq_u32 s2, 29
	s_mov_b32 s0, -1
	s_cbranch_scc0 .LBB9_2188
; %bb.2187:
	s_wait_xcnt 0x0
	v_trunc_f64_e32 v[2:3], v[12:13]
	s_mov_b32 s0, 0
	s_delay_alu instid0(VALU_DEP_1) | instskip(NEXT) | instid1(VALU_DEP_1)
	v_ldexp_f64 v[4:5], v[2:3], 0xffffffe0
	v_floor_f64_e32 v[4:5], v[4:5]
	s_delay_alu instid0(VALU_DEP_1) | instskip(SKIP_1) | instid1(VALU_DEP_2)
	v_fmamk_f64 v[2:3], v[4:5], 0xc1f00000, v[2:3]
	v_cvt_u32_f64_e32 v5, v[4:5]
	v_cvt_u32_f64_e32 v4, v[2:3]
	global_store_b64 v[0:1], v[4:5], off
.LBB9_2188:
	s_mov_b32 s4, 0
.LBB9_2189:
	s_delay_alu instid0(SALU_CYCLE_1)
	s_and_b32 vcc_lo, exec_lo, s4
	s_cbranch_vccz .LBB9_2204
; %bb.2190:
	s_cmp_lt_i32 s2, 27
	s_mov_b32 s4, -1
	s_cbranch_scc1 .LBB9_2196
; %bb.2191:
	s_cmp_gt_i32 s2, 27
	s_cbranch_scc0 .LBB9_2193
; %bb.2192:
	s_wait_xcnt 0x0
	v_cvt_u32_f64_e32 v2, v[12:13]
	s_mov_b32 s4, 0
	global_store_b32 v[0:1], v2, off
.LBB9_2193:
	s_and_not1_b32 vcc_lo, exec_lo, s4
	s_cbranch_vccnz .LBB9_2195
; %bb.2194:
	s_wait_xcnt 0x0
	v_cvt_u32_f64_e32 v2, v[12:13]
	global_store_b16 v[0:1], v2, off
.LBB9_2195:
	s_mov_b32 s4, 0
.LBB9_2196:
	s_delay_alu instid0(SALU_CYCLE_1)
	s_and_not1_b32 vcc_lo, exec_lo, s4
	s_cbranch_vccnz .LBB9_2204
; %bb.2197:
	s_wait_xcnt 0x0
	v_cvt_f32_f64_e32 v2, v[12:13]
	v_mov_b32_e32 v4, 0x80
	s_mov_b32 s4, exec_lo
	s_delay_alu instid0(VALU_DEP_2) | instskip(NEXT) | instid1(VALU_DEP_1)
	v_and_b32_e32 v3, 0x7fffffff, v2
	v_cmpx_gt_u32_e32 0x43800000, v3
	s_cbranch_execz .LBB9_2203
; %bb.2198:
	v_cmp_lt_u32_e32 vcc_lo, 0x3bffffff, v3
	s_mov_b32 s5, 0
                                        ; implicit-def: $vgpr3
	s_and_saveexec_b32 s7, vcc_lo
	s_delay_alu instid0(SALU_CYCLE_1)
	s_xor_b32 s7, exec_lo, s7
	s_cbranch_execz .LBB9_2265
; %bb.2199:
	v_bfe_u32 v3, v2, 20, 1
	s_mov_b32 s5, exec_lo
	s_delay_alu instid0(VALU_DEP_1) | instskip(NEXT) | instid1(VALU_DEP_1)
	v_add3_u32 v3, v2, v3, 0x487ffff
	v_lshrrev_b32_e32 v3, 20, v3
	s_and_not1_saveexec_b32 s7, s7
	s_cbranch_execnz .LBB9_2266
.LBB9_2200:
	s_or_b32 exec_lo, exec_lo, s7
	v_mov_b32_e32 v4, 0
	s_and_saveexec_b32 s7, s5
.LBB9_2201:
	v_lshrrev_b32_e32 v2, 24, v2
	s_delay_alu instid0(VALU_DEP_1)
	v_and_or_b32 v4, 0x80, v2, v3
.LBB9_2202:
	s_or_b32 exec_lo, exec_lo, s7
.LBB9_2203:
	s_delay_alu instid0(SALU_CYCLE_1)
	s_or_b32 exec_lo, exec_lo, s4
	global_store_b8 v[0:1], v4, off
.LBB9_2204:
	s_mov_b32 s4, 0
.LBB9_2205:
	s_delay_alu instid0(SALU_CYCLE_1)
	s_and_b32 vcc_lo, exec_lo, s4
	s_cbranch_vccz .LBB9_2245
; %bb.2206:
	s_cmp_gt_i32 s2, 22
	s_mov_b32 s3, -1
	s_cbranch_scc0 .LBB9_2238
; %bb.2207:
	s_cmp_lt_i32 s2, 24
	s_cbranch_scc1 .LBB9_2227
; %bb.2208:
	s_cmp_gt_i32 s2, 24
	s_cbranch_scc0 .LBB9_2216
; %bb.2209:
	s_wait_xcnt 0x0
	v_cvt_f32_f64_e32 v2, v[12:13]
	v_mov_b32_e32 v4, 0x80
	s_mov_b32 s3, exec_lo
	s_delay_alu instid0(VALU_DEP_2) | instskip(NEXT) | instid1(VALU_DEP_1)
	v_and_b32_e32 v3, 0x7fffffff, v2
	v_cmpx_gt_u32_e32 0x47800000, v3
	s_cbranch_execz .LBB9_2215
; %bb.2210:
	v_cmp_lt_u32_e32 vcc_lo, 0x37ffffff, v3
	s_mov_b32 s4, 0
                                        ; implicit-def: $vgpr3
	s_and_saveexec_b32 s5, vcc_lo
	s_delay_alu instid0(SALU_CYCLE_1)
	s_xor_b32 s5, exec_lo, s5
	s_cbranch_execz .LBB9_2268
; %bb.2211:
	v_bfe_u32 v3, v2, 21, 1
	s_mov_b32 s4, exec_lo
	s_delay_alu instid0(VALU_DEP_1) | instskip(NEXT) | instid1(VALU_DEP_1)
	v_add3_u32 v3, v2, v3, 0x88fffff
	v_lshrrev_b32_e32 v3, 21, v3
	s_and_not1_saveexec_b32 s5, s5
	s_cbranch_execnz .LBB9_2269
.LBB9_2212:
	s_or_b32 exec_lo, exec_lo, s5
	v_mov_b32_e32 v4, 0
	s_and_saveexec_b32 s5, s4
.LBB9_2213:
	v_lshrrev_b32_e32 v2, 24, v2
	s_delay_alu instid0(VALU_DEP_1)
	v_and_or_b32 v4, 0x80, v2, v3
.LBB9_2214:
	s_or_b32 exec_lo, exec_lo, s5
.LBB9_2215:
	s_delay_alu instid0(SALU_CYCLE_1)
	s_or_b32 exec_lo, exec_lo, s3
	s_mov_b32 s3, 0
	global_store_b8 v[0:1], v4, off
.LBB9_2216:
	s_and_b32 vcc_lo, exec_lo, s3
	s_cbranch_vccz .LBB9_2226
; %bb.2217:
	s_wait_xcnt 0x0
	v_cvt_f32_f64_e32 v2, v[12:13]
	s_mov_b32 s3, exec_lo
                                        ; implicit-def: $vgpr3
	s_delay_alu instid0(VALU_DEP_1) | instskip(NEXT) | instid1(VALU_DEP_1)
	v_and_b32_e32 v4, 0x7fffffff, v2
	v_cmpx_gt_u32_e32 0x43f00000, v4
	s_xor_b32 s3, exec_lo, s3
	s_cbranch_execz .LBB9_2223
; %bb.2218:
	s_mov_b32 s4, exec_lo
                                        ; implicit-def: $vgpr3
	v_cmpx_lt_u32_e32 0x3c7fffff, v4
	s_xor_b32 s4, exec_lo, s4
; %bb.2219:
	v_bfe_u32 v3, v2, 20, 1
	s_delay_alu instid0(VALU_DEP_1) | instskip(NEXT) | instid1(VALU_DEP_1)
	v_add3_u32 v3, v2, v3, 0x407ffff
	v_and_b32_e32 v4, 0xff00000, v3
	v_lshrrev_b32_e32 v3, 20, v3
	s_delay_alu instid0(VALU_DEP_2) | instskip(NEXT) | instid1(VALU_DEP_2)
	v_cmp_ne_u32_e32 vcc_lo, 0x7f00000, v4
	v_cndmask_b32_e32 v3, 0x7e, v3, vcc_lo
; %bb.2220:
	s_and_not1_saveexec_b32 s4, s4
; %bb.2221:
	v_add_f32_e64 v3, 0x46800000, |v2|
; %bb.2222:
	s_or_b32 exec_lo, exec_lo, s4
                                        ; implicit-def: $vgpr4
.LBB9_2223:
	s_and_not1_saveexec_b32 s3, s3
; %bb.2224:
	v_mov_b32_e32 v3, 0x7f
	v_cmp_lt_u32_e32 vcc_lo, 0x7f800000, v4
	s_delay_alu instid0(VALU_DEP_2)
	v_cndmask_b32_e32 v3, 0x7e, v3, vcc_lo
; %bb.2225:
	s_or_b32 exec_lo, exec_lo, s3
	v_lshrrev_b32_e32 v2, 24, v2
	s_delay_alu instid0(VALU_DEP_1)
	v_and_or_b32 v2, 0x80, v2, v3
	global_store_b8 v[0:1], v2, off
.LBB9_2226:
	s_mov_b32 s3, 0
.LBB9_2227:
	s_delay_alu instid0(SALU_CYCLE_1)
	s_and_not1_b32 vcc_lo, exec_lo, s3
	s_cbranch_vccnz .LBB9_2237
; %bb.2228:
	s_wait_xcnt 0x0
	v_cvt_f32_f64_e32 v2, v[12:13]
	s_mov_b32 s3, exec_lo
                                        ; implicit-def: $vgpr3
	s_delay_alu instid0(VALU_DEP_1) | instskip(NEXT) | instid1(VALU_DEP_1)
	v_and_b32_e32 v4, 0x7fffffff, v2
	v_cmpx_gt_u32_e32 0x47800000, v4
	s_xor_b32 s3, exec_lo, s3
	s_cbranch_execz .LBB9_2234
; %bb.2229:
	s_mov_b32 s4, exec_lo
                                        ; implicit-def: $vgpr3
	v_cmpx_lt_u32_e32 0x387fffff, v4
	s_xor_b32 s4, exec_lo, s4
; %bb.2230:
	v_bfe_u32 v3, v2, 21, 1
	s_delay_alu instid0(VALU_DEP_1) | instskip(NEXT) | instid1(VALU_DEP_1)
	v_add3_u32 v3, v2, v3, 0x80fffff
	v_lshrrev_b32_e32 v3, 21, v3
; %bb.2231:
	s_and_not1_saveexec_b32 s4, s4
; %bb.2232:
	v_add_f32_e64 v3, 0x43000000, |v2|
; %bb.2233:
	s_or_b32 exec_lo, exec_lo, s4
                                        ; implicit-def: $vgpr4
.LBB9_2234:
	s_and_not1_saveexec_b32 s3, s3
; %bb.2235:
	v_mov_b32_e32 v3, 0x7f
	v_cmp_lt_u32_e32 vcc_lo, 0x7f800000, v4
	s_delay_alu instid0(VALU_DEP_2)
	v_cndmask_b32_e32 v3, 0x7c, v3, vcc_lo
; %bb.2236:
	s_or_b32 exec_lo, exec_lo, s3
	v_lshrrev_b32_e32 v2, 24, v2
	s_delay_alu instid0(VALU_DEP_1)
	v_and_or_b32 v2, 0x80, v2, v3
	global_store_b8 v[0:1], v2, off
.LBB9_2237:
	s_mov_b32 s3, 0
.LBB9_2238:
	s_delay_alu instid0(SALU_CYCLE_1)
	s_and_not1_b32 vcc_lo, exec_lo, s3
	s_mov_b32 s3, 0
	s_cbranch_vccnz .LBB9_2245
; %bb.2239:
	s_cmp_gt_i32 s2, 14
	s_mov_b32 s3, -1
	s_cbranch_scc0 .LBB9_2243
; %bb.2240:
	s_cmp_eq_u32 s2, 15
	s_mov_b32 s0, -1
	s_cbranch_scc0 .LBB9_2242
; %bb.2241:
	s_wait_xcnt 0x0
	v_cvt_f32_f64_e32 v2, v[12:13]
	s_mov_b32 s0, 0
	s_delay_alu instid0(VALU_DEP_1) | instskip(SKIP_1) | instid1(VALU_DEP_2)
	v_bfe_u32 v3, v2, 16, 1
	v_cmp_o_f32_e32 vcc_lo, v2, v2
	v_add3_u32 v3, v2, v3, 0x7fff
	s_delay_alu instid0(VALU_DEP_1) | instskip(NEXT) | instid1(VALU_DEP_1)
	v_lshrrev_b32_e32 v3, 16, v3
	v_cndmask_b32_e32 v2, 0x7fc0, v3, vcc_lo
	global_store_b16 v[0:1], v2, off
.LBB9_2242:
	s_mov_b32 s3, 0
.LBB9_2243:
	s_delay_alu instid0(SALU_CYCLE_1)
	s_and_b32 vcc_lo, exec_lo, s3
	s_mov_b32 s3, 0
	s_cbranch_vccz .LBB9_2245
; %bb.2244:
	s_cmp_lg_u32 s2, 11
	s_mov_b32 s3, -1
	s_cselect_b32 s0, -1, 0
.LBB9_2245:
	s_delay_alu instid0(SALU_CYCLE_1)
	s_and_b32 vcc_lo, exec_lo, s0
	s_cbranch_vccnz .LBB9_2267
.LBB9_2246:
	s_mov_b32 s0, 0
	s_branch .LBB9_1848
.LBB9_2247:
	s_mov_b32 s0, 0
	s_wait_xcnt 0x0
	s_mov_b32 s3, 0
                                        ; implicit-def: $vgpr0_vgpr1
                                        ; implicit-def: $sgpr6
	s_branch .LBB9_1848
.LBB9_2248:
	s_mov_b32 s3, 0
	s_mov_b32 s0, -1
	s_branch .LBB9_1848
.LBB9_2249:
	s_or_b32 s1, s1, exec_lo
	s_trap 2
	s_cbranch_execz .LBB9_1705
	s_branch .LBB9_1706
.LBB9_2250:
	s_and_not1_saveexec_b32 s11, s11
	s_cbranch_execz .LBB9_1797
.LBB9_2251:
	v_add_f32_e64 v3, 0x46000000, |v2|
	s_and_not1_b32 s10, s10, exec_lo
	s_delay_alu instid0(VALU_DEP_1) | instskip(NEXT) | instid1(VALU_DEP_1)
	v_and_b32_e32 v3, 0xff, v3
	v_cmp_ne_u32_e32 vcc_lo, 0, v3
	s_and_b32 s12, vcc_lo, exec_lo
	s_delay_alu instid0(SALU_CYCLE_1)
	s_or_b32 s10, s10, s12
	s_or_b32 exec_lo, exec_lo, s11
	v_mov_b32_e32 v7, 0
	s_and_saveexec_b32 s11, s10
	s_cbranch_execnz .LBB9_1798
	s_branch .LBB9_1799
.LBB9_2252:
	s_or_b32 s1, s1, exec_lo
	s_trap 2
	s_cbranch_execz .LBB9_1845
	s_branch .LBB9_1846
.LBB9_2253:
	s_and_not1_saveexec_b32 s10, s10
	s_cbranch_execz .LBB9_1810
.LBB9_2254:
	v_add_f32_e64 v3, 0x42800000, |v2|
	s_and_not1_b32 s7, s7, exec_lo
	s_delay_alu instid0(VALU_DEP_1) | instskip(NEXT) | instid1(VALU_DEP_1)
	v_and_b32_e32 v3, 0xff, v3
	v_cmp_ne_u32_e32 vcc_lo, 0, v3
	s_and_b32 s11, vcc_lo, exec_lo
	s_delay_alu instid0(SALU_CYCLE_1)
	s_or_b32 s7, s7, s11
	s_or_b32 exec_lo, exec_lo, s10
	v_mov_b32_e32 v7, 0
	s_and_saveexec_b32 s10, s7
	s_cbranch_execnz .LBB9_1811
	s_branch .LBB9_1812
.LBB9_2255:
	s_and_not1_saveexec_b32 s11, s11
	s_cbranch_execz .LBB9_1961
.LBB9_2256:
	v_add_f32_e64 v3, 0x46000000, |v2|
	s_and_not1_b32 s10, s10, exec_lo
	s_delay_alu instid0(VALU_DEP_1) | instskip(NEXT) | instid1(VALU_DEP_1)
	v_and_b32_e32 v3, 0xff, v3
	v_cmp_ne_u32_e32 vcc_lo, 0, v3
	s_and_b32 s12, vcc_lo, exec_lo
	s_delay_alu instid0(SALU_CYCLE_1)
	s_or_b32 s10, s10, s12
	s_or_b32 exec_lo, exec_lo, s11
	v_mov_b32_e32 v6, 0
	s_and_saveexec_b32 s11, s10
	s_cbranch_execnz .LBB9_1962
	s_branch .LBB9_1963
.LBB9_2257:
	s_or_b32 s1, s1, exec_lo
	s_trap 2
	s_cbranch_execz .LBB9_2009
	s_branch .LBB9_2010
.LBB9_2258:
	s_and_not1_saveexec_b32 s10, s10
	s_cbranch_execz .LBB9_1974
.LBB9_2259:
	v_add_f32_e64 v3, 0x42800000, |v2|
	s_and_not1_b32 s7, s7, exec_lo
	s_delay_alu instid0(VALU_DEP_1) | instskip(NEXT) | instid1(VALU_DEP_1)
	v_and_b32_e32 v3, 0xff, v3
	v_cmp_ne_u32_e32 vcc_lo, 0, v3
	s_and_b32 s11, vcc_lo, exec_lo
	s_delay_alu instid0(SALU_CYCLE_1)
	s_or_b32 s7, s7, s11
	s_or_b32 exec_lo, exec_lo, s10
	v_mov_b32_e32 v6, 0
	s_and_saveexec_b32 s10, s7
	s_cbranch_execnz .LBB9_1975
	s_branch .LBB9_1976
.LBB9_2260:
	s_and_not1_saveexec_b32 s11, s11
	s_cbranch_execz .LBB9_2080
.LBB9_2261:
	v_add_f32_e64 v3, 0x46000000, |v2|
	s_and_not1_b32 s10, s10, exec_lo
	s_delay_alu instid0(VALU_DEP_1) | instskip(NEXT) | instid1(VALU_DEP_1)
	v_and_b32_e32 v3, 0xff, v3
	v_cmp_ne_u32_e32 vcc_lo, 0, v3
	s_and_b32 s12, vcc_lo, exec_lo
	s_delay_alu instid0(SALU_CYCLE_1)
	s_or_b32 s10, s10, s12
	s_or_b32 exec_lo, exec_lo, s11
	v_mov_b32_e32 v4, 0
	s_and_saveexec_b32 s11, s10
	s_cbranch_execnz .LBB9_2081
	s_branch .LBB9_2082
.LBB9_2262:
	s_or_b32 s1, s1, exec_lo
	s_trap 2
	s_cbranch_execz .LBB9_2128
	s_branch .LBB9_2129
.LBB9_2263:
	s_and_not1_saveexec_b32 s10, s10
	s_cbranch_execz .LBB9_2093
.LBB9_2264:
	v_add_f32_e64 v3, 0x42800000, |v2|
	s_and_not1_b32 s7, s7, exec_lo
	s_delay_alu instid0(VALU_DEP_1) | instskip(NEXT) | instid1(VALU_DEP_1)
	v_and_b32_e32 v3, 0xff, v3
	v_cmp_ne_u32_e32 vcc_lo, 0, v3
	s_and_b32 s11, vcc_lo, exec_lo
	s_delay_alu instid0(SALU_CYCLE_1)
	s_or_b32 s7, s7, s11
	s_or_b32 exec_lo, exec_lo, s10
	v_mov_b32_e32 v4, 0
	s_and_saveexec_b32 s10, s7
	s_cbranch_execnz .LBB9_2094
	s_branch .LBB9_2095
.LBB9_2265:
	s_and_not1_saveexec_b32 s7, s7
	s_cbranch_execz .LBB9_2200
.LBB9_2266:
	v_add_f32_e64 v3, 0x46000000, |v2|
	s_and_not1_b32 s5, s5, exec_lo
	s_delay_alu instid0(VALU_DEP_1) | instskip(NEXT) | instid1(VALU_DEP_1)
	v_and_b32_e32 v3, 0xff, v3
	v_cmp_ne_u32_e32 vcc_lo, 0, v3
	s_and_b32 s10, vcc_lo, exec_lo
	s_delay_alu instid0(SALU_CYCLE_1)
	s_or_b32 s5, s5, s10
	s_or_b32 exec_lo, exec_lo, s7
	v_mov_b32_e32 v4, 0
	s_and_saveexec_b32 s7, s5
	s_cbranch_execnz .LBB9_2201
	s_branch .LBB9_2202
.LBB9_2267:
	s_mov_b32 s3, 0
	s_or_b32 s1, s1, exec_lo
	s_trap 2
	s_branch .LBB9_2246
.LBB9_2268:
	s_and_not1_saveexec_b32 s5, s5
	s_cbranch_execz .LBB9_2212
.LBB9_2269:
	v_add_f32_e64 v3, 0x42800000, |v2|
	s_and_not1_b32 s4, s4, exec_lo
	s_delay_alu instid0(VALU_DEP_1) | instskip(NEXT) | instid1(VALU_DEP_1)
	v_and_b32_e32 v3, 0xff, v3
	v_cmp_ne_u32_e32 vcc_lo, 0, v3
	s_and_b32 s7, vcc_lo, exec_lo
	s_delay_alu instid0(SALU_CYCLE_1)
	s_or_b32 s4, s4, s7
	s_or_b32 exec_lo, exec_lo, s5
	v_mov_b32_e32 v4, 0
	s_and_saveexec_b32 s5, s4
	s_cbranch_execnz .LBB9_2213
	s_branch .LBB9_2214
	.section	.rodata,"a",@progbits
	.p2align	6, 0x0
	.amdhsa_kernel _ZN2at6native32elementwise_kernel_manual_unrollILi128ELi4EZNS0_15gpu_kernel_implIZZZNS0_12_GLOBAL__N_130modified_bessel_i1_kernel_cudaERNS_18TensorIteratorBaseEENKUlvE_clEvENKUlvE_clEvEUldE_EEvS5_RKT_EUlibE0_EEviT1_
		.amdhsa_group_segment_fixed_size 0
		.amdhsa_private_segment_fixed_size 0
		.amdhsa_kernarg_size 360
		.amdhsa_user_sgpr_count 2
		.amdhsa_user_sgpr_dispatch_ptr 0
		.amdhsa_user_sgpr_queue_ptr 0
		.amdhsa_user_sgpr_kernarg_segment_ptr 1
		.amdhsa_user_sgpr_dispatch_id 0
		.amdhsa_user_sgpr_kernarg_preload_length 0
		.amdhsa_user_sgpr_kernarg_preload_offset 0
		.amdhsa_user_sgpr_private_segment_size 0
		.amdhsa_wavefront_size32 1
		.amdhsa_uses_dynamic_stack 0
		.amdhsa_enable_private_segment 0
		.amdhsa_system_sgpr_workgroup_id_x 1
		.amdhsa_system_sgpr_workgroup_id_y 0
		.amdhsa_system_sgpr_workgroup_id_z 0
		.amdhsa_system_sgpr_workgroup_info 0
		.amdhsa_system_vgpr_workitem_id 0
		.amdhsa_next_free_vgpr 28
		.amdhsa_next_free_sgpr 68
		.amdhsa_named_barrier_count 0
		.amdhsa_reserve_vcc 1
		.amdhsa_float_round_mode_32 0
		.amdhsa_float_round_mode_16_64 0
		.amdhsa_float_denorm_mode_32 3
		.amdhsa_float_denorm_mode_16_64 3
		.amdhsa_fp16_overflow 0
		.amdhsa_memory_ordered 1
		.amdhsa_forward_progress 1
		.amdhsa_inst_pref_size 255
		.amdhsa_round_robin_scheduling 0
		.amdhsa_exception_fp_ieee_invalid_op 0
		.amdhsa_exception_fp_denorm_src 0
		.amdhsa_exception_fp_ieee_div_zero 0
		.amdhsa_exception_fp_ieee_overflow 0
		.amdhsa_exception_fp_ieee_underflow 0
		.amdhsa_exception_fp_ieee_inexact 0
		.amdhsa_exception_int_div_zero 0
	.end_amdhsa_kernel
	.section	.text._ZN2at6native32elementwise_kernel_manual_unrollILi128ELi4EZNS0_15gpu_kernel_implIZZZNS0_12_GLOBAL__N_130modified_bessel_i1_kernel_cudaERNS_18TensorIteratorBaseEENKUlvE_clEvENKUlvE_clEvEUldE_EEvS5_RKT_EUlibE0_EEviT1_,"axG",@progbits,_ZN2at6native32elementwise_kernel_manual_unrollILi128ELi4EZNS0_15gpu_kernel_implIZZZNS0_12_GLOBAL__N_130modified_bessel_i1_kernel_cudaERNS_18TensorIteratorBaseEENKUlvE_clEvENKUlvE_clEvEUldE_EEvS5_RKT_EUlibE0_EEviT1_,comdat
.Lfunc_end9:
	.size	_ZN2at6native32elementwise_kernel_manual_unrollILi128ELi4EZNS0_15gpu_kernel_implIZZZNS0_12_GLOBAL__N_130modified_bessel_i1_kernel_cudaERNS_18TensorIteratorBaseEENKUlvE_clEvENKUlvE_clEvEUldE_EEvS5_RKT_EUlibE0_EEviT1_, .Lfunc_end9-_ZN2at6native32elementwise_kernel_manual_unrollILi128ELi4EZNS0_15gpu_kernel_implIZZZNS0_12_GLOBAL__N_130modified_bessel_i1_kernel_cudaERNS_18TensorIteratorBaseEENKUlvE_clEvENKUlvE_clEvEUldE_EEvS5_RKT_EUlibE0_EEviT1_
                                        ; -- End function
	.set _ZN2at6native32elementwise_kernel_manual_unrollILi128ELi4EZNS0_15gpu_kernel_implIZZZNS0_12_GLOBAL__N_130modified_bessel_i1_kernel_cudaERNS_18TensorIteratorBaseEENKUlvE_clEvENKUlvE_clEvEUldE_EEvS5_RKT_EUlibE0_EEviT1_.num_vgpr, 28
	.set _ZN2at6native32elementwise_kernel_manual_unrollILi128ELi4EZNS0_15gpu_kernel_implIZZZNS0_12_GLOBAL__N_130modified_bessel_i1_kernel_cudaERNS_18TensorIteratorBaseEENKUlvE_clEvENKUlvE_clEvEUldE_EEvS5_RKT_EUlibE0_EEviT1_.num_agpr, 0
	.set _ZN2at6native32elementwise_kernel_manual_unrollILi128ELi4EZNS0_15gpu_kernel_implIZZZNS0_12_GLOBAL__N_130modified_bessel_i1_kernel_cudaERNS_18TensorIteratorBaseEENKUlvE_clEvENKUlvE_clEvEUldE_EEvS5_RKT_EUlibE0_EEviT1_.numbered_sgpr, 68
	.set _ZN2at6native32elementwise_kernel_manual_unrollILi128ELi4EZNS0_15gpu_kernel_implIZZZNS0_12_GLOBAL__N_130modified_bessel_i1_kernel_cudaERNS_18TensorIteratorBaseEENKUlvE_clEvENKUlvE_clEvEUldE_EEvS5_RKT_EUlibE0_EEviT1_.num_named_barrier, 0
	.set _ZN2at6native32elementwise_kernel_manual_unrollILi128ELi4EZNS0_15gpu_kernel_implIZZZNS0_12_GLOBAL__N_130modified_bessel_i1_kernel_cudaERNS_18TensorIteratorBaseEENKUlvE_clEvENKUlvE_clEvEUldE_EEvS5_RKT_EUlibE0_EEviT1_.private_seg_size, 0
	.set _ZN2at6native32elementwise_kernel_manual_unrollILi128ELi4EZNS0_15gpu_kernel_implIZZZNS0_12_GLOBAL__N_130modified_bessel_i1_kernel_cudaERNS_18TensorIteratorBaseEENKUlvE_clEvENKUlvE_clEvEUldE_EEvS5_RKT_EUlibE0_EEviT1_.uses_vcc, 1
	.set _ZN2at6native32elementwise_kernel_manual_unrollILi128ELi4EZNS0_15gpu_kernel_implIZZZNS0_12_GLOBAL__N_130modified_bessel_i1_kernel_cudaERNS_18TensorIteratorBaseEENKUlvE_clEvENKUlvE_clEvEUldE_EEvS5_RKT_EUlibE0_EEviT1_.uses_flat_scratch, 0
	.set _ZN2at6native32elementwise_kernel_manual_unrollILi128ELi4EZNS0_15gpu_kernel_implIZZZNS0_12_GLOBAL__N_130modified_bessel_i1_kernel_cudaERNS_18TensorIteratorBaseEENKUlvE_clEvENKUlvE_clEvEUldE_EEvS5_RKT_EUlibE0_EEviT1_.has_dyn_sized_stack, 0
	.set _ZN2at6native32elementwise_kernel_manual_unrollILi128ELi4EZNS0_15gpu_kernel_implIZZZNS0_12_GLOBAL__N_130modified_bessel_i1_kernel_cudaERNS_18TensorIteratorBaseEENKUlvE_clEvENKUlvE_clEvEUldE_EEvS5_RKT_EUlibE0_EEviT1_.has_recursion, 0
	.set _ZN2at6native32elementwise_kernel_manual_unrollILi128ELi4EZNS0_15gpu_kernel_implIZZZNS0_12_GLOBAL__N_130modified_bessel_i1_kernel_cudaERNS_18TensorIteratorBaseEENKUlvE_clEvENKUlvE_clEvEUldE_EEvS5_RKT_EUlibE0_EEviT1_.has_indirect_call, 0
	.section	.AMDGPU.csdata,"",@progbits
; Kernel info:
; codeLenInByte = 68440
; TotalNumSgprs: 70
; NumVgprs: 28
; ScratchSize: 0
; MemoryBound: 1
; FloatMode: 240
; IeeeMode: 1
; LDSByteSize: 0 bytes/workgroup (compile time only)
; SGPRBlocks: 0
; VGPRBlocks: 1
; NumSGPRsForWavesPerEU: 70
; NumVGPRsForWavesPerEU: 28
; NamedBarCnt: 0
; Occupancy: 16
; WaveLimiterHint : 1
; COMPUTE_PGM_RSRC2:SCRATCH_EN: 0
; COMPUTE_PGM_RSRC2:USER_SGPR: 2
; COMPUTE_PGM_RSRC2:TRAP_HANDLER: 0
; COMPUTE_PGM_RSRC2:TGID_X_EN: 1
; COMPUTE_PGM_RSRC2:TGID_Y_EN: 0
; COMPUTE_PGM_RSRC2:TGID_Z_EN: 0
; COMPUTE_PGM_RSRC2:TIDIG_COMP_CNT: 0
	.text
	.p2align	2                               ; -- Begin function _ZN2at6native25elementwise_kernel_helperILb0EZZZNS0_12_GLOBAL__N_130modified_bessel_i1_kernel_cudaERNS_18TensorIteratorBaseEENKUlvE_clEvENKUlvE0_clEvEUlfE_NS0_6memory8policies11unroll_baseILi256ESt5arrayIPcLm2EE23TrivialOffsetCalculatorILi1EjESF_NS8_15LoadWithoutCastENS8_16StoreWithoutCastELi4ELi1EEEEEvT0_T1_
	.type	_ZN2at6native25elementwise_kernel_helperILb0EZZZNS0_12_GLOBAL__N_130modified_bessel_i1_kernel_cudaERNS_18TensorIteratorBaseEENKUlvE_clEvENKUlvE0_clEvEUlfE_NS0_6memory8policies11unroll_baseILi256ESt5arrayIPcLm2EE23TrivialOffsetCalculatorILi1EjESF_NS8_15LoadWithoutCastENS8_16StoreWithoutCastELi4ELi1EEEEEvT0_T1_,@function
_ZN2at6native25elementwise_kernel_helperILb0EZZZNS0_12_GLOBAL__N_130modified_bessel_i1_kernel_cudaERNS_18TensorIteratorBaseEENKUlvE_clEvENKUlvE0_clEvEUlfE_NS0_6memory8policies11unroll_baseILi256ESt5arrayIPcLm2EE23TrivialOffsetCalculatorILi1EjESF_NS8_15LoadWithoutCastENS8_16StoreWithoutCastELi4ELi1EEEEEvT0_T1_: ; @_ZN2at6native25elementwise_kernel_helperILb0EZZZNS0_12_GLOBAL__N_130modified_bessel_i1_kernel_cudaERNS_18TensorIteratorBaseEENKUlvE_clEvENKUlvE0_clEvEUlfE_NS0_6memory8policies11unroll_baseILi256ESt5arrayIPcLm2EE23TrivialOffsetCalculatorILi1EjESF_NS8_15LoadWithoutCastENS8_16StoreWithoutCastELi4ELi1EEEEEvT0_T1_
; %bb.0:
	s_wait_loadcnt_dscnt 0x0
	s_wait_kmcnt 0x0
	s_bfe_u32 s0, ttmp6, 0x4000c
	s_and_b32 s1, ttmp6, 15
	s_add_co_i32 s0, s0, 1
	s_getreg_b32 s2, hwreg(HW_REG_IB_STS2, 6, 4)
	s_mul_i32 s0, ttmp9, s0
	v_and_b32_e32 v7, 0x3ff, v31
	s_add_co_i32 s1, s1, s0
	s_cmp_eq_u32 s2, 0
	v_mov_b32_e32 v13, 0
	s_cselect_b32 s0, ttmp9, s1
	v_add_nc_u32_e32 v10, 0x100, v7
	s_lshl_b32 s2, s0, 10
	v_cmp_lt_i32_e64 s0, v7, v4
	v_dual_mov_b32 v12, 0 :: v_dual_bitop2_b32 v8, s2, v7 bitop3:0x54
	v_mov_b32_e32 v5, v7
	s_and_saveexec_b32 s1, s0
	s_cbranch_execz .LBB10_2
; %bb.1:
	v_mov_b32_e32 v9, 0
	v_add_nc_u32_e32 v5, 0x100, v7
	s_delay_alu instid0(VALU_DEP_2)
	v_lshl_add_u64 v[14:15], v[8:9], 2, v[2:3]
	flat_load_b32 v13, v[14:15]
.LBB10_2:
	s_wait_xcnt 0x0
	s_or_b32 exec_lo, exec_lo, s1
	s_delay_alu instid0(SALU_CYCLE_1)
	s_mov_b32 s1, exec_lo
	v_cmpx_lt_i32_e64 v5, v4
	s_cbranch_execz .LBB10_4
; %bb.3:
	v_dual_mov_b32 v15, 0 :: v_dual_add_nc_u32 v14, s2, v5
	v_add_nc_u32_e32 v5, 0x100, v5
	s_delay_alu instid0(VALU_DEP_2)
	v_lshl_add_u64 v[14:15], v[14:15], 2, v[2:3]
	flat_load_b32 v12, v[14:15]
.LBB10_4:
	s_wait_xcnt 0x0
	s_or_b32 exec_lo, exec_lo, s1
	v_dual_mov_b32 v9, 0 :: v_dual_mov_b32 v11, 0
	s_mov_b32 s1, exec_lo
	v_cmpx_lt_i32_e64 v5, v4
	s_cbranch_execz .LBB10_6
; %bb.5:
	v_dual_mov_b32 v15, 0 :: v_dual_add_nc_u32 v14, s2, v5
	v_add_nc_u32_e32 v5, 0x100, v5
	s_delay_alu instid0(VALU_DEP_2)
	v_lshl_add_u64 v[14:15], v[14:15], 2, v[2:3]
	flat_load_b32 v11, v[14:15]
.LBB10_6:
	s_wait_xcnt 0x0
	s_or_b32 exec_lo, exec_lo, s1
	s_delay_alu instid0(SALU_CYCLE_1)
	s_mov_b32 s1, exec_lo
	v_cmpx_lt_i32_e64 v5, v4
	s_cbranch_execz .LBB10_8
; %bb.7:
	v_dual_mov_b32 v15, 0 :: v_dual_add_nc_u32 v14, s2, v5
	s_delay_alu instid0(VALU_DEP_1)
	v_lshl_add_u64 v[2:3], v[14:15], 2, v[2:3]
	flat_load_b32 v9, v[2:3]
.LBB10_8:
	s_wait_xcnt 0x0
	s_or_b32 exec_lo, exec_lo, s1
	v_mov_b32_e32 v2, 0
	s_delay_alu instid0(VALU_DEP_1)
	v_dual_mov_b32 v5, v2 :: v_dual_mov_b32 v6, v2
	v_mov_b32_e32 v3, v2
	s_and_saveexec_b32 s3, s0
	s_cbranch_execz .LBB10_22
; %bb.9:
	s_wait_loadcnt_dscnt 0x0
	v_mul_f32_e64 v3, 0x3fb8aa3b, |v13|
	s_mov_b32 s4, exec_lo
                                        ; implicit-def: $vgpr2
	v_cmpx_ge_f32_e64 0x41000000, |v13|
	s_xor_b32 s4, exec_lo, s4
	s_cbranch_execz .LBB10_15
; %bb.10:
	v_fma_f32 v2, |v13|, 0.5, -2.0
	s_mov_b32 s1, 0x224cf950
	v_rndne_f32_e32 v14, v3
	v_fma_f32 v15, 0x3fb8aa3b, |v13|, -v3
	v_cmp_ngt_f32_e64 vcc_lo, 0xc2ce8ed0, |v13|
	v_fmaak_f32 v5, s1, v2, 0xa3c2be86
	v_cmp_nlt_f32_e64 s1, 0x42b17218, |v13|
	v_sub_f32_e32 v3, v3, v14
	v_fma_f32 v15, 0x32a5705f, |v13|, v15
	s_delay_alu instid0(VALU_DEP_1) | instskip(NEXT) | instid1(VALU_DEP_1)
	v_dual_fmaak_f32 v6, v2, v5, 0xa24cf950 :: v_dual_add_f32 v3, v3, v15
	v_add_f32_e32 v6, 0x25331f1f, v6
	s_delay_alu instid0(VALU_DEP_2) | instskip(NEXT) | instid1(VALU_DEP_1)
	v_exp_f32_e32 v3, v3
	v_fma_f32 v5, v2, v6, -v5
	s_delay_alu instid0(VALU_DEP_1) | instskip(NEXT) | instid1(VALU_DEP_1)
	v_add_f32_e32 v5, 0xa69f5554, v5
	v_fma_f32 v6, v2, v5, -v6
	s_delay_alu instid0(VALU_DEP_1) | instskip(NEXT) | instid1(VALU_DEP_1)
	v_add_f32_e32 v6, 0x2808ebf8, v6
	;; [unrolled: 3-line block ×25, first 2 shown]
	v_fma_f32 v2, v2, v5, -v6
	v_cvt_i32_f32_e32 v5, v14
	s_delay_alu instid0(VALU_DEP_2) | instskip(NEXT) | instid1(VALU_DEP_2)
	v_add_f32_e32 v2, 0x3e81531c, v2
	v_ldexp_f32 v3, v3, v5
	s_delay_alu instid0(VALU_DEP_1) | instskip(NEXT) | instid1(VALU_DEP_1)
	v_dual_sub_f32 v2, v2, v6 :: v_dual_cndmask_b32 v5, 0, v3
	v_mul_f32_e32 v2, 0.5, v2
	s_delay_alu instid0(VALU_DEP_2) | instskip(SKIP_1) | instid1(VALU_DEP_2)
	v_cndmask_b32_e64 v5, 0x7f800000, v5, s1
	s_mov_b32 s1, exec_lo
	v_mul_f32_e64 v3, |v13|, v2
                                        ; implicit-def: $vgpr2
	v_cmpx_ngt_f32_e32 0, v13
	s_xor_b32 s1, exec_lo, s1
; %bb.11:
	s_delay_alu instid0(VALU_DEP_2)
	v_mul_f32_e32 v2, v5, v3
                                        ; implicit-def: $vgpr5
                                        ; implicit-def: $vgpr3
; %bb.12:
	s_and_not1_saveexec_b32 s1, s1
; %bb.13:
	v_mul_f32_e64 v2, v3, -v5
; %bb.14:
	s_or_b32 exec_lo, exec_lo, s1
                                        ; implicit-def: $vgpr13
                                        ; implicit-def: $vgpr3
.LBB10_15:
	s_and_not1_saveexec_b32 s4, s4
	s_cbranch_execz .LBB10_21
; %bb.16:
	v_and_b32_e32 v2, 0x7fffffff, v13
	s_mov_b32 s1, 0x230aab6e
	s_delay_alu instid0(VALU_DEP_1) | instskip(SKIP_1) | instid1(VALU_DEP_2)
	v_div_scale_f32 v5, null, v2, v2, 0x42000000
	v_div_scale_f32 v2, vcc_lo, 0x42000000, v2, 0x42000000
	v_rcp_f32_e32 v6, v5
	v_nop
	s_delay_alu instid0(TRANS32_DEP_1) | instskip(NEXT) | instid1(VALU_DEP_1)
	v_fma_f32 v14, -v5, v6, 1.0
	v_fmac_f32_e32 v6, v14, v6
	s_delay_alu instid0(VALU_DEP_1) | instskip(NEXT) | instid1(VALU_DEP_1)
	v_mul_f32_e32 v14, v2, v6
	v_fma_f32 v15, -v5, v14, v2
	s_delay_alu instid0(VALU_DEP_1) | instskip(SKIP_1) | instid1(VALU_DEP_2)
	v_fmac_f32_e32 v14, v15, v6
	v_fma_f32 v15, 0x3fb8aa3b, |v13|, -v3
	v_fma_f32 v2, -v5, v14, v2
	s_delay_alu instid0(VALU_DEP_2) | instskip(NEXT) | instid1(VALU_DEP_2)
	v_fma_f32 v15, 0x32a5705f, |v13|, v15
	v_div_fmas_f32 v2, v2, v6, v14
	v_rndne_f32_e32 v14, v3
	v_cmp_ngt_f32_e64 vcc_lo, 0xc2ce8ed0, |v13|
	s_delay_alu instid0(VALU_DEP_3) | instskip(NEXT) | instid1(VALU_DEP_3)
	v_div_fixup_f32 v2, v2, |v13|, 0x42000000
	v_sub_f32_e32 v3, v3, v14
	v_cvt_i32_f32_e32 v14, v14
	s_delay_alu instid0(VALU_DEP_2) | instskip(NEXT) | instid1(VALU_DEP_1)
	v_dual_add_f32 v2, -2.0, v2 :: v_dual_add_f32 v3, v3, v15
	v_fmaak_f32 v5, s1, v2, 0x22a2dc57
	v_cmp_nlt_f32_e64 s1, 0x42b17218, |v13|
	s_delay_alu instid0(VALU_DEP_3) | instskip(NEXT) | instid1(VALU_DEP_2)
	v_exp_f32_e32 v3, v3
	v_fmaak_f32 v6, v2, v5, 0xa30aab6e
	s_delay_alu instid0(TRANS32_DEP_1) | instskip(NEXT) | instid1(VALU_DEP_1)
	v_ldexp_f32 v3, v3, v14
	v_dual_add_f32 v6, 0xa456751e, v6 :: v_dual_cndmask_b32 v3, 0, v3
	s_delay_alu instid0(VALU_DEP_1) | instskip(NEXT) | instid1(VALU_DEP_2)
	v_fma_f32 v5, v2, v6, -v5
	v_cndmask_b32_e64 v3, 0x7f800000, v3, s1
	s_delay_alu instid0(VALU_DEP_2) | instskip(SKIP_1) | instid1(VALU_DEP_1)
	v_add_f32_e32 v5, 0xa4140365, v5
	s_mov_b32 s1, exec_lo
	v_fma_f32 v6, v2, v5, -v6
	s_delay_alu instid0(VALU_DEP_1) | instskip(NEXT) | instid1(VALU_DEP_1)
	v_add_f32_e32 v6, 0x25aac8b0, v6
	v_fma_f32 v5, v2, v6, -v5
	s_delay_alu instid0(VALU_DEP_1) | instskip(NEXT) | instid1(VALU_DEP_1)
	v_add_f32_e32 v5, 0x25beb473, v5
	;; [unrolled: 3-line block ×21, first 2 shown]
	v_sub_f32_e32 v5, v2, v6
	v_mul_f32_e64 v6, 0x4f800000, |v13|
                                        ; implicit-def: $vgpr2
	v_cmpx_ngt_f32_e32 0, v13
	s_xor_b32 s5, exec_lo, s1
	s_cbranch_execz .LBB10_18
; %bb.17:
	v_cmp_gt_f32_e64 vcc_lo, 0xf800000, |v13|
	v_mul_f32_e32 v5, 0.5, v5
	s_delay_alu instid0(VALU_DEP_2) | instskip(NEXT) | instid1(VALU_DEP_1)
	v_cndmask_b32_e64 v2, |v13|, v6, vcc_lo
	v_sqrt_f32_e32 v6, v2
	v_nop
	s_delay_alu instid0(TRANS32_DEP_1) | instskip(NEXT) | instid1(VALU_DEP_1)
	v_dual_add_nc_u32 v13, -1, v6 :: v_dual_add_nc_u32 v14, 1, v6
	v_dual_fma_f32 v15, -v13, v6, v2 :: v_dual_fma_f32 v16, -v14, v6, v2
	s_delay_alu instid0(VALU_DEP_1) | instskip(NEXT) | instid1(VALU_DEP_1)
	v_cmp_ge_f32_e64 s1, 0, v15
	v_cndmask_b32_e64 v6, v6, v13, s1
	s_delay_alu instid0(VALU_DEP_3) | instskip(NEXT) | instid1(VALU_DEP_1)
	v_cmp_lt_f32_e64 s1, 0, v16
	v_cndmask_b32_e64 v6, v6, v14, s1
	s_delay_alu instid0(VALU_DEP_1) | instskip(NEXT) | instid1(VALU_DEP_1)
	v_mul_f32_e32 v13, 0x37800000, v6
	v_cndmask_b32_e32 v6, v6, v13, vcc_lo
	v_cmp_class_f32_e64 vcc_lo, v2, 0x260
	s_delay_alu instid0(VALU_DEP_2) | instskip(NEXT) | instid1(VALU_DEP_1)
	v_dual_mul_f32 v3, v3, v5 :: v_dual_cndmask_b32 v2, v6, v2
	v_div_scale_f32 v5, null, v2, v2, v3
	s_delay_alu instid0(VALU_DEP_1) | instskip(SKIP_1) | instid1(TRANS32_DEP_1)
	v_rcp_f32_e32 v6, v5
	v_nop
	v_fma_f32 v13, -v5, v6, 1.0
	s_delay_alu instid0(VALU_DEP_1) | instskip(SKIP_1) | instid1(VALU_DEP_1)
	v_fmac_f32_e32 v6, v13, v6
	v_div_scale_f32 v13, vcc_lo, v3, v2, v3
	v_mul_f32_e32 v14, v13, v6
	s_delay_alu instid0(VALU_DEP_1) | instskip(NEXT) | instid1(VALU_DEP_1)
	v_fma_f32 v15, -v5, v14, v13
	v_fmac_f32_e32 v14, v15, v6
	s_delay_alu instid0(VALU_DEP_1) | instskip(NEXT) | instid1(VALU_DEP_1)
	v_fma_f32 v5, -v5, v14, v13
                                        ; implicit-def: $vgpr13
	v_div_fmas_f32 v5, v5, v6, v14
                                        ; implicit-def: $vgpr6
	s_delay_alu instid0(VALU_DEP_1)
	v_div_fixup_f32 v2, v5, v2, v3
                                        ; implicit-def: $vgpr5
                                        ; implicit-def: $vgpr3
.LBB10_18:
	s_and_not1_saveexec_b32 s5, s5
	s_cbranch_execz .LBB10_20
; %bb.19:
	v_cmp_gt_f32_e64 vcc_lo, 0xf800000, |v13|
	v_mul_f32_e32 v5, -0.5, v5
	s_delay_alu instid0(VALU_DEP_2) | instskip(NEXT) | instid1(VALU_DEP_1)
	v_cndmask_b32_e64 v2, |v13|, v6, vcc_lo
	v_sqrt_f32_e32 v6, v2
	v_nop
	s_delay_alu instid0(TRANS32_DEP_1) | instskip(NEXT) | instid1(VALU_DEP_1)
	v_dual_add_nc_u32 v13, -1, v6 :: v_dual_add_nc_u32 v14, 1, v6
	v_dual_fma_f32 v15, -v13, v6, v2 :: v_dual_fma_f32 v16, -v14, v6, v2
	s_delay_alu instid0(VALU_DEP_1) | instskip(NEXT) | instid1(VALU_DEP_1)
	v_cmp_ge_f32_e64 s1, 0, v15
	v_cndmask_b32_e64 v6, v6, v13, s1
	s_delay_alu instid0(VALU_DEP_3) | instskip(NEXT) | instid1(VALU_DEP_1)
	v_cmp_lt_f32_e64 s1, 0, v16
	v_cndmask_b32_e64 v6, v6, v14, s1
	s_delay_alu instid0(VALU_DEP_1) | instskip(NEXT) | instid1(VALU_DEP_1)
	v_mul_f32_e32 v13, 0x37800000, v6
	v_cndmask_b32_e32 v6, v6, v13, vcc_lo
	v_cmp_class_f32_e64 vcc_lo, v2, 0x260
	s_delay_alu instid0(VALU_DEP_2) | instskip(NEXT) | instid1(VALU_DEP_1)
	v_dual_mul_f32 v3, v3, v5 :: v_dual_cndmask_b32 v2, v6, v2
	v_div_scale_f32 v5, null, v2, v2, v3
	s_delay_alu instid0(VALU_DEP_1) | instskip(SKIP_1) | instid1(TRANS32_DEP_1)
	v_rcp_f32_e32 v6, v5
	v_nop
	v_fma_f32 v13, -v5, v6, 1.0
	s_delay_alu instid0(VALU_DEP_1) | instskip(SKIP_1) | instid1(VALU_DEP_1)
	v_fmac_f32_e32 v6, v13, v6
	v_div_scale_f32 v13, vcc_lo, v3, v2, v3
	v_mul_f32_e32 v14, v13, v6
	s_delay_alu instid0(VALU_DEP_1) | instskip(NEXT) | instid1(VALU_DEP_1)
	v_fma_f32 v15, -v5, v14, v13
	v_fmac_f32_e32 v14, v15, v6
	s_delay_alu instid0(VALU_DEP_1) | instskip(NEXT) | instid1(VALU_DEP_1)
	v_fma_f32 v5, -v5, v14, v13
	v_div_fmas_f32 v5, v5, v6, v14
	s_delay_alu instid0(VALU_DEP_1)
	v_div_fixup_f32 v2, v5, v2, v3
.LBB10_20:
	s_or_b32 exec_lo, exec_lo, s5
.LBB10_21:
	s_delay_alu instid0(SALU_CYCLE_1) | instskip(SKIP_1) | instid1(VALU_DEP_1)
	s_or_b32 exec_lo, exec_lo, s4
	v_mov_b32_e32 v5, 0
	v_dual_mov_b32 v6, v5 :: v_dual_mov_b32 v3, v5
.LBB10_22:
	s_or_b32 exec_lo, exec_lo, s3
	s_delay_alu instid0(SALU_CYCLE_1)
	s_mov_b32 s3, exec_lo
	v_cmpx_lt_i32_e64 v10, v4
	s_cbranch_execz .LBB10_36
; %bb.23:
	s_wait_loadcnt_dscnt 0x0
	v_mul_f32_e64 v13, 0x3fb8aa3b, |v12|
	s_mov_b32 s4, exec_lo
	v_cmpx_ge_f32_e64 0x41000000, |v12|
	s_xor_b32 s4, exec_lo, s4
                                        ; implicit-def: $vgpr5
	s_cbranch_execz .LBB10_29
; %bb.24:
	v_fma_f32 v5, |v12|, 0.5, -2.0
	s_mov_b32 s1, 0x224cf950
	v_rndne_f32_e32 v16, v13
	v_fma_f32 v17, 0x3fb8aa3b, |v12|, -v13
	v_cmp_ngt_f32_e64 vcc_lo, 0xc2ce8ed0, |v12|
	v_fmaak_f32 v14, s1, v5, 0xa3c2be86
	v_cmp_nlt_f32_e64 s1, 0x42b17218, |v12|
	v_sub_f32_e32 v13, v13, v16
	v_fma_f32 v17, 0x32a5705f, |v12|, v17
	s_delay_alu instid0(VALU_DEP_4) | instskip(NEXT) | instid1(VALU_DEP_2)
	v_fmaak_f32 v15, v5, v14, 0xa24cf950
	v_add_f32_e32 v13, v13, v17
	s_delay_alu instid0(VALU_DEP_2) | instskip(NEXT) | instid1(VALU_DEP_2)
	v_add_f32_e32 v15, 0x25331f1f, v15
	v_exp_f32_e32 v13, v13
	s_delay_alu instid0(VALU_DEP_1) | instskip(NEXT) | instid1(VALU_DEP_1)
	v_fma_f32 v14, v5, v15, -v14
	v_add_f32_e32 v14, 0xa69f5554, v14
	s_delay_alu instid0(VALU_DEP_1) | instskip(NEXT) | instid1(VALU_DEP_1)
	v_fma_f32 v15, v5, v14, -v15
	v_add_f32_e32 v15, 0x2808ebf8, v15
	;; [unrolled: 3-line block ×25, first 2 shown]
	s_delay_alu instid0(VALU_DEP_1) | instskip(SKIP_1) | instid1(VALU_DEP_2)
	v_fma_f32 v5, v5, v14, -v15
	v_cvt_i32_f32_e32 v14, v16
	v_add_f32_e32 v5, 0x3e81531c, v5
	s_delay_alu instid0(VALU_DEP_2) | instskip(NEXT) | instid1(VALU_DEP_1)
	v_ldexp_f32 v13, v13, v14
	v_dual_sub_f32 v5, v5, v15 :: v_dual_cndmask_b32 v14, 0, v13
	v_cmp_ngt_f32_e32 vcc_lo, 0, v12
	s_delay_alu instid0(VALU_DEP_2) | instskip(NEXT) | instid1(VALU_DEP_1)
	v_mul_f32_e32 v5, 0.5, v5
	v_mul_f32_e64 v13, |v12|, v5
	s_delay_alu instid0(VALU_DEP_4) | instskip(SKIP_1) | instid1(SALU_CYCLE_1)
	v_cndmask_b32_e64 v12, 0x7f800000, v14, s1
	s_and_saveexec_b32 s1, vcc_lo
	s_xor_b32 s1, exec_lo, s1
                                        ; implicit-def: $vgpr5
; %bb.25:
	s_delay_alu instid0(VALU_DEP_1)
	v_mul_f32_e32 v5, v12, v13
                                        ; implicit-def: $vgpr12
                                        ; implicit-def: $vgpr13
; %bb.26:
	s_and_not1_saveexec_b32 s1, s1
; %bb.27:
	v_mul_f32_e64 v5, v13, -v12
; %bb.28:
	s_or_b32 exec_lo, exec_lo, s1
                                        ; implicit-def: $vgpr12
                                        ; implicit-def: $vgpr13
.LBB10_29:
	s_and_not1_saveexec_b32 s4, s4
	s_cbranch_execz .LBB10_35
; %bb.30:
	v_and_b32_e32 v5, 0x7fffffff, v12
	s_mov_b32 s1, 0x230aab6e
	s_delay_alu instid0(VALU_DEP_1) | instskip(SKIP_1) | instid1(VALU_DEP_2)
	v_div_scale_f32 v14, null, v5, v5, 0x42000000
	v_div_scale_f32 v5, vcc_lo, 0x42000000, v5, 0x42000000
	v_rcp_f32_e32 v15, v14
	v_nop
	s_delay_alu instid0(TRANS32_DEP_1) | instskip(NEXT) | instid1(VALU_DEP_1)
	v_fma_f32 v16, -v14, v15, 1.0
	v_fmac_f32_e32 v15, v16, v15
	s_delay_alu instid0(VALU_DEP_1) | instskip(NEXT) | instid1(VALU_DEP_1)
	v_mul_f32_e32 v16, v5, v15
	v_fma_f32 v17, -v14, v16, v5
	s_delay_alu instid0(VALU_DEP_1) | instskip(SKIP_1) | instid1(VALU_DEP_2)
	v_fmac_f32_e32 v16, v17, v15
	v_fma_f32 v17, 0x3fb8aa3b, |v12|, -v13
	v_fma_f32 v5, -v14, v16, v5
	s_delay_alu instid0(VALU_DEP_2) | instskip(NEXT) | instid1(VALU_DEP_2)
	v_fma_f32 v17, 0x32a5705f, |v12|, v17
	v_div_fmas_f32 v5, v5, v15, v16
	v_rndne_f32_e32 v16, v13
	v_cmp_ngt_f32_e64 vcc_lo, 0xc2ce8ed0, |v12|
	s_delay_alu instid0(VALU_DEP_3) | instskip(NEXT) | instid1(VALU_DEP_3)
	v_div_fixup_f32 v5, v5, |v12|, 0x42000000
	v_sub_f32_e32 v13, v13, v16
	v_cvt_i32_f32_e32 v16, v16
	s_delay_alu instid0(VALU_DEP_3) | instskip(NEXT) | instid1(VALU_DEP_3)
	v_add_f32_e32 v5, -2.0, v5
	v_add_f32_e32 v13, v13, v17
	s_delay_alu instid0(VALU_DEP_2) | instskip(NEXT) | instid1(VALU_DEP_2)
	v_fmaak_f32 v14, s1, v5, 0x22a2dc57
	v_exp_f32_e32 v13, v13
	v_cmp_nlt_f32_e64 s1, 0x42b17218, |v12|
	s_delay_alu instid0(VALU_DEP_2) | instskip(NEXT) | instid1(TRANS32_DEP_1)
	v_fmaak_f32 v15, v5, v14, 0xa30aab6e
	v_ldexp_f32 v13, v13, v16
	s_delay_alu instid0(VALU_DEP_2) | instskip(NEXT) | instid1(VALU_DEP_1)
	v_add_f32_e32 v15, 0xa456751e, v15
	v_dual_cndmask_b32 v13, 0, v13, vcc_lo :: v_dual_fma_f32 v14, v5, v15, -v14
	s_delay_alu instid0(VALU_DEP_1) | instskip(SKIP_1) | instid1(VALU_DEP_2)
	v_cndmask_b32_e64 v13, 0x7f800000, v13, s1
	s_mov_b32 s1, exec_lo
	v_add_f32_e32 v14, 0xa4140365, v14
	s_delay_alu instid0(VALU_DEP_1) | instskip(NEXT) | instid1(VALU_DEP_1)
	v_fma_f32 v15, v5, v14, -v15
	v_add_f32_e32 v15, 0x25aac8b0, v15
	s_delay_alu instid0(VALU_DEP_1) | instskip(NEXT) | instid1(VALU_DEP_1)
	v_fma_f32 v14, v5, v15, -v14
	;; [unrolled: 3-line block ×21, first 2 shown]
	v_add_f32_e32 v5, 0x3f4750c6, v5
	s_delay_alu instid0(VALU_DEP_1)
	v_sub_f32_e32 v14, v5, v15
	v_mul_f32_e64 v15, 0x4f800000, |v12|
	v_cmpx_ngt_f32_e32 0, v12
	s_xor_b32 s5, exec_lo, s1
                                        ; implicit-def: $vgpr5
	s_cbranch_execz .LBB10_32
; %bb.31:
	v_cmp_gt_f32_e64 vcc_lo, 0xf800000, |v12|
	v_mul_f32_e32 v14, 0.5, v14
	s_delay_alu instid0(VALU_DEP_2) | instskip(NEXT) | instid1(VALU_DEP_2)
	v_cndmask_b32_e64 v5, |v12|, v15, vcc_lo
	v_mul_f32_e32 v13, v13, v14
	s_delay_alu instid0(VALU_DEP_2) | instskip(SKIP_1) | instid1(TRANS32_DEP_1)
	v_sqrt_f32_e32 v12, v5
	v_nop
	v_dual_add_nc_u32 v15, -1, v12 :: v_dual_add_nc_u32 v16, 1, v12
	s_delay_alu instid0(VALU_DEP_1) | instskip(NEXT) | instid1(VALU_DEP_1)
	v_dual_fma_f32 v17, -v15, v12, v5 :: v_dual_fma_f32 v18, -v16, v12, v5
	v_cmp_ge_f32_e64 s1, 0, v17
	s_delay_alu instid0(VALU_DEP_1) | instskip(NEXT) | instid1(VALU_DEP_3)
	v_cndmask_b32_e64 v12, v12, v15, s1
	v_cmp_lt_f32_e64 s1, 0, v18
	s_delay_alu instid0(VALU_DEP_1) | instskip(NEXT) | instid1(VALU_DEP_1)
	v_cndmask_b32_e64 v12, v12, v16, s1
	v_mul_f32_e32 v15, 0x37800000, v12
	s_delay_alu instid0(VALU_DEP_1) | instskip(SKIP_1) | instid1(VALU_DEP_2)
	v_cndmask_b32_e32 v12, v12, v15, vcc_lo
	v_cmp_class_f32_e64 vcc_lo, v5, 0x260
	v_cndmask_b32_e32 v5, v12, v5, vcc_lo
	s_delay_alu instid0(VALU_DEP_1) | instskip(NEXT) | instid1(VALU_DEP_1)
	v_div_scale_f32 v12, null, v5, v5, v13
	v_rcp_f32_e32 v14, v12
	v_nop
	s_delay_alu instid0(TRANS32_DEP_1) | instskip(NEXT) | instid1(VALU_DEP_1)
	v_fma_f32 v15, -v12, v14, 1.0
	v_fmac_f32_e32 v14, v15, v14
	v_div_scale_f32 v15, vcc_lo, v13, v5, v13
	s_delay_alu instid0(VALU_DEP_1) | instskip(NEXT) | instid1(VALU_DEP_1)
	v_mul_f32_e32 v16, v15, v14
	v_fma_f32 v17, -v12, v16, v15
	s_delay_alu instid0(VALU_DEP_1) | instskip(NEXT) | instid1(VALU_DEP_1)
	v_fmac_f32_e32 v16, v17, v14
	v_fma_f32 v12, -v12, v16, v15
                                        ; implicit-def: $vgpr15
	s_delay_alu instid0(VALU_DEP_1) | instskip(NEXT) | instid1(VALU_DEP_1)
	v_div_fmas_f32 v12, v12, v14, v16
                                        ; implicit-def: $vgpr14
	v_div_fixup_f32 v5, v12, v5, v13
                                        ; implicit-def: $vgpr12
                                        ; implicit-def: $vgpr13
.LBB10_32:
	s_and_not1_saveexec_b32 s5, s5
	s_cbranch_execz .LBB10_34
; %bb.33:
	v_cmp_gt_f32_e64 vcc_lo, 0xf800000, |v12|
	v_mul_f32_e32 v14, -0.5, v14
	s_delay_alu instid0(VALU_DEP_2) | instskip(NEXT) | instid1(VALU_DEP_2)
	v_cndmask_b32_e64 v5, |v12|, v15, vcc_lo
	v_mul_f32_e32 v13, v13, v14
	s_delay_alu instid0(VALU_DEP_2) | instskip(SKIP_1) | instid1(TRANS32_DEP_1)
	v_sqrt_f32_e32 v12, v5
	v_nop
	v_dual_add_nc_u32 v15, -1, v12 :: v_dual_add_nc_u32 v16, 1, v12
	s_delay_alu instid0(VALU_DEP_1) | instskip(NEXT) | instid1(VALU_DEP_1)
	v_dual_fma_f32 v17, -v15, v12, v5 :: v_dual_fma_f32 v18, -v16, v12, v5
	v_cmp_ge_f32_e64 s1, 0, v17
	s_delay_alu instid0(VALU_DEP_1) | instskip(NEXT) | instid1(VALU_DEP_3)
	v_cndmask_b32_e64 v12, v12, v15, s1
	v_cmp_lt_f32_e64 s1, 0, v18
	s_delay_alu instid0(VALU_DEP_1) | instskip(NEXT) | instid1(VALU_DEP_1)
	v_cndmask_b32_e64 v12, v12, v16, s1
	v_mul_f32_e32 v15, 0x37800000, v12
	s_delay_alu instid0(VALU_DEP_1) | instskip(SKIP_1) | instid1(VALU_DEP_2)
	v_cndmask_b32_e32 v12, v12, v15, vcc_lo
	v_cmp_class_f32_e64 vcc_lo, v5, 0x260
	v_cndmask_b32_e32 v5, v12, v5, vcc_lo
	s_delay_alu instid0(VALU_DEP_1) | instskip(NEXT) | instid1(VALU_DEP_1)
	v_div_scale_f32 v12, null, v5, v5, v13
	v_rcp_f32_e32 v14, v12
	v_nop
	s_delay_alu instid0(TRANS32_DEP_1) | instskip(NEXT) | instid1(VALU_DEP_1)
	v_fma_f32 v15, -v12, v14, 1.0
	v_fmac_f32_e32 v14, v15, v14
	v_div_scale_f32 v15, vcc_lo, v13, v5, v13
	s_delay_alu instid0(VALU_DEP_1) | instskip(NEXT) | instid1(VALU_DEP_1)
	v_mul_f32_e32 v16, v15, v14
	v_fma_f32 v17, -v12, v16, v15
	s_delay_alu instid0(VALU_DEP_1) | instskip(NEXT) | instid1(VALU_DEP_1)
	v_fmac_f32_e32 v16, v17, v14
	v_fma_f32 v12, -v12, v16, v15
	s_delay_alu instid0(VALU_DEP_1) | instskip(NEXT) | instid1(VALU_DEP_1)
	v_div_fmas_f32 v12, v12, v14, v16
	v_div_fixup_f32 v5, v12, v5, v13
.LBB10_34:
	s_or_b32 exec_lo, exec_lo, s5
.LBB10_35:
	s_delay_alu instid0(SALU_CYCLE_1)
	s_or_b32 exec_lo, exec_lo, s4
.LBB10_36:
	s_delay_alu instid0(SALU_CYCLE_1) | instskip(SKIP_3) | instid1(VALU_DEP_1)
	s_or_b32 exec_lo, exec_lo, s3
	s_wait_loadcnt_dscnt 0x0
	v_add_nc_u32_e32 v12, 0x200, v7
	s_mov_b32 s3, exec_lo
	v_cmpx_lt_i32_e64 v12, v4
	s_cbranch_execz .LBB10_50
; %bb.37:
	v_mul_f32_e64 v12, 0x3fb8aa3b, |v11|
	s_mov_b32 s4, exec_lo
	v_cmpx_ge_f32_e64 0x41000000, |v11|
	s_xor_b32 s4, exec_lo, s4
                                        ; implicit-def: $vgpr6
	s_cbranch_execz .LBB10_43
; %bb.38:
	v_fma_f32 v6, |v11|, 0.5, -2.0
	s_mov_b32 s1, 0x224cf950
	v_rndne_f32_e32 v15, v12
	v_fma_f32 v16, 0x3fb8aa3b, |v11|, -v12
	v_cmp_ngt_f32_e64 vcc_lo, 0xc2ce8ed0, |v11|
	v_fmaak_f32 v13, s1, v6, 0xa3c2be86
	v_cmp_nlt_f32_e64 s1, 0x42b17218, |v11|
	v_sub_f32_e32 v12, v12, v15
	v_fma_f32 v16, 0x32a5705f, |v11|, v16
	s_delay_alu instid0(VALU_DEP_4) | instskip(NEXT) | instid1(VALU_DEP_2)
	v_fmaak_f32 v14, v6, v13, 0xa24cf950
	v_add_f32_e32 v12, v12, v16
	s_delay_alu instid0(VALU_DEP_2) | instskip(NEXT) | instid1(VALU_DEP_2)
	v_add_f32_e32 v14, 0x25331f1f, v14
	v_exp_f32_e32 v12, v12
	s_delay_alu instid0(VALU_DEP_1) | instskip(NEXT) | instid1(VALU_DEP_1)
	v_fma_f32 v13, v6, v14, -v13
	v_add_f32_e32 v13, 0xa69f5554, v13
	s_delay_alu instid0(VALU_DEP_1) | instskip(NEXT) | instid1(VALU_DEP_1)
	v_fma_f32 v14, v6, v13, -v14
	v_add_f32_e32 v14, 0x2808ebf8, v14
	;; [unrolled: 3-line block ×25, first 2 shown]
	s_delay_alu instid0(VALU_DEP_1) | instskip(SKIP_1) | instid1(VALU_DEP_2)
	v_fma_f32 v6, v6, v13, -v14
	v_cvt_i32_f32_e32 v13, v15
	v_add_f32_e32 v6, 0x3e81531c, v6
	s_delay_alu instid0(VALU_DEP_2) | instskip(NEXT) | instid1(VALU_DEP_1)
	v_ldexp_f32 v12, v12, v13
	v_dual_sub_f32 v6, v6, v14 :: v_dual_cndmask_b32 v13, 0, v12
	v_cmp_ngt_f32_e32 vcc_lo, 0, v11
	s_delay_alu instid0(VALU_DEP_2) | instskip(NEXT) | instid1(VALU_DEP_1)
	v_mul_f32_e32 v6, 0.5, v6
	v_mul_f32_e64 v12, |v11|, v6
	s_delay_alu instid0(VALU_DEP_4) | instskip(SKIP_1) | instid1(SALU_CYCLE_1)
	v_cndmask_b32_e64 v11, 0x7f800000, v13, s1
	s_and_saveexec_b32 s1, vcc_lo
	s_xor_b32 s1, exec_lo, s1
                                        ; implicit-def: $vgpr6
; %bb.39:
	s_delay_alu instid0(VALU_DEP_1)
	v_mul_f32_e32 v6, v11, v12
                                        ; implicit-def: $vgpr11
                                        ; implicit-def: $vgpr12
; %bb.40:
	s_and_not1_saveexec_b32 s1, s1
; %bb.41:
	v_mul_f32_e64 v6, v12, -v11
; %bb.42:
	s_or_b32 exec_lo, exec_lo, s1
                                        ; implicit-def: $vgpr11
                                        ; implicit-def: $vgpr12
.LBB10_43:
	s_and_not1_saveexec_b32 s4, s4
	s_cbranch_execz .LBB10_49
; %bb.44:
	v_and_b32_e32 v6, 0x7fffffff, v11
	s_mov_b32 s1, 0x230aab6e
	s_delay_alu instid0(VALU_DEP_1) | instskip(SKIP_1) | instid1(VALU_DEP_2)
	v_div_scale_f32 v13, null, v6, v6, 0x42000000
	v_div_scale_f32 v6, vcc_lo, 0x42000000, v6, 0x42000000
	v_rcp_f32_e32 v14, v13
	v_nop
	s_delay_alu instid0(TRANS32_DEP_1) | instskip(NEXT) | instid1(VALU_DEP_1)
	v_fma_f32 v15, -v13, v14, 1.0
	v_fmac_f32_e32 v14, v15, v14
	s_delay_alu instid0(VALU_DEP_1) | instskip(NEXT) | instid1(VALU_DEP_1)
	v_mul_f32_e32 v15, v6, v14
	v_fma_f32 v16, -v13, v15, v6
	s_delay_alu instid0(VALU_DEP_1) | instskip(SKIP_1) | instid1(VALU_DEP_2)
	v_fmac_f32_e32 v15, v16, v14
	v_fma_f32 v16, 0x3fb8aa3b, |v11|, -v12
	v_fma_f32 v6, -v13, v15, v6
	s_delay_alu instid0(VALU_DEP_2) | instskip(NEXT) | instid1(VALU_DEP_2)
	v_fma_f32 v16, 0x32a5705f, |v11|, v16
	v_div_fmas_f32 v6, v6, v14, v15
	v_rndne_f32_e32 v15, v12
	v_cmp_ngt_f32_e64 vcc_lo, 0xc2ce8ed0, |v11|
	s_delay_alu instid0(VALU_DEP_3) | instskip(NEXT) | instid1(VALU_DEP_3)
	v_div_fixup_f32 v6, v6, |v11|, 0x42000000
	v_sub_f32_e32 v12, v12, v15
	v_cvt_i32_f32_e32 v15, v15
	s_delay_alu instid0(VALU_DEP_2) | instskip(NEXT) | instid1(VALU_DEP_1)
	v_dual_add_f32 v6, -2.0, v6 :: v_dual_add_f32 v12, v12, v16
	v_fmaak_f32 v13, s1, v6, 0x22a2dc57
	v_cmp_nlt_f32_e64 s1, 0x42b17218, |v11|
	s_delay_alu instid0(VALU_DEP_3) | instskip(NEXT) | instid1(VALU_DEP_2)
	v_exp_f32_e32 v12, v12
	v_fmaak_f32 v14, v6, v13, 0xa30aab6e
	s_delay_alu instid0(TRANS32_DEP_1) | instskip(NEXT) | instid1(VALU_DEP_2)
	v_ldexp_f32 v12, v12, v15
	v_add_f32_e32 v14, 0xa456751e, v14
	s_delay_alu instid0(VALU_DEP_1) | instskip(NEXT) | instid1(VALU_DEP_1)
	v_dual_cndmask_b32 v12, 0, v12, vcc_lo :: v_dual_fma_f32 v13, v6, v14, -v13
	v_cndmask_b32_e64 v12, 0x7f800000, v12, s1
	s_delay_alu instid0(VALU_DEP_2) | instskip(SKIP_1) | instid1(VALU_DEP_1)
	v_add_f32_e32 v13, 0xa4140365, v13
	s_mov_b32 s1, exec_lo
	v_fma_f32 v14, v6, v13, -v14
	s_delay_alu instid0(VALU_DEP_1) | instskip(NEXT) | instid1(VALU_DEP_1)
	v_add_f32_e32 v14, 0x25aac8b0, v14
	v_fma_f32 v13, v6, v14, -v13
	s_delay_alu instid0(VALU_DEP_1) | instskip(NEXT) | instid1(VALU_DEP_1)
	v_add_f32_e32 v13, 0x25beb473, v13
	;; [unrolled: 3-line block ×21, first 2 shown]
	v_sub_f32_e32 v13, v6, v14
	v_mul_f32_e64 v14, 0x4f800000, |v11|
	v_cmpx_ngt_f32_e32 0, v11
	s_xor_b32 s5, exec_lo, s1
                                        ; implicit-def: $vgpr6
	s_cbranch_execz .LBB10_46
; %bb.45:
	v_cmp_gt_f32_e64 vcc_lo, 0xf800000, |v11|
	v_mul_f32_e32 v13, 0.5, v13
	s_delay_alu instid0(VALU_DEP_2) | instskip(NEXT) | instid1(VALU_DEP_2)
	v_cndmask_b32_e64 v6, |v11|, v14, vcc_lo
	v_mul_f32_e32 v12, v12, v13
	s_delay_alu instid0(VALU_DEP_2) | instskip(SKIP_1) | instid1(TRANS32_DEP_1)
	v_sqrt_f32_e32 v11, v6
	v_nop
	v_dual_add_nc_u32 v14, -1, v11 :: v_dual_add_nc_u32 v15, 1, v11
	s_delay_alu instid0(VALU_DEP_1) | instskip(NEXT) | instid1(VALU_DEP_1)
	v_dual_fma_f32 v16, -v14, v11, v6 :: v_dual_fma_f32 v17, -v15, v11, v6
	v_cmp_ge_f32_e64 s1, 0, v16
	s_delay_alu instid0(VALU_DEP_1) | instskip(NEXT) | instid1(VALU_DEP_3)
	v_cndmask_b32_e64 v11, v11, v14, s1
	v_cmp_lt_f32_e64 s1, 0, v17
	s_delay_alu instid0(VALU_DEP_1) | instskip(NEXT) | instid1(VALU_DEP_1)
	v_cndmask_b32_e64 v11, v11, v15, s1
	v_mul_f32_e32 v14, 0x37800000, v11
	s_delay_alu instid0(VALU_DEP_1) | instskip(SKIP_1) | instid1(VALU_DEP_2)
	v_cndmask_b32_e32 v11, v11, v14, vcc_lo
	v_cmp_class_f32_e64 vcc_lo, v6, 0x260
	v_cndmask_b32_e32 v6, v11, v6, vcc_lo
	s_delay_alu instid0(VALU_DEP_1) | instskip(NEXT) | instid1(VALU_DEP_1)
	v_div_scale_f32 v11, null, v6, v6, v12
	v_rcp_f32_e32 v13, v11
	v_nop
	s_delay_alu instid0(TRANS32_DEP_1) | instskip(NEXT) | instid1(VALU_DEP_1)
	v_fma_f32 v14, -v11, v13, 1.0
	v_fmac_f32_e32 v13, v14, v13
	v_div_scale_f32 v14, vcc_lo, v12, v6, v12
	s_delay_alu instid0(VALU_DEP_1) | instskip(NEXT) | instid1(VALU_DEP_1)
	v_mul_f32_e32 v15, v14, v13
	v_fma_f32 v16, -v11, v15, v14
	s_delay_alu instid0(VALU_DEP_1) | instskip(NEXT) | instid1(VALU_DEP_1)
	v_fmac_f32_e32 v15, v16, v13
	v_fma_f32 v11, -v11, v15, v14
                                        ; implicit-def: $vgpr14
	s_delay_alu instid0(VALU_DEP_1) | instskip(NEXT) | instid1(VALU_DEP_1)
	v_div_fmas_f32 v11, v11, v13, v15
                                        ; implicit-def: $vgpr13
	v_div_fixup_f32 v6, v11, v6, v12
                                        ; implicit-def: $vgpr11
                                        ; implicit-def: $vgpr12
.LBB10_46:
	s_and_not1_saveexec_b32 s5, s5
	s_cbranch_execz .LBB10_48
; %bb.47:
	v_cmp_gt_f32_e64 vcc_lo, 0xf800000, |v11|
	v_mul_f32_e32 v13, -0.5, v13
	s_delay_alu instid0(VALU_DEP_2) | instskip(NEXT) | instid1(VALU_DEP_2)
	v_cndmask_b32_e64 v6, |v11|, v14, vcc_lo
	v_mul_f32_e32 v12, v12, v13
	s_delay_alu instid0(VALU_DEP_2) | instskip(SKIP_1) | instid1(TRANS32_DEP_1)
	v_sqrt_f32_e32 v11, v6
	v_nop
	v_dual_add_nc_u32 v14, -1, v11 :: v_dual_add_nc_u32 v15, 1, v11
	s_delay_alu instid0(VALU_DEP_1) | instskip(NEXT) | instid1(VALU_DEP_1)
	v_dual_fma_f32 v16, -v14, v11, v6 :: v_dual_fma_f32 v17, -v15, v11, v6
	v_cmp_ge_f32_e64 s1, 0, v16
	s_delay_alu instid0(VALU_DEP_1) | instskip(NEXT) | instid1(VALU_DEP_3)
	v_cndmask_b32_e64 v11, v11, v14, s1
	v_cmp_lt_f32_e64 s1, 0, v17
	s_delay_alu instid0(VALU_DEP_1) | instskip(NEXT) | instid1(VALU_DEP_1)
	v_cndmask_b32_e64 v11, v11, v15, s1
	v_mul_f32_e32 v14, 0x37800000, v11
	s_delay_alu instid0(VALU_DEP_1) | instskip(SKIP_1) | instid1(VALU_DEP_2)
	v_cndmask_b32_e32 v11, v11, v14, vcc_lo
	v_cmp_class_f32_e64 vcc_lo, v6, 0x260
	v_cndmask_b32_e32 v6, v11, v6, vcc_lo
	s_delay_alu instid0(VALU_DEP_1) | instskip(NEXT) | instid1(VALU_DEP_1)
	v_div_scale_f32 v11, null, v6, v6, v12
	v_rcp_f32_e32 v13, v11
	v_nop
	s_delay_alu instid0(TRANS32_DEP_1) | instskip(NEXT) | instid1(VALU_DEP_1)
	v_fma_f32 v14, -v11, v13, 1.0
	v_fmac_f32_e32 v13, v14, v13
	v_div_scale_f32 v14, vcc_lo, v12, v6, v12
	s_delay_alu instid0(VALU_DEP_1) | instskip(NEXT) | instid1(VALU_DEP_1)
	v_mul_f32_e32 v15, v14, v13
	v_fma_f32 v16, -v11, v15, v14
	s_delay_alu instid0(VALU_DEP_1) | instskip(NEXT) | instid1(VALU_DEP_1)
	v_fmac_f32_e32 v15, v16, v13
	v_fma_f32 v11, -v11, v15, v14
	s_delay_alu instid0(VALU_DEP_1) | instskip(NEXT) | instid1(VALU_DEP_1)
	v_div_fmas_f32 v11, v11, v13, v15
	v_div_fixup_f32 v6, v11, v6, v12
.LBB10_48:
	s_or_b32 exec_lo, exec_lo, s5
.LBB10_49:
	s_delay_alu instid0(SALU_CYCLE_1)
	s_or_b32 exec_lo, exec_lo, s4
.LBB10_50:
	s_delay_alu instid0(SALU_CYCLE_1) | instskip(SKIP_2) | instid1(VALU_DEP_1)
	s_or_b32 exec_lo, exec_lo, s3
	v_add_nc_u32_e32 v11, 0x300, v7
	s_mov_b32 s3, exec_lo
	v_cmpx_lt_i32_e64 v11, v4
	s_cbranch_execnz .LBB10_56
; %bb.51:
	s_or_b32 exec_lo, exec_lo, s3
	s_and_saveexec_b32 s1, s0
	s_delay_alu instid0(SALU_CYCLE_1)
	s_xor_b32 s0, exec_lo, s1
	s_cbranch_execnz .LBB10_69
.LBB10_52:
	s_or_b32 exec_lo, exec_lo, s0
	s_delay_alu instid0(SALU_CYCLE_1)
	s_mov_b32 s0, exec_lo
	v_cmpx_lt_i32_e64 v7, v4
	s_cbranch_execnz .LBB10_70
.LBB10_53:
	s_or_b32 exec_lo, exec_lo, s0
	s_delay_alu instid0(SALU_CYCLE_1)
	s_mov_b32 s0, exec_lo
	v_cmpx_lt_i32_e64 v7, v4
	s_cbranch_execnz .LBB10_71
.LBB10_54:
	s_or_b32 exec_lo, exec_lo, s0
	s_delay_alu instid0(SALU_CYCLE_1)
	s_mov_b32 s0, exec_lo
	v_cmpx_lt_i32_e64 v7, v4
	s_cbranch_execnz .LBB10_72
.LBB10_55:
	s_or_b32 exec_lo, exec_lo, s0
	s_wait_dscnt 0x0
	s_set_pc_i64 s[30:31]
.LBB10_56:
	v_mul_f32_e64 v11, 0x3fb8aa3b, |v9|
	s_mov_b32 s4, exec_lo
	v_cmpx_ge_f32_e64 0x41000000, |v9|
	s_xor_b32 s4, exec_lo, s4
                                        ; implicit-def: $vgpr3
	s_cbranch_execz .LBB10_62
; %bb.57:
	v_fma_f32 v3, |v9|, 0.5, -2.0
	s_mov_b32 s1, 0x224cf950
	v_rndne_f32_e32 v14, v11
	v_fma_f32 v15, 0x3fb8aa3b, |v9|, -v11
	v_cmp_ngt_f32_e64 vcc_lo, 0xc2ce8ed0, |v9|
	v_fmaak_f32 v12, s1, v3, 0xa3c2be86
	v_cmp_nlt_f32_e64 s1, 0x42b17218, |v9|
	v_sub_f32_e32 v11, v11, v14
	v_fma_f32 v15, 0x32a5705f, |v9|, v15
	s_delay_alu instid0(VALU_DEP_4) | instskip(NEXT) | instid1(VALU_DEP_2)
	v_fmaak_f32 v13, v3, v12, 0xa24cf950
	v_add_f32_e32 v11, v11, v15
	s_delay_alu instid0(VALU_DEP_2) | instskip(NEXT) | instid1(VALU_DEP_2)
	v_add_f32_e32 v13, 0x25331f1f, v13
	v_exp_f32_e32 v11, v11
	s_delay_alu instid0(VALU_DEP_1) | instskip(NEXT) | instid1(VALU_DEP_1)
	v_fma_f32 v12, v3, v13, -v12
	v_add_f32_e32 v12, 0xa69f5554, v12
	s_delay_alu instid0(VALU_DEP_1) | instskip(NEXT) | instid1(VALU_DEP_1)
	v_fma_f32 v13, v3, v12, -v13
	v_add_f32_e32 v13, 0x2808ebf8, v13
	;; [unrolled: 3-line block ×25, first 2 shown]
	s_delay_alu instid0(VALU_DEP_1) | instskip(SKIP_1) | instid1(VALU_DEP_2)
	v_fma_f32 v3, v3, v12, -v13
	v_cvt_i32_f32_e32 v12, v14
	v_add_f32_e32 v3, 0x3e81531c, v3
	s_delay_alu instid0(VALU_DEP_2) | instskip(NEXT) | instid1(VALU_DEP_1)
	v_ldexp_f32 v11, v11, v12
	v_dual_sub_f32 v3, v3, v13 :: v_dual_cndmask_b32 v12, 0, v11
	v_cmp_ngt_f32_e32 vcc_lo, 0, v9
	s_delay_alu instid0(VALU_DEP_2) | instskip(NEXT) | instid1(VALU_DEP_1)
	v_mul_f32_e32 v3, 0.5, v3
	v_mul_f32_e64 v11, |v9|, v3
	s_delay_alu instid0(VALU_DEP_4) | instskip(SKIP_1) | instid1(SALU_CYCLE_1)
	v_cndmask_b32_e64 v9, 0x7f800000, v12, s1
	s_and_saveexec_b32 s1, vcc_lo
	s_xor_b32 s1, exec_lo, s1
                                        ; implicit-def: $vgpr3
; %bb.58:
	s_delay_alu instid0(VALU_DEP_1)
	v_mul_f32_e32 v3, v9, v11
                                        ; implicit-def: $vgpr9
                                        ; implicit-def: $vgpr11
; %bb.59:
	s_and_not1_saveexec_b32 s1, s1
; %bb.60:
	v_mul_f32_e64 v3, v11, -v9
; %bb.61:
	s_or_b32 exec_lo, exec_lo, s1
                                        ; implicit-def: $vgpr9
                                        ; implicit-def: $vgpr11
.LBB10_62:
	s_and_not1_saveexec_b32 s4, s4
	s_cbranch_execz .LBB10_68
; %bb.63:
	v_and_b32_e32 v3, 0x7fffffff, v9
	s_mov_b32 s1, 0x230aab6e
	s_delay_alu instid0(VALU_DEP_1) | instskip(SKIP_1) | instid1(VALU_DEP_2)
	v_div_scale_f32 v12, null, v3, v3, 0x42000000
	v_div_scale_f32 v3, vcc_lo, 0x42000000, v3, 0x42000000
	v_rcp_f32_e32 v13, v12
	v_nop
	s_delay_alu instid0(TRANS32_DEP_1) | instskip(NEXT) | instid1(VALU_DEP_1)
	v_fma_f32 v14, -v12, v13, 1.0
	v_fmac_f32_e32 v13, v14, v13
	s_delay_alu instid0(VALU_DEP_1) | instskip(NEXT) | instid1(VALU_DEP_1)
	v_mul_f32_e32 v14, v3, v13
	v_fma_f32 v15, -v12, v14, v3
	s_delay_alu instid0(VALU_DEP_1) | instskip(SKIP_1) | instid1(VALU_DEP_2)
	v_fmac_f32_e32 v14, v15, v13
	v_fma_f32 v15, 0x3fb8aa3b, |v9|, -v11
	v_fma_f32 v3, -v12, v14, v3
	s_delay_alu instid0(VALU_DEP_2) | instskip(NEXT) | instid1(VALU_DEP_2)
	v_fma_f32 v15, 0x32a5705f, |v9|, v15
	v_div_fmas_f32 v3, v3, v13, v14
	v_rndne_f32_e32 v14, v11
	v_cmp_ngt_f32_e64 vcc_lo, 0xc2ce8ed0, |v9|
	s_delay_alu instid0(VALU_DEP_3) | instskip(NEXT) | instid1(VALU_DEP_3)
	v_div_fixup_f32 v3, v3, |v9|, 0x42000000
	v_sub_f32_e32 v11, v11, v14
	v_cvt_i32_f32_e32 v14, v14
	s_delay_alu instid0(VALU_DEP_3) | instskip(NEXT) | instid1(VALU_DEP_3)
	v_add_f32_e32 v3, -2.0, v3
	v_add_f32_e32 v11, v11, v15
	s_delay_alu instid0(VALU_DEP_2) | instskip(NEXT) | instid1(VALU_DEP_2)
	v_fmaak_f32 v12, s1, v3, 0x22a2dc57
	v_exp_f32_e32 v11, v11
	v_cmp_nlt_f32_e64 s1, 0x42b17218, |v9|
	s_delay_alu instid0(VALU_DEP_2) | instskip(NEXT) | instid1(TRANS32_DEP_1)
	v_fmaak_f32 v13, v3, v12, 0xa30aab6e
	v_ldexp_f32 v11, v11, v14
	s_delay_alu instid0(VALU_DEP_2) | instskip(NEXT) | instid1(VALU_DEP_1)
	v_add_f32_e32 v13, 0xa456751e, v13
	v_dual_cndmask_b32 v11, 0, v11, vcc_lo :: v_dual_fma_f32 v12, v3, v13, -v12
	s_delay_alu instid0(VALU_DEP_1) | instskip(SKIP_1) | instid1(VALU_DEP_2)
	v_cndmask_b32_e64 v11, 0x7f800000, v11, s1
	s_mov_b32 s1, exec_lo
	v_add_f32_e32 v12, 0xa4140365, v12
	s_delay_alu instid0(VALU_DEP_1) | instskip(NEXT) | instid1(VALU_DEP_1)
	v_fma_f32 v13, v3, v12, -v13
	v_add_f32_e32 v13, 0x25aac8b0, v13
	s_delay_alu instid0(VALU_DEP_1) | instskip(NEXT) | instid1(VALU_DEP_1)
	v_fma_f32 v12, v3, v13, -v12
	;; [unrolled: 3-line block ×21, first 2 shown]
	v_add_f32_e32 v3, 0x3f4750c6, v3
	s_delay_alu instid0(VALU_DEP_1)
	v_sub_f32_e32 v12, v3, v13
	v_mul_f32_e64 v13, 0x4f800000, |v9|
	v_cmpx_ngt_f32_e32 0, v9
	s_xor_b32 s5, exec_lo, s1
                                        ; implicit-def: $vgpr3
	s_cbranch_execz .LBB10_65
; %bb.64:
	v_cmp_gt_f32_e64 vcc_lo, 0xf800000, |v9|
	v_mul_f32_e32 v12, 0.5, v12
	s_delay_alu instid0(VALU_DEP_2) | instskip(NEXT) | instid1(VALU_DEP_2)
	v_cndmask_b32_e64 v3, |v9|, v13, vcc_lo
	v_mul_f32_e32 v11, v11, v12
	s_delay_alu instid0(VALU_DEP_2) | instskip(SKIP_1) | instid1(TRANS32_DEP_1)
	v_sqrt_f32_e32 v9, v3
	v_nop
	v_dual_add_nc_u32 v13, -1, v9 :: v_dual_add_nc_u32 v14, 1, v9
	s_delay_alu instid0(VALU_DEP_1) | instskip(NEXT) | instid1(VALU_DEP_1)
	v_dual_fma_f32 v15, -v13, v9, v3 :: v_dual_fma_f32 v16, -v14, v9, v3
	v_cmp_ge_f32_e64 s1, 0, v15
	s_delay_alu instid0(VALU_DEP_1) | instskip(NEXT) | instid1(VALU_DEP_3)
	v_cndmask_b32_e64 v9, v9, v13, s1
	v_cmp_lt_f32_e64 s1, 0, v16
	s_delay_alu instid0(VALU_DEP_1) | instskip(NEXT) | instid1(VALU_DEP_1)
	v_cndmask_b32_e64 v9, v9, v14, s1
	v_mul_f32_e32 v13, 0x37800000, v9
	s_delay_alu instid0(VALU_DEP_1) | instskip(SKIP_1) | instid1(VALU_DEP_2)
	v_cndmask_b32_e32 v9, v9, v13, vcc_lo
	v_cmp_class_f32_e64 vcc_lo, v3, 0x260
	v_cndmask_b32_e32 v3, v9, v3, vcc_lo
	s_delay_alu instid0(VALU_DEP_1) | instskip(NEXT) | instid1(VALU_DEP_1)
	v_div_scale_f32 v9, null, v3, v3, v11
	v_rcp_f32_e32 v12, v9
	v_nop
	s_delay_alu instid0(TRANS32_DEP_1) | instskip(NEXT) | instid1(VALU_DEP_1)
	v_fma_f32 v13, -v9, v12, 1.0
	v_fmac_f32_e32 v12, v13, v12
	v_div_scale_f32 v13, vcc_lo, v11, v3, v11
	s_delay_alu instid0(VALU_DEP_1) | instskip(NEXT) | instid1(VALU_DEP_1)
	v_mul_f32_e32 v14, v13, v12
	v_fma_f32 v15, -v9, v14, v13
	s_delay_alu instid0(VALU_DEP_1) | instskip(NEXT) | instid1(VALU_DEP_1)
	v_fmac_f32_e32 v14, v15, v12
	v_fma_f32 v9, -v9, v14, v13
                                        ; implicit-def: $vgpr13
	s_delay_alu instid0(VALU_DEP_1) | instskip(NEXT) | instid1(VALU_DEP_1)
	v_div_fmas_f32 v9, v9, v12, v14
                                        ; implicit-def: $vgpr12
	v_div_fixup_f32 v3, v9, v3, v11
                                        ; implicit-def: $vgpr9
                                        ; implicit-def: $vgpr11
.LBB10_65:
	s_and_not1_saveexec_b32 s5, s5
	s_cbranch_execz .LBB10_67
; %bb.66:
	v_cmp_gt_f32_e64 vcc_lo, 0xf800000, |v9|
	v_mul_f32_e32 v12, -0.5, v12
	s_delay_alu instid0(VALU_DEP_2) | instskip(NEXT) | instid1(VALU_DEP_2)
	v_cndmask_b32_e64 v3, |v9|, v13, vcc_lo
	v_mul_f32_e32 v11, v11, v12
	s_delay_alu instid0(VALU_DEP_2) | instskip(SKIP_1) | instid1(TRANS32_DEP_1)
	v_sqrt_f32_e32 v9, v3
	v_nop
	v_dual_add_nc_u32 v13, -1, v9 :: v_dual_add_nc_u32 v14, 1, v9
	s_delay_alu instid0(VALU_DEP_1) | instskip(NEXT) | instid1(VALU_DEP_1)
	v_dual_fma_f32 v15, -v13, v9, v3 :: v_dual_fma_f32 v16, -v14, v9, v3
	v_cmp_ge_f32_e64 s1, 0, v15
	s_delay_alu instid0(VALU_DEP_1) | instskip(NEXT) | instid1(VALU_DEP_3)
	v_cndmask_b32_e64 v9, v9, v13, s1
	v_cmp_lt_f32_e64 s1, 0, v16
	s_delay_alu instid0(VALU_DEP_1) | instskip(NEXT) | instid1(VALU_DEP_1)
	v_cndmask_b32_e64 v9, v9, v14, s1
	v_mul_f32_e32 v13, 0x37800000, v9
	s_delay_alu instid0(VALU_DEP_1) | instskip(SKIP_1) | instid1(VALU_DEP_2)
	v_cndmask_b32_e32 v9, v9, v13, vcc_lo
	v_cmp_class_f32_e64 vcc_lo, v3, 0x260
	v_cndmask_b32_e32 v3, v9, v3, vcc_lo
	s_delay_alu instid0(VALU_DEP_1) | instskip(NEXT) | instid1(VALU_DEP_1)
	v_div_scale_f32 v9, null, v3, v3, v11
	v_rcp_f32_e32 v12, v9
	v_nop
	s_delay_alu instid0(TRANS32_DEP_1) | instskip(NEXT) | instid1(VALU_DEP_1)
	v_fma_f32 v13, -v9, v12, 1.0
	v_fmac_f32_e32 v12, v13, v12
	v_div_scale_f32 v13, vcc_lo, v11, v3, v11
	s_delay_alu instid0(VALU_DEP_1) | instskip(NEXT) | instid1(VALU_DEP_1)
	v_mul_f32_e32 v14, v13, v12
	v_fma_f32 v15, -v9, v14, v13
	s_delay_alu instid0(VALU_DEP_1) | instskip(NEXT) | instid1(VALU_DEP_1)
	v_fmac_f32_e32 v14, v15, v12
	v_fma_f32 v9, -v9, v14, v13
	s_delay_alu instid0(VALU_DEP_1) | instskip(NEXT) | instid1(VALU_DEP_1)
	v_div_fmas_f32 v9, v9, v12, v14
	v_div_fixup_f32 v3, v9, v3, v11
.LBB10_67:
	s_or_b32 exec_lo, exec_lo, s5
.LBB10_68:
	s_delay_alu instid0(SALU_CYCLE_1) | instskip(NEXT) | instid1(SALU_CYCLE_1)
	s_or_b32 exec_lo, exec_lo, s4
	s_or_b32 exec_lo, exec_lo, s3
	s_and_saveexec_b32 s1, s0
	s_delay_alu instid0(SALU_CYCLE_1)
	s_xor_b32 s0, exec_lo, s1
	s_cbranch_execz .LBB10_52
.LBB10_69:
	v_dual_mov_b32 v9, 0 :: v_dual_mov_b32 v7, v10
	s_delay_alu instid0(VALU_DEP_1) | instskip(SKIP_3) | instid1(SALU_CYCLE_1)
	v_lshl_add_u64 v[8:9], v[8:9], 2, v[0:1]
	flat_store_b32 v[8:9], v2
	s_wait_xcnt 0x0
	s_or_b32 exec_lo, exec_lo, s0
	s_mov_b32 s0, exec_lo
	v_cmpx_lt_i32_e64 v7, v4
	s_cbranch_execz .LBB10_53
.LBB10_70:
	v_dual_mov_b32 v9, 0 :: v_dual_add_nc_u32 v8, s2, v7
	v_add_nc_u32_e32 v7, 0x100, v7
	s_delay_alu instid0(VALU_DEP_2) | instskip(SKIP_3) | instid1(SALU_CYCLE_1)
	v_lshl_add_u64 v[8:9], v[8:9], 2, v[0:1]
	flat_store_b32 v[8:9], v5
	s_wait_xcnt 0x0
	s_or_b32 exec_lo, exec_lo, s0
	s_mov_b32 s0, exec_lo
	v_cmpx_lt_i32_e64 v7, v4
	s_cbranch_execz .LBB10_54
.LBB10_71:
	v_dual_mov_b32 v9, 0 :: v_dual_add_nc_u32 v8, s2, v7
	v_add_nc_u32_e32 v7, 0x100, v7
	s_delay_alu instid0(VALU_DEP_2) | instskip(SKIP_3) | instid1(SALU_CYCLE_1)
	v_lshl_add_u64 v[8:9], v[8:9], 2, v[0:1]
	flat_store_b32 v[8:9], v6
	s_wait_xcnt 0x0
	s_or_b32 exec_lo, exec_lo, s0
	s_mov_b32 s0, exec_lo
	v_cmpx_lt_i32_e64 v7, v4
	s_cbranch_execz .LBB10_55
.LBB10_72:
	v_dual_mov_b32 v5, 0 :: v_dual_add_nc_u32 v4, s2, v7
	s_delay_alu instid0(VALU_DEP_1)
	v_lshl_add_u64 v[0:1], v[4:5], 2, v[0:1]
	flat_store_b32 v[0:1], v3
	s_wait_xcnt 0x0
	s_or_b32 exec_lo, exec_lo, s0
	s_wait_dscnt 0x0
	s_set_pc_i64 s[30:31]
.Lfunc_end10:
	.size	_ZN2at6native25elementwise_kernel_helperILb0EZZZNS0_12_GLOBAL__N_130modified_bessel_i1_kernel_cudaERNS_18TensorIteratorBaseEENKUlvE_clEvENKUlvE0_clEvEUlfE_NS0_6memory8policies11unroll_baseILi256ESt5arrayIPcLm2EE23TrivialOffsetCalculatorILi1EjESF_NS8_15LoadWithoutCastENS8_16StoreWithoutCastELi4ELi1EEEEEvT0_T1_, .Lfunc_end10-_ZN2at6native25elementwise_kernel_helperILb0EZZZNS0_12_GLOBAL__N_130modified_bessel_i1_kernel_cudaERNS_18TensorIteratorBaseEENKUlvE_clEvENKUlvE0_clEvEUlfE_NS0_6memory8policies11unroll_baseILi256ESt5arrayIPcLm2EE23TrivialOffsetCalculatorILi1EjESF_NS8_15LoadWithoutCastENS8_16StoreWithoutCastELi4ELi1EEEEEvT0_T1_
                                        ; -- End function
	.set .L_ZN2at6native25elementwise_kernel_helperILb0EZZZNS0_12_GLOBAL__N_130modified_bessel_i1_kernel_cudaERNS_18TensorIteratorBaseEENKUlvE_clEvENKUlvE0_clEvEUlfE_NS0_6memory8policies11unroll_baseILi256ESt5arrayIPcLm2EE23TrivialOffsetCalculatorILi1EjESF_NS8_15LoadWithoutCastENS8_16StoreWithoutCastELi4ELi1EEEEEvT0_T1_.num_vgpr, 32
	.set .L_ZN2at6native25elementwise_kernel_helperILb0EZZZNS0_12_GLOBAL__N_130modified_bessel_i1_kernel_cudaERNS_18TensorIteratorBaseEENKUlvE_clEvENKUlvE0_clEvEUlfE_NS0_6memory8policies11unroll_baseILi256ESt5arrayIPcLm2EE23TrivialOffsetCalculatorILi1EjESF_NS8_15LoadWithoutCastENS8_16StoreWithoutCastELi4ELi1EEEEEvT0_T1_.num_agpr, 0
	.set .L_ZN2at6native25elementwise_kernel_helperILb0EZZZNS0_12_GLOBAL__N_130modified_bessel_i1_kernel_cudaERNS_18TensorIteratorBaseEENKUlvE_clEvENKUlvE0_clEvEUlfE_NS0_6memory8policies11unroll_baseILi256ESt5arrayIPcLm2EE23TrivialOffsetCalculatorILi1EjESF_NS8_15LoadWithoutCastENS8_16StoreWithoutCastELi4ELi1EEEEEvT0_T1_.numbered_sgpr, 32
	.set .L_ZN2at6native25elementwise_kernel_helperILb0EZZZNS0_12_GLOBAL__N_130modified_bessel_i1_kernel_cudaERNS_18TensorIteratorBaseEENKUlvE_clEvENKUlvE0_clEvEUlfE_NS0_6memory8policies11unroll_baseILi256ESt5arrayIPcLm2EE23TrivialOffsetCalculatorILi1EjESF_NS8_15LoadWithoutCastENS8_16StoreWithoutCastELi4ELi1EEEEEvT0_T1_.num_named_barrier, 0
	.set .L_ZN2at6native25elementwise_kernel_helperILb0EZZZNS0_12_GLOBAL__N_130modified_bessel_i1_kernel_cudaERNS_18TensorIteratorBaseEENKUlvE_clEvENKUlvE0_clEvEUlfE_NS0_6memory8policies11unroll_baseILi256ESt5arrayIPcLm2EE23TrivialOffsetCalculatorILi1EjESF_NS8_15LoadWithoutCastENS8_16StoreWithoutCastELi4ELi1EEEEEvT0_T1_.private_seg_size, 0
	.set .L_ZN2at6native25elementwise_kernel_helperILb0EZZZNS0_12_GLOBAL__N_130modified_bessel_i1_kernel_cudaERNS_18TensorIteratorBaseEENKUlvE_clEvENKUlvE0_clEvEUlfE_NS0_6memory8policies11unroll_baseILi256ESt5arrayIPcLm2EE23TrivialOffsetCalculatorILi1EjESF_NS8_15LoadWithoutCastENS8_16StoreWithoutCastELi4ELi1EEEEEvT0_T1_.uses_vcc, 1
	.set .L_ZN2at6native25elementwise_kernel_helperILb0EZZZNS0_12_GLOBAL__N_130modified_bessel_i1_kernel_cudaERNS_18TensorIteratorBaseEENKUlvE_clEvENKUlvE0_clEvEUlfE_NS0_6memory8policies11unroll_baseILi256ESt5arrayIPcLm2EE23TrivialOffsetCalculatorILi1EjESF_NS8_15LoadWithoutCastENS8_16StoreWithoutCastELi4ELi1EEEEEvT0_T1_.uses_flat_scratch, 0
	.set .L_ZN2at6native25elementwise_kernel_helperILb0EZZZNS0_12_GLOBAL__N_130modified_bessel_i1_kernel_cudaERNS_18TensorIteratorBaseEENKUlvE_clEvENKUlvE0_clEvEUlfE_NS0_6memory8policies11unroll_baseILi256ESt5arrayIPcLm2EE23TrivialOffsetCalculatorILi1EjESF_NS8_15LoadWithoutCastENS8_16StoreWithoutCastELi4ELi1EEEEEvT0_T1_.has_dyn_sized_stack, 0
	.set .L_ZN2at6native25elementwise_kernel_helperILb0EZZZNS0_12_GLOBAL__N_130modified_bessel_i1_kernel_cudaERNS_18TensorIteratorBaseEENKUlvE_clEvENKUlvE0_clEvEUlfE_NS0_6memory8policies11unroll_baseILi256ESt5arrayIPcLm2EE23TrivialOffsetCalculatorILi1EjESF_NS8_15LoadWithoutCastENS8_16StoreWithoutCastELi4ELi1EEEEEvT0_T1_.has_recursion, 0
	.set .L_ZN2at6native25elementwise_kernel_helperILb0EZZZNS0_12_GLOBAL__N_130modified_bessel_i1_kernel_cudaERNS_18TensorIteratorBaseEENKUlvE_clEvENKUlvE0_clEvEUlfE_NS0_6memory8policies11unroll_baseILi256ESt5arrayIPcLm2EE23TrivialOffsetCalculatorILi1EjESF_NS8_15LoadWithoutCastENS8_16StoreWithoutCastELi4ELi1EEEEEvT0_T1_.has_indirect_call, 0
	.section	.AMDGPU.csdata,"",@progbits
; Function info:
; codeLenInByte = 8872
; TotalNumSgprs: 34
; NumVgprs: 32
; ScratchSize: 0
; MemoryBound: 0
	.text
	.p2align	2                               ; -- Begin function _ZN2at6native25elementwise_kernel_helperILb0EZZZNS0_12_GLOBAL__N_130modified_bessel_i1_kernel_cudaERNS_18TensorIteratorBaseEENKUlvE_clEvENKUlvE0_clEvEUlfE_NS0_6memory8policies10vectorizedILi4ESt5arrayIPcLm2EELi4EEEEEvT0_T1_
	.type	_ZN2at6native25elementwise_kernel_helperILb0EZZZNS0_12_GLOBAL__N_130modified_bessel_i1_kernel_cudaERNS_18TensorIteratorBaseEENKUlvE_clEvENKUlvE0_clEvEUlfE_NS0_6memory8policies10vectorizedILi4ESt5arrayIPcLm2EELi4EEEEEvT0_T1_,@function
_ZN2at6native25elementwise_kernel_helperILb0EZZZNS0_12_GLOBAL__N_130modified_bessel_i1_kernel_cudaERNS_18TensorIteratorBaseEENKUlvE_clEvENKUlvE0_clEvEUlfE_NS0_6memory8policies10vectorizedILi4ESt5arrayIPcLm2EELi4EEEEEvT0_T1_: ; @_ZN2at6native25elementwise_kernel_helperILb0EZZZNS0_12_GLOBAL__N_130modified_bessel_i1_kernel_cudaERNS_18TensorIteratorBaseEENKUlvE_clEvENKUlvE0_clEvEUlfE_NS0_6memory8policies10vectorizedILi4ESt5arrayIPcLm2EELi4EEEEEvT0_T1_
; %bb.0:
	s_wait_loadcnt_dscnt 0x0
	s_wait_kmcnt 0x0
	s_bfe_u32 s0, ttmp6, 0x4000c
	s_and_b32 s1, ttmp6, 15
	s_add_co_i32 s0, s0, 1
	s_getreg_b32 s2, hwreg(HW_REG_IB_STS2, 6, 4)
	s_mul_i32 s0, ttmp9, s0
	v_and_b32_e32 v4, 0x3ff, v31
	s_add_co_i32 s1, s1, s0
	s_cmp_eq_u32 s2, 0
	v_mov_b32_e32 v11, 0
	s_cselect_b32 s0, ttmp9, s1
	v_lshlrev_b32_e32 v10, 4, v4
	s_lshl_b32 s2, s0, 10
	s_mov_b32 s1, exec_lo
	s_ashr_i32 s3, s2, 31
                                        ; implicit-def: $vgpr6
	s_delay_alu instid0(SALU_CYCLE_1) | instskip(NEXT) | instid1(VALU_DEP_1)
	v_lshl_add_u64 v[2:3], s[2:3], 2, v[2:3]
	v_add_nc_u64_e32 v[2:3], v[2:3], v[10:11]
	flat_load_b128 v[2:5], v[2:3]
	s_wait_loadcnt_dscnt 0x0
	v_mul_f32_e64 v7, 0x3fb8aa3b, |v2|
	s_wait_xcnt 0x0
	v_cmpx_ge_f32_e64 0x41000000, |v2|
	s_xor_b32 s1, exec_lo, s1
	s_cbranch_execz .LBB11_6
; %bb.1:
	v_fma_f32 v6, |v2|, 0.5, -2.0
	s_mov_b32 s0, 0x224cf950
	v_rndne_f32_e32 v11, v7
	v_fma_f32 v12, 0x3fb8aa3b, |v2|, -v7
	v_cmp_ngt_f32_e64 vcc_lo, 0xc2ce8ed0, |v2|
	v_fmaak_f32 v8, s0, v6, 0xa3c2be86
	v_cmp_nlt_f32_e64 s0, 0x42b17218, |v2|
	v_sub_f32_e32 v7, v7, v11
	v_fma_f32 v12, 0x32a5705f, |v2|, v12
	s_delay_alu instid0(VALU_DEP_4) | instskip(NEXT) | instid1(VALU_DEP_2)
	v_fmaak_f32 v9, v6, v8, 0xa24cf950
	v_add_f32_e32 v7, v7, v12
	s_delay_alu instid0(VALU_DEP_2) | instskip(NEXT) | instid1(VALU_DEP_2)
	v_add_f32_e32 v9, 0x25331f1f, v9
	v_exp_f32_e32 v7, v7
	s_delay_alu instid0(VALU_DEP_1) | instskip(NEXT) | instid1(VALU_DEP_1)
	v_fma_f32 v8, v6, v9, -v8
	v_add_f32_e32 v8, 0xa69f5554, v8
	s_delay_alu instid0(VALU_DEP_1) | instskip(NEXT) | instid1(VALU_DEP_1)
	v_fma_f32 v9, v6, v8, -v9
	v_add_f32_e32 v9, 0x2808ebf8, v9
	;; [unrolled: 3-line block ×25, first 2 shown]
	s_delay_alu instid0(VALU_DEP_1) | instskip(SKIP_1) | instid1(VALU_DEP_2)
	v_fma_f32 v6, v6, v8, -v9
	v_cvt_i32_f32_e32 v8, v11
	v_add_f32_e32 v6, 0x3e81531c, v6
	s_delay_alu instid0(VALU_DEP_2) | instskip(NEXT) | instid1(VALU_DEP_1)
	v_ldexp_f32 v7, v7, v8
	v_dual_sub_f32 v6, v6, v9 :: v_dual_cndmask_b32 v8, 0, v7, vcc_lo
	s_delay_alu instid0(VALU_DEP_1) | instskip(NEXT) | instid1(VALU_DEP_2)
	v_mul_f32_e32 v6, 0.5, v6
	v_cndmask_b32_e64 v8, 0x7f800000, v8, s0
	s_mov_b32 s0, exec_lo
	s_delay_alu instid0(VALU_DEP_2)
	v_mul_f32_e64 v7, |v2|, v6
                                        ; implicit-def: $vgpr6
	v_cmpx_ngt_f32_e32 0, v2
	s_xor_b32 s0, exec_lo, s0
; %bb.2:
	s_delay_alu instid0(VALU_DEP_2)
	v_mul_f32_e32 v6, v8, v7
                                        ; implicit-def: $vgpr8
                                        ; implicit-def: $vgpr7
; %bb.3:
	s_and_not1_saveexec_b32 s0, s0
; %bb.4:
	v_mul_f32_e64 v6, v7, -v8
; %bb.5:
	s_or_b32 exec_lo, exec_lo, s0
                                        ; implicit-def: $vgpr7
.LBB11_6:
	s_and_not1_saveexec_b32 s1, s1
	s_cbranch_execz .LBB11_12
; %bb.7:
	v_and_b32_e32 v6, 0x7fffffff, v2
	s_mov_b32 s0, 0x230aab6e
	s_delay_alu instid0(VALU_DEP_1) | instskip(SKIP_1) | instid1(VALU_DEP_2)
	v_div_scale_f32 v8, null, v6, v6, 0x42000000
	v_div_scale_f32 v6, vcc_lo, 0x42000000, v6, 0x42000000
	v_rcp_f32_e32 v9, v8
	v_nop
	s_delay_alu instid0(TRANS32_DEP_1) | instskip(NEXT) | instid1(VALU_DEP_1)
	v_fma_f32 v11, -v8, v9, 1.0
	v_fmac_f32_e32 v9, v11, v9
	s_delay_alu instid0(VALU_DEP_1) | instskip(NEXT) | instid1(VALU_DEP_1)
	v_mul_f32_e32 v11, v6, v9
	v_fma_f32 v12, -v8, v11, v6
	s_delay_alu instid0(VALU_DEP_1) | instskip(SKIP_1) | instid1(VALU_DEP_2)
	v_fmac_f32_e32 v11, v12, v9
	v_fma_f32 v12, 0x3fb8aa3b, |v2|, -v7
	v_fma_f32 v6, -v8, v11, v6
	s_delay_alu instid0(VALU_DEP_2) | instskip(NEXT) | instid1(VALU_DEP_2)
	v_fma_f32 v12, 0x32a5705f, |v2|, v12
	v_div_fmas_f32 v6, v6, v9, v11
	v_rndne_f32_e32 v11, v7
	v_cmp_ngt_f32_e64 vcc_lo, 0xc2ce8ed0, |v2|
	s_delay_alu instid0(VALU_DEP_3) | instskip(NEXT) | instid1(VALU_DEP_3)
	v_div_fixup_f32 v6, v6, |v2|, 0x42000000
	v_sub_f32_e32 v7, v7, v11
	v_cvt_i32_f32_e32 v11, v11
	s_delay_alu instid0(VALU_DEP_2) | instskip(NEXT) | instid1(VALU_DEP_1)
	v_dual_add_f32 v6, -2.0, v6 :: v_dual_add_f32 v7, v7, v12
	v_fmaak_f32 v8, s0, v6, 0x22a2dc57
	v_cmp_nlt_f32_e64 s0, 0x42b17218, |v2|
	s_delay_alu instid0(VALU_DEP_3) | instskip(NEXT) | instid1(VALU_DEP_2)
	v_exp_f32_e32 v7, v7
	v_fmaak_f32 v9, v6, v8, 0xa30aab6e
	s_delay_alu instid0(TRANS32_DEP_1) | instskip(NEXT) | instid1(VALU_DEP_2)
	v_ldexp_f32 v7, v7, v11
	v_add_f32_e32 v9, 0xa456751e, v9
	s_delay_alu instid0(VALU_DEP_1) | instskip(NEXT) | instid1(VALU_DEP_1)
	v_dual_cndmask_b32 v7, 0, v7, vcc_lo :: v_dual_fma_f32 v8, v6, v9, -v8
	v_cndmask_b32_e64 v7, 0x7f800000, v7, s0
	s_delay_alu instid0(VALU_DEP_2) | instskip(SKIP_1) | instid1(VALU_DEP_1)
	v_add_f32_e32 v8, 0xa4140365, v8
	s_mov_b32 s0, exec_lo
	v_fma_f32 v9, v6, v8, -v9
	s_delay_alu instid0(VALU_DEP_1) | instskip(NEXT) | instid1(VALU_DEP_1)
	v_add_f32_e32 v9, 0x25aac8b0, v9
	v_fma_f32 v8, v6, v9, -v8
	s_delay_alu instid0(VALU_DEP_1) | instskip(NEXT) | instid1(VALU_DEP_1)
	v_add_f32_e32 v8, 0x25beb473, v8
	;; [unrolled: 3-line block ×21, first 2 shown]
	v_sub_f32_e32 v8, v6, v9
	v_mul_f32_e64 v9, 0x4f800000, |v2|
                                        ; implicit-def: $vgpr6
	v_cmpx_ngt_f32_e32 0, v2
	s_xor_b32 s4, exec_lo, s0
	s_cbranch_execz .LBB11_9
; %bb.8:
	v_cmp_gt_f32_e64 vcc_lo, 0xf800000, |v2|
	v_mul_f32_e32 v8, 0.5, v8
	s_delay_alu instid0(VALU_DEP_2) | instskip(NEXT) | instid1(VALU_DEP_2)
	v_cndmask_b32_e64 v6, |v2|, v9, vcc_lo
	v_mul_f32_e32 v7, v7, v8
	s_delay_alu instid0(VALU_DEP_2) | instskip(SKIP_1) | instid1(TRANS32_DEP_1)
	v_sqrt_f32_e32 v9, v6
	v_nop
	v_dual_add_nc_u32 v11, -1, v9 :: v_dual_add_nc_u32 v12, 1, v9
	s_delay_alu instid0(VALU_DEP_1) | instskip(NEXT) | instid1(VALU_DEP_1)
	v_dual_fma_f32 v13, -v11, v9, v6 :: v_dual_fma_f32 v14, -v12, v9, v6
	v_cmp_ge_f32_e64 s0, 0, v13
	s_delay_alu instid0(VALU_DEP_1) | instskip(NEXT) | instid1(VALU_DEP_3)
	v_cndmask_b32_e64 v9, v9, v11, s0
	v_cmp_lt_f32_e64 s0, 0, v14
	s_delay_alu instid0(VALU_DEP_1) | instskip(NEXT) | instid1(VALU_DEP_1)
	v_cndmask_b32_e64 v9, v9, v12, s0
	v_mul_f32_e32 v11, 0x37800000, v9
	s_delay_alu instid0(VALU_DEP_1) | instskip(SKIP_1) | instid1(VALU_DEP_2)
	v_cndmask_b32_e32 v9, v9, v11, vcc_lo
	v_cmp_class_f32_e64 vcc_lo, v6, 0x260
	v_cndmask_b32_e32 v6, v9, v6, vcc_lo
	s_delay_alu instid0(VALU_DEP_1) | instskip(NEXT) | instid1(VALU_DEP_1)
	v_div_scale_f32 v8, null, v6, v6, v7
	v_rcp_f32_e32 v9, v8
	v_nop
	s_delay_alu instid0(TRANS32_DEP_1) | instskip(NEXT) | instid1(VALU_DEP_1)
	v_fma_f32 v11, -v8, v9, 1.0
	v_fmac_f32_e32 v9, v11, v9
	v_div_scale_f32 v11, vcc_lo, v7, v6, v7
	s_delay_alu instid0(VALU_DEP_1) | instskip(NEXT) | instid1(VALU_DEP_1)
	v_mul_f32_e32 v12, v11, v9
	v_fma_f32 v13, -v8, v12, v11
	s_delay_alu instid0(VALU_DEP_1) | instskip(NEXT) | instid1(VALU_DEP_1)
	v_fmac_f32_e32 v12, v13, v9
	v_fma_f32 v8, -v8, v12, v11
	s_delay_alu instid0(VALU_DEP_1) | instskip(NEXT) | instid1(VALU_DEP_1)
	v_div_fmas_f32 v8, v8, v9, v12
                                        ; implicit-def: $vgpr9
	v_div_fixup_f32 v6, v8, v6, v7
                                        ; implicit-def: $vgpr8
                                        ; implicit-def: $vgpr7
.LBB11_9:
	s_and_not1_saveexec_b32 s4, s4
	s_cbranch_execz .LBB11_11
; %bb.10:
	v_cmp_gt_f32_e64 vcc_lo, 0xf800000, |v2|
	v_mul_f32_e32 v8, -0.5, v8
	s_delay_alu instid0(VALU_DEP_2) | instskip(NEXT) | instid1(VALU_DEP_2)
	v_cndmask_b32_e64 v2, |v2|, v9, vcc_lo
	v_mul_f32_e32 v7, v7, v8
	s_delay_alu instid0(VALU_DEP_2) | instskip(SKIP_1) | instid1(TRANS32_DEP_1)
	v_sqrt_f32_e32 v6, v2
	v_nop
	v_dual_add_nc_u32 v9, -1, v6 :: v_dual_add_nc_u32 v11, 1, v6
	s_delay_alu instid0(VALU_DEP_1) | instskip(NEXT) | instid1(VALU_DEP_1)
	v_dual_fma_f32 v12, -v9, v6, v2 :: v_dual_fma_f32 v13, -v11, v6, v2
	v_cmp_ge_f32_e64 s0, 0, v12
	s_delay_alu instid0(VALU_DEP_1) | instskip(NEXT) | instid1(VALU_DEP_3)
	v_cndmask_b32_e64 v6, v6, v9, s0
	v_cmp_lt_f32_e64 s0, 0, v13
	s_delay_alu instid0(VALU_DEP_1) | instskip(NEXT) | instid1(VALU_DEP_1)
	v_cndmask_b32_e64 v6, v6, v11, s0
	v_mul_f32_e32 v9, 0x37800000, v6
	s_delay_alu instid0(VALU_DEP_1) | instskip(SKIP_1) | instid1(VALU_DEP_2)
	v_cndmask_b32_e32 v6, v6, v9, vcc_lo
	v_cmp_class_f32_e64 vcc_lo, v2, 0x260
	v_cndmask_b32_e32 v2, v6, v2, vcc_lo
	s_delay_alu instid0(VALU_DEP_1) | instskip(NEXT) | instid1(VALU_DEP_1)
	v_div_scale_f32 v6, null, v2, v2, v7
	v_rcp_f32_e32 v8, v6
	v_nop
	s_delay_alu instid0(TRANS32_DEP_1) | instskip(NEXT) | instid1(VALU_DEP_1)
	v_fma_f32 v9, -v6, v8, 1.0
	v_fmac_f32_e32 v8, v9, v8
	v_div_scale_f32 v9, vcc_lo, v7, v2, v7
	s_delay_alu instid0(VALU_DEP_1) | instskip(NEXT) | instid1(VALU_DEP_1)
	v_mul_f32_e32 v11, v9, v8
	v_fma_f32 v12, -v6, v11, v9
	s_delay_alu instid0(VALU_DEP_1) | instskip(NEXT) | instid1(VALU_DEP_1)
	v_fmac_f32_e32 v11, v12, v8
	v_fma_f32 v6, -v6, v11, v9
	s_delay_alu instid0(VALU_DEP_1) | instskip(NEXT) | instid1(VALU_DEP_1)
	v_div_fmas_f32 v6, v6, v8, v11
	v_div_fixup_f32 v6, v6, v2, v7
.LBB11_11:
	s_or_b32 exec_lo, exec_lo, s4
.LBB11_12:
	s_delay_alu instid0(SALU_CYCLE_1)
	s_or_b32 exec_lo, exec_lo, s1
	v_mul_f32_e64 v2, 0x3fb8aa3b, |v3|
	s_mov_b32 s1, exec_lo
	v_cmpx_ge_f32_e64 0x41000000, |v3|
	s_xor_b32 s1, exec_lo, s1
	s_cbranch_execz .LBB11_18
; %bb.13:
	v_fma_f32 v7, |v3|, 0.5, -2.0
	s_mov_b32 s0, 0x224cf950
	v_rndne_f32_e32 v11, v2
	v_fma_f32 v12, 0x3fb8aa3b, |v3|, -v2
	v_cmp_ngt_f32_e64 vcc_lo, 0xc2ce8ed0, |v3|
	v_fmaak_f32 v8, s0, v7, 0xa3c2be86
	v_cmp_nlt_f32_e64 s0, 0x42b17218, |v3|
	v_sub_f32_e32 v2, v2, v11
	v_fma_f32 v12, 0x32a5705f, |v3|, v12
	s_delay_alu instid0(VALU_DEP_4) | instskip(NEXT) | instid1(VALU_DEP_1)
	v_fmaak_f32 v9, v7, v8, 0xa24cf950
	v_dual_add_f32 v2, v2, v12 :: v_dual_add_f32 v9, 0x25331f1f, v9
	s_delay_alu instid0(VALU_DEP_1) | instskip(NEXT) | instid1(VALU_DEP_1)
	v_exp_f32_e32 v2, v2
	v_fma_f32 v8, v7, v9, -v8
	s_delay_alu instid0(VALU_DEP_1) | instskip(NEXT) | instid1(VALU_DEP_1)
	v_add_f32_e32 v8, 0xa69f5554, v8
	v_fma_f32 v9, v7, v8, -v9
	s_delay_alu instid0(VALU_DEP_1) | instskip(NEXT) | instid1(VALU_DEP_1)
	v_add_f32_e32 v9, 0x2808ebf8, v9
	;; [unrolled: 3-line block ×25, first 2 shown]
	v_fma_f32 v7, v7, v8, -v9
	v_cvt_i32_f32_e32 v8, v11
	s_delay_alu instid0(VALU_DEP_2) | instskip(NEXT) | instid1(VALU_DEP_2)
	v_add_f32_e32 v7, 0x3e81531c, v7
	v_ldexp_f32 v2, v2, v8
	s_delay_alu instid0(VALU_DEP_1) | instskip(NEXT) | instid1(VALU_DEP_1)
	v_dual_sub_f32 v7, v7, v9 :: v_dual_cndmask_b32 v8, 0, v2
	v_mul_f32_e32 v7, 0.5, v7
	s_delay_alu instid0(VALU_DEP_2) | instskip(SKIP_1) | instid1(VALU_DEP_2)
	v_cndmask_b32_e64 v8, 0x7f800000, v8, s0
	s_mov_b32 s0, exec_lo
	v_mul_f32_e64 v2, |v3|, v7
	v_cmpx_ngt_f32_e32 0, v3
	s_xor_b32 s0, exec_lo, s0
; %bb.14:
	s_delay_alu instid0(VALU_DEP_2)
	v_mul_f32_e32 v7, v8, v2
                                        ; implicit-def: $vgpr8
                                        ; implicit-def: $vgpr2
; %bb.15:
	s_and_not1_saveexec_b32 s0, s0
; %bb.16:
	v_mul_f32_e64 v7, v2, -v8
; %bb.17:
	s_or_b32 exec_lo, exec_lo, s0
                                        ; implicit-def: $vgpr2
.LBB11_18:
	s_and_not1_saveexec_b32 s1, s1
	s_cbranch_execz .LBB11_24
; %bb.19:
	v_and_b32_e32 v7, 0x7fffffff, v3
	s_mov_b32 s0, 0x230aab6e
	s_delay_alu instid0(VALU_DEP_1) | instskip(SKIP_1) | instid1(VALU_DEP_2)
	v_div_scale_f32 v8, null, v7, v7, 0x42000000
	v_div_scale_f32 v7, vcc_lo, 0x42000000, v7, 0x42000000
	v_rcp_f32_e32 v9, v8
	v_nop
	s_delay_alu instid0(TRANS32_DEP_1) | instskip(NEXT) | instid1(VALU_DEP_1)
	v_fma_f32 v11, -v8, v9, 1.0
	v_fmac_f32_e32 v9, v11, v9
	s_delay_alu instid0(VALU_DEP_1) | instskip(NEXT) | instid1(VALU_DEP_1)
	v_mul_f32_e32 v11, v7, v9
	v_fma_f32 v12, -v8, v11, v7
	s_delay_alu instid0(VALU_DEP_1) | instskip(SKIP_1) | instid1(VALU_DEP_2)
	v_fmac_f32_e32 v11, v12, v9
	v_fma_f32 v12, 0x3fb8aa3b, |v3|, -v2
	v_fma_f32 v7, -v8, v11, v7
	s_delay_alu instid0(VALU_DEP_2) | instskip(NEXT) | instid1(VALU_DEP_2)
	v_fma_f32 v12, 0x32a5705f, |v3|, v12
	v_div_fmas_f32 v7, v7, v9, v11
	v_rndne_f32_e32 v11, v2
	v_cmp_ngt_f32_e64 vcc_lo, 0xc2ce8ed0, |v3|
	s_delay_alu instid0(VALU_DEP_3) | instskip(NEXT) | instid1(VALU_DEP_3)
	v_div_fixup_f32 v7, v7, |v3|, 0x42000000
	v_sub_f32_e32 v2, v2, v11
	v_cvt_i32_f32_e32 v11, v11
	s_delay_alu instid0(VALU_DEP_2) | instskip(NEXT) | instid1(VALU_DEP_1)
	v_dual_add_f32 v7, -2.0, v7 :: v_dual_add_f32 v2, v2, v12
	v_fmaak_f32 v8, s0, v7, 0x22a2dc57
	s_delay_alu instid0(VALU_DEP_2) | instskip(SKIP_1) | instid1(TRANS32_DEP_1)
	v_exp_f32_e32 v2, v2
	v_cmp_nlt_f32_e64 s0, 0x42b17218, |v3|
	v_ldexp_f32 v2, v2, v11
	s_delay_alu instid0(VALU_DEP_1) | instskip(NEXT) | instid1(VALU_DEP_1)
	v_dual_fmaak_f32 v9, v7, v8, 0xa30aab6e :: v_dual_cndmask_b32 v2, 0, v2
	v_add_f32_e32 v9, 0xa456751e, v9
	s_delay_alu instid0(VALU_DEP_2) | instskip(NEXT) | instid1(VALU_DEP_2)
	v_cndmask_b32_e64 v2, 0x7f800000, v2, s0
	v_fma_f32 v8, v7, v9, -v8
	s_mov_b32 s0, exec_lo
	s_delay_alu instid0(VALU_DEP_1) | instskip(NEXT) | instid1(VALU_DEP_1)
	v_add_f32_e32 v8, 0xa4140365, v8
	v_fma_f32 v9, v7, v8, -v9
	s_delay_alu instid0(VALU_DEP_1) | instskip(NEXT) | instid1(VALU_DEP_1)
	v_add_f32_e32 v9, 0x25aac8b0, v9
	v_fma_f32 v8, v7, v9, -v8
	;; [unrolled: 3-line block ×21, first 2 shown]
	s_delay_alu instid0(VALU_DEP_1) | instskip(NEXT) | instid1(VALU_DEP_1)
	v_add_f32_e32 v7, 0x3f4750c6, v7
	v_sub_f32_e32 v8, v7, v9
	v_mul_f32_e64 v9, 0x4f800000, |v3|
	v_cmpx_ngt_f32_e32 0, v3
	s_xor_b32 s4, exec_lo, s0
	s_cbranch_execz .LBB11_21
; %bb.20:
	v_cmp_gt_f32_e64 vcc_lo, 0xf800000, |v3|
	v_mul_f32_e32 v8, 0.5, v8
	s_delay_alu instid0(VALU_DEP_2) | instskip(NEXT) | instid1(VALU_DEP_2)
	v_cndmask_b32_e64 v7, |v3|, v9, vcc_lo
	v_mul_f32_e32 v2, v2, v8
	s_delay_alu instid0(VALU_DEP_2) | instskip(SKIP_1) | instid1(TRANS32_DEP_1)
	v_sqrt_f32_e32 v9, v7
	v_nop
	v_dual_add_nc_u32 v11, -1, v9 :: v_dual_add_nc_u32 v12, 1, v9
	s_delay_alu instid0(VALU_DEP_1) | instskip(NEXT) | instid1(VALU_DEP_1)
	v_dual_fma_f32 v13, -v11, v9, v7 :: v_dual_fma_f32 v14, -v12, v9, v7
	v_cmp_ge_f32_e64 s0, 0, v13
	s_delay_alu instid0(VALU_DEP_1) | instskip(NEXT) | instid1(VALU_DEP_3)
	v_cndmask_b32_e64 v9, v9, v11, s0
	v_cmp_lt_f32_e64 s0, 0, v14
	s_delay_alu instid0(VALU_DEP_1) | instskip(NEXT) | instid1(VALU_DEP_1)
	v_cndmask_b32_e64 v9, v9, v12, s0
	v_mul_f32_e32 v11, 0x37800000, v9
	s_delay_alu instid0(VALU_DEP_1) | instskip(SKIP_1) | instid1(VALU_DEP_2)
	v_cndmask_b32_e32 v9, v9, v11, vcc_lo
	v_cmp_class_f32_e64 vcc_lo, v7, 0x260
	v_cndmask_b32_e32 v7, v9, v7, vcc_lo
	s_delay_alu instid0(VALU_DEP_1) | instskip(NEXT) | instid1(VALU_DEP_1)
	v_div_scale_f32 v8, null, v7, v7, v2
	v_rcp_f32_e32 v9, v8
	v_nop
	s_delay_alu instid0(TRANS32_DEP_1) | instskip(NEXT) | instid1(VALU_DEP_1)
	v_fma_f32 v11, -v8, v9, 1.0
	v_fmac_f32_e32 v9, v11, v9
	v_div_scale_f32 v11, vcc_lo, v2, v7, v2
	s_delay_alu instid0(VALU_DEP_1) | instskip(NEXT) | instid1(VALU_DEP_1)
	v_mul_f32_e32 v12, v11, v9
	v_fma_f32 v13, -v8, v12, v11
	s_delay_alu instid0(VALU_DEP_1) | instskip(NEXT) | instid1(VALU_DEP_1)
	v_fmac_f32_e32 v12, v13, v9
	v_fma_f32 v8, -v8, v12, v11
	s_delay_alu instid0(VALU_DEP_1) | instskip(NEXT) | instid1(VALU_DEP_1)
	v_div_fmas_f32 v8, v8, v9, v12
                                        ; implicit-def: $vgpr9
	v_div_fixup_f32 v7, v8, v7, v2
                                        ; implicit-def: $vgpr8
                                        ; implicit-def: $vgpr2
.LBB11_21:
	s_and_not1_saveexec_b32 s4, s4
	s_cbranch_execz .LBB11_23
; %bb.22:
	v_cmp_gt_f32_e64 vcc_lo, 0xf800000, |v3|
	v_mul_f32_e32 v8, -0.5, v8
	s_delay_alu instid0(VALU_DEP_2) | instskip(NEXT) | instid1(VALU_DEP_2)
	v_cndmask_b32_e64 v3, |v3|, v9, vcc_lo
	v_mul_f32_e32 v2, v2, v8
	s_delay_alu instid0(VALU_DEP_2) | instskip(SKIP_1) | instid1(TRANS32_DEP_1)
	v_sqrt_f32_e32 v7, v3
	v_nop
	v_dual_add_nc_u32 v9, -1, v7 :: v_dual_add_nc_u32 v11, 1, v7
	s_delay_alu instid0(VALU_DEP_1) | instskip(NEXT) | instid1(VALU_DEP_1)
	v_dual_fma_f32 v12, -v9, v7, v3 :: v_dual_fma_f32 v13, -v11, v7, v3
	v_cmp_ge_f32_e64 s0, 0, v12
	s_delay_alu instid0(VALU_DEP_1) | instskip(NEXT) | instid1(VALU_DEP_3)
	v_cndmask_b32_e64 v7, v7, v9, s0
	v_cmp_lt_f32_e64 s0, 0, v13
	s_delay_alu instid0(VALU_DEP_1) | instskip(NEXT) | instid1(VALU_DEP_1)
	v_cndmask_b32_e64 v7, v7, v11, s0
	v_mul_f32_e32 v9, 0x37800000, v7
	s_delay_alu instid0(VALU_DEP_1) | instskip(SKIP_1) | instid1(VALU_DEP_2)
	v_cndmask_b32_e32 v7, v7, v9, vcc_lo
	v_cmp_class_f32_e64 vcc_lo, v3, 0x260
	v_cndmask_b32_e32 v3, v7, v3, vcc_lo
	s_delay_alu instid0(VALU_DEP_1) | instskip(NEXT) | instid1(VALU_DEP_1)
	v_div_scale_f32 v7, null, v3, v3, v2
	v_rcp_f32_e32 v8, v7
	v_nop
	s_delay_alu instid0(TRANS32_DEP_1) | instskip(NEXT) | instid1(VALU_DEP_1)
	v_fma_f32 v9, -v7, v8, 1.0
	v_fmac_f32_e32 v8, v9, v8
	v_div_scale_f32 v9, vcc_lo, v2, v3, v2
	s_delay_alu instid0(VALU_DEP_1) | instskip(NEXT) | instid1(VALU_DEP_1)
	v_mul_f32_e32 v11, v9, v8
	v_fma_f32 v12, -v7, v11, v9
	s_delay_alu instid0(VALU_DEP_1) | instskip(NEXT) | instid1(VALU_DEP_1)
	v_fmac_f32_e32 v11, v12, v8
	v_fma_f32 v7, -v7, v11, v9
	s_delay_alu instid0(VALU_DEP_1) | instskip(NEXT) | instid1(VALU_DEP_1)
	v_div_fmas_f32 v7, v7, v8, v11
	v_div_fixup_f32 v7, v7, v3, v2
.LBB11_23:
	s_or_b32 exec_lo, exec_lo, s4
.LBB11_24:
	s_delay_alu instid0(SALU_CYCLE_1)
	s_or_b32 exec_lo, exec_lo, s1
	v_mul_f32_e64 v2, 0x3fb8aa3b, |v4|
	s_mov_b32 s1, exec_lo
	v_cmpx_ge_f32_e64 0x41000000, |v4|
	s_xor_b32 s1, exec_lo, s1
	s_cbranch_execz .LBB11_30
; %bb.25:
	v_fma_f32 v3, |v4|, 0.5, -2.0
	s_mov_b32 s0, 0x224cf950
	v_rndne_f32_e32 v11, v2
	v_fma_f32 v12, 0x3fb8aa3b, |v4|, -v2
	v_cmp_ngt_f32_e64 vcc_lo, 0xc2ce8ed0, |v4|
	v_fmaak_f32 v8, s0, v3, 0xa3c2be86
	v_cmp_nlt_f32_e64 s0, 0x42b17218, |v4|
	v_sub_f32_e32 v2, v2, v11
	v_fma_f32 v12, 0x32a5705f, |v4|, v12
	s_delay_alu instid0(VALU_DEP_4) | instskip(NEXT) | instid1(VALU_DEP_1)
	v_fmaak_f32 v9, v3, v8, 0xa24cf950
	v_dual_add_f32 v2, v2, v12 :: v_dual_add_f32 v9, 0x25331f1f, v9
	s_delay_alu instid0(VALU_DEP_1) | instskip(NEXT) | instid1(VALU_DEP_1)
	v_exp_f32_e32 v2, v2
	v_fma_f32 v8, v3, v9, -v8
	s_delay_alu instid0(VALU_DEP_1) | instskip(NEXT) | instid1(VALU_DEP_1)
	v_add_f32_e32 v8, 0xa69f5554, v8
	v_fma_f32 v9, v3, v8, -v9
	s_delay_alu instid0(VALU_DEP_1) | instskip(NEXT) | instid1(VALU_DEP_1)
	v_add_f32_e32 v9, 0x2808ebf8, v9
	v_fma_f32 v8, v3, v9, -v8
	s_delay_alu instid0(VALU_DEP_1) | instskip(NEXT) | instid1(VALU_DEP_1)
	v_add_f32_e32 v8, 0xa9631471, v8
	v_fma_f32 v9, v3, v8, -v9
	s_delay_alu instid0(VALU_DEP_1) | instskip(NEXT) | instid1(VALU_DEP_1)
	v_add_f32_e32 v9, 0x2ab57bc2, v9
	v_fma_f32 v8, v3, v9, -v8
	s_delay_alu instid0(VALU_DEP_1) | instskip(NEXT) | instid1(VALU_DEP_1)
	v_add_f32_e32 v8, 0xac0b9c1b, v8
	v_fma_f32 v9, v3, v8, -v9
	s_delay_alu instid0(VALU_DEP_1) | instskip(NEXT) | instid1(VALU_DEP_1)
	v_add_f32_e32 v9, 0x2d4e7716, v9
	v_fma_f32 v8, v3, v9, -v8
	s_delay_alu instid0(VALU_DEP_1) | instskip(NEXT) | instid1(VALU_DEP_1)
	v_add_f32_e32 v8, 0xae92881d, v8
	v_fma_f32 v9, v3, v8, -v9
	s_delay_alu instid0(VALU_DEP_1) | instskip(NEXT) | instid1(VALU_DEP_1)
	v_add_f32_e32 v9, 0x2fc751a6, v9
	v_fma_f32 v8, v3, v9, -v8
	s_delay_alu instid0(VALU_DEP_1) | instskip(NEXT) | instid1(VALU_DEP_1)
	v_add_f32_e32 v8, 0xb101b0d9, v8
	v_fma_f32 v9, v3, v8, -v9
	s_delay_alu instid0(VALU_DEP_1) | instskip(NEXT) | instid1(VALU_DEP_1)
	v_add_f32_e32 v9, 0x32212c70, v9
	v_fma_f32 v8, v3, v9, -v8
	s_delay_alu instid0(VALU_DEP_1) | instskip(NEXT) | instid1(VALU_DEP_1)
	v_add_f32_e32 v8, 0xb33ee9f1, v8
	v_fma_f32 v9, v3, v8, -v9
	s_delay_alu instid0(VALU_DEP_1) | instskip(NEXT) | instid1(VALU_DEP_1)
	v_add_f32_e32 v9, 0x34571a26, v9
	v_fma_f32 v8, v3, v9, -v8
	s_delay_alu instid0(VALU_DEP_1) | instskip(NEXT) | instid1(VALU_DEP_1)
	v_add_f32_e32 v8, 0xb56603cc, v8
	v_fma_f32 v9, v3, v8, -v9
	s_delay_alu instid0(VALU_DEP_1) | instskip(NEXT) | instid1(VALU_DEP_1)
	v_add_f32_e32 v9, 0x3668e277, v9
	v_fma_f32 v8, v3, v9, -v8
	s_delay_alu instid0(VALU_DEP_1) | instskip(NEXT) | instid1(VALU_DEP_1)
	v_add_f32_e32 v8, 0xb75eafce, v8
	v_fma_f32 v9, v3, v8, -v9
	s_delay_alu instid0(VALU_DEP_1) | instskip(NEXT) | instid1(VALU_DEP_1)
	v_add_f32_e32 v9, 0x38488daa, v9
	v_fma_f32 v8, v3, v9, -v8
	s_delay_alu instid0(VALU_DEP_1) | instskip(NEXT) | instid1(VALU_DEP_1)
	v_add_f32_e32 v8, 0xb9299e57, v8
	v_fma_f32 v9, v3, v8, -v9
	s_delay_alu instid0(VALU_DEP_1) | instskip(NEXT) | instid1(VALU_DEP_1)
	v_add_f32_e32 v9, 0x3a064aee, v9
	v_fma_f32 v8, v3, v9, -v8
	s_delay_alu instid0(VALU_DEP_1) | instskip(NEXT) | instid1(VALU_DEP_1)
	v_add_f32_e32 v8, 0xbac66310, v8
	v_fma_f32 v9, v3, v8, -v9
	s_delay_alu instid0(VALU_DEP_1) | instskip(NEXT) | instid1(VALU_DEP_1)
	v_add_f32_e32 v9, 0x3b88329a, v9
	v_fma_f32 v8, v3, v9, -v8
	s_delay_alu instid0(VALU_DEP_1) | instskip(NEXT) | instid1(VALU_DEP_1)
	v_add_f32_e32 v8, 0xbc2d14fc, v8
	v_fma_f32 v9, v3, v8, -v9
	s_delay_alu instid0(VALU_DEP_1) | instskip(NEXT) | instid1(VALU_DEP_1)
	v_add_f32_e32 v9, 0x3cca8f1f, v9
	v_fma_f32 v8, v3, v9, -v8
	s_delay_alu instid0(VALU_DEP_1) | instskip(NEXT) | instid1(VALU_DEP_1)
	v_add_f32_e32 v8, 0xbd58dde3, v8
	v_fma_f32 v9, v3, v8, -v9
	s_delay_alu instid0(VALU_DEP_1) | instskip(NEXT) | instid1(VALU_DEP_1)
	v_add_f32_e32 v9, 0x3dd236d7, v9
	v_fma_f32 v8, v3, v9, -v8
	s_delay_alu instid0(VALU_DEP_1) | instskip(NEXT) | instid1(VALU_DEP_1)
	v_add_f32_e32 v8, 0xbe34a688, v8
	v_fma_f32 v3, v3, v8, -v9
	v_cvt_i32_f32_e32 v8, v11
	s_delay_alu instid0(VALU_DEP_2) | instskip(NEXT) | instid1(VALU_DEP_2)
	v_add_f32_e32 v3, 0x3e81531c, v3
	v_ldexp_f32 v2, v2, v8
	s_delay_alu instid0(VALU_DEP_1) | instskip(NEXT) | instid1(VALU_DEP_1)
	v_dual_sub_f32 v3, v3, v9 :: v_dual_cndmask_b32 v8, 0, v2
	v_mul_f32_e32 v3, 0.5, v3
	s_delay_alu instid0(VALU_DEP_1) | instskip(NEXT) | instid1(VALU_DEP_3)
	v_mul_f32_e64 v2, |v4|, v3
	v_cndmask_b32_e64 v3, 0x7f800000, v8, s0
	s_mov_b32 s0, exec_lo
	v_cmpx_ngt_f32_e32 0, v4
	s_xor_b32 s0, exec_lo, s0
; %bb.26:
	s_delay_alu instid0(VALU_DEP_2)
	v_mul_f32_e32 v8, v3, v2
                                        ; implicit-def: $vgpr3
                                        ; implicit-def: $vgpr2
; %bb.27:
	s_and_not1_saveexec_b32 s0, s0
; %bb.28:
	v_mul_f32_e64 v8, v2, -v3
; %bb.29:
	s_or_b32 exec_lo, exec_lo, s0
                                        ; implicit-def: $vgpr2
.LBB11_30:
	s_and_not1_saveexec_b32 s1, s1
	s_cbranch_execz .LBB11_36
; %bb.31:
	v_and_b32_e32 v3, 0x7fffffff, v4
	s_mov_b32 s0, 0x230aab6e
	s_delay_alu instid0(VALU_DEP_1) | instskip(SKIP_1) | instid1(VALU_DEP_2)
	v_div_scale_f32 v8, null, v3, v3, 0x42000000
	v_div_scale_f32 v3, vcc_lo, 0x42000000, v3, 0x42000000
	v_rcp_f32_e32 v9, v8
	v_nop
	s_delay_alu instid0(TRANS32_DEP_1) | instskip(NEXT) | instid1(VALU_DEP_1)
	v_fma_f32 v11, -v8, v9, 1.0
	v_fmac_f32_e32 v9, v11, v9
	s_delay_alu instid0(VALU_DEP_1) | instskip(NEXT) | instid1(VALU_DEP_1)
	v_mul_f32_e32 v11, v3, v9
	v_fma_f32 v12, -v8, v11, v3
	s_delay_alu instid0(VALU_DEP_1) | instskip(SKIP_1) | instid1(VALU_DEP_2)
	v_fmac_f32_e32 v11, v12, v9
	v_fma_f32 v12, 0x3fb8aa3b, |v4|, -v2
	v_fma_f32 v3, -v8, v11, v3
	s_delay_alu instid0(VALU_DEP_2) | instskip(NEXT) | instid1(VALU_DEP_2)
	v_fma_f32 v12, 0x32a5705f, |v4|, v12
	v_div_fmas_f32 v3, v3, v9, v11
	v_rndne_f32_e32 v11, v2
	v_cmp_ngt_f32_e64 vcc_lo, 0xc2ce8ed0, |v4|
	s_delay_alu instid0(VALU_DEP_3) | instskip(NEXT) | instid1(VALU_DEP_3)
	v_div_fixup_f32 v3, v3, |v4|, 0x42000000
	v_sub_f32_e32 v2, v2, v11
	v_cvt_i32_f32_e32 v11, v11
	s_delay_alu instid0(VALU_DEP_2) | instskip(NEXT) | instid1(VALU_DEP_1)
	v_dual_add_f32 v3, -2.0, v3 :: v_dual_add_f32 v2, v2, v12
	v_fmaak_f32 v8, s0, v3, 0x22a2dc57
	s_delay_alu instid0(VALU_DEP_2) | instskip(SKIP_1) | instid1(TRANS32_DEP_1)
	v_exp_f32_e32 v2, v2
	v_cmp_nlt_f32_e64 s0, 0x42b17218, |v4|
	v_ldexp_f32 v2, v2, v11
	s_delay_alu instid0(VALU_DEP_1) | instskip(NEXT) | instid1(VALU_DEP_1)
	v_dual_fmaak_f32 v9, v3, v8, 0xa30aab6e :: v_dual_cndmask_b32 v2, 0, v2
	v_add_f32_e32 v9, 0xa456751e, v9
	s_delay_alu instid0(VALU_DEP_2) | instskip(NEXT) | instid1(VALU_DEP_2)
	v_cndmask_b32_e64 v2, 0x7f800000, v2, s0
	v_fma_f32 v8, v3, v9, -v8
	s_mov_b32 s0, exec_lo
	s_delay_alu instid0(VALU_DEP_1) | instskip(NEXT) | instid1(VALU_DEP_1)
	v_add_f32_e32 v8, 0xa4140365, v8
	v_fma_f32 v9, v3, v8, -v9
	s_delay_alu instid0(VALU_DEP_1) | instskip(NEXT) | instid1(VALU_DEP_1)
	v_add_f32_e32 v9, 0x25aac8b0, v9
	v_fma_f32 v8, v3, v9, -v8
	;; [unrolled: 3-line block ×21, first 2 shown]
	s_delay_alu instid0(VALU_DEP_1) | instskip(NEXT) | instid1(VALU_DEP_1)
	v_add_f32_e32 v3, 0x3f4750c6, v3
	v_sub_f32_e32 v3, v3, v9
	v_mul_f32_e64 v9, 0x4f800000, |v4|
	v_cmpx_ngt_f32_e32 0, v4
	s_xor_b32 s4, exec_lo, s0
	s_cbranch_execz .LBB11_33
; %bb.32:
	v_cmp_gt_f32_e64 vcc_lo, 0xf800000, |v4|
	v_mul_f32_e32 v3, 0.5, v3
	s_delay_alu instid0(VALU_DEP_2) | instskip(NEXT) | instid1(VALU_DEP_2)
	v_cndmask_b32_e64 v8, |v4|, v9, vcc_lo
	v_mul_f32_e32 v2, v2, v3
	s_delay_alu instid0(VALU_DEP_2) | instskip(SKIP_1) | instid1(TRANS32_DEP_1)
	v_sqrt_f32_e32 v9, v8
	v_nop
	v_dual_add_nc_u32 v11, -1, v9 :: v_dual_add_nc_u32 v12, 1, v9
	s_delay_alu instid0(VALU_DEP_1) | instskip(NEXT) | instid1(VALU_DEP_1)
	v_dual_fma_f32 v13, -v11, v9, v8 :: v_dual_fma_f32 v14, -v12, v9, v8
	v_cmp_ge_f32_e64 s0, 0, v13
	s_delay_alu instid0(VALU_DEP_1) | instskip(NEXT) | instid1(VALU_DEP_3)
	v_cndmask_b32_e64 v9, v9, v11, s0
	v_cmp_lt_f32_e64 s0, 0, v14
	s_delay_alu instid0(VALU_DEP_1) | instskip(NEXT) | instid1(VALU_DEP_1)
	v_cndmask_b32_e64 v9, v9, v12, s0
	v_mul_f32_e32 v11, 0x37800000, v9
	s_delay_alu instid0(VALU_DEP_1) | instskip(SKIP_1) | instid1(VALU_DEP_2)
	v_cndmask_b32_e32 v9, v9, v11, vcc_lo
	v_cmp_class_f32_e64 vcc_lo, v8, 0x260
	v_cndmask_b32_e32 v3, v9, v8, vcc_lo
	s_delay_alu instid0(VALU_DEP_1) | instskip(NEXT) | instid1(VALU_DEP_1)
	v_div_scale_f32 v8, null, v3, v3, v2
	v_rcp_f32_e32 v9, v8
	v_nop
	s_delay_alu instid0(TRANS32_DEP_1) | instskip(NEXT) | instid1(VALU_DEP_1)
	v_fma_f32 v11, -v8, v9, 1.0
	v_fmac_f32_e32 v9, v11, v9
	v_div_scale_f32 v11, vcc_lo, v2, v3, v2
	s_delay_alu instid0(VALU_DEP_1) | instskip(NEXT) | instid1(VALU_DEP_1)
	v_mul_f32_e32 v12, v11, v9
	v_fma_f32 v13, -v8, v12, v11
	s_delay_alu instid0(VALU_DEP_1) | instskip(NEXT) | instid1(VALU_DEP_1)
	v_fmac_f32_e32 v12, v13, v9
	v_fma_f32 v8, -v8, v12, v11
	s_delay_alu instid0(VALU_DEP_1) | instskip(NEXT) | instid1(VALU_DEP_1)
	v_div_fmas_f32 v8, v8, v9, v12
                                        ; implicit-def: $vgpr9
	v_div_fixup_f32 v8, v8, v3, v2
                                        ; implicit-def: $vgpr3
                                        ; implicit-def: $vgpr2
.LBB11_33:
	s_and_not1_saveexec_b32 s4, s4
	s_cbranch_execz .LBB11_35
; %bb.34:
	v_cmp_gt_f32_e64 vcc_lo, 0xf800000, |v4|
	v_mul_f32_e32 v3, -0.5, v3
	s_delay_alu instid0(VALU_DEP_2) | instskip(NEXT) | instid1(VALU_DEP_2)
	v_cndmask_b32_e64 v4, |v4|, v9, vcc_lo
	v_mul_f32_e32 v2, v2, v3
	s_delay_alu instid0(VALU_DEP_2) | instskip(SKIP_1) | instid1(TRANS32_DEP_1)
	v_sqrt_f32_e32 v8, v4
	v_nop
	v_dual_add_nc_u32 v9, -1, v8 :: v_dual_add_nc_u32 v11, 1, v8
	s_delay_alu instid0(VALU_DEP_1) | instskip(NEXT) | instid1(VALU_DEP_1)
	v_dual_fma_f32 v12, -v9, v8, v4 :: v_dual_fma_f32 v13, -v11, v8, v4
	v_cmp_ge_f32_e64 s0, 0, v12
	s_delay_alu instid0(VALU_DEP_1) | instskip(NEXT) | instid1(VALU_DEP_3)
	v_cndmask_b32_e64 v8, v8, v9, s0
	v_cmp_lt_f32_e64 s0, 0, v13
	s_delay_alu instid0(VALU_DEP_1) | instskip(NEXT) | instid1(VALU_DEP_1)
	v_cndmask_b32_e64 v8, v8, v11, s0
	v_mul_f32_e32 v9, 0x37800000, v8
	s_delay_alu instid0(VALU_DEP_1) | instskip(SKIP_1) | instid1(VALU_DEP_2)
	v_cndmask_b32_e32 v8, v8, v9, vcc_lo
	v_cmp_class_f32_e64 vcc_lo, v4, 0x260
	v_cndmask_b32_e32 v3, v8, v4, vcc_lo
	s_delay_alu instid0(VALU_DEP_1) | instskip(NEXT) | instid1(VALU_DEP_1)
	v_div_scale_f32 v4, null, v3, v3, v2
	v_rcp_f32_e32 v8, v4
	v_nop
	s_delay_alu instid0(TRANS32_DEP_1) | instskip(NEXT) | instid1(VALU_DEP_1)
	v_fma_f32 v9, -v4, v8, 1.0
	v_fmac_f32_e32 v8, v9, v8
	v_div_scale_f32 v9, vcc_lo, v2, v3, v2
	s_delay_alu instid0(VALU_DEP_1) | instskip(NEXT) | instid1(VALU_DEP_1)
	v_mul_f32_e32 v11, v9, v8
	v_fma_f32 v12, -v4, v11, v9
	s_delay_alu instid0(VALU_DEP_1) | instskip(NEXT) | instid1(VALU_DEP_1)
	v_fmac_f32_e32 v11, v12, v8
	v_fma_f32 v4, -v4, v11, v9
	s_delay_alu instid0(VALU_DEP_1) | instskip(NEXT) | instid1(VALU_DEP_1)
	v_div_fmas_f32 v4, v4, v8, v11
	v_div_fixup_f32 v8, v4, v3, v2
.LBB11_35:
	s_or_b32 exec_lo, exec_lo, s4
.LBB11_36:
	s_delay_alu instid0(SALU_CYCLE_1)
	s_or_b32 exec_lo, exec_lo, s1
	v_mul_f32_e64 v2, 0x3fb8aa3b, |v5|
	s_mov_b32 s1, exec_lo
	v_cmpx_ge_f32_e64 0x41000000, |v5|
	s_xor_b32 s1, exec_lo, s1
	s_cbranch_execz .LBB11_42
; %bb.37:
	v_fma_f32 v3, |v5|, 0.5, -2.0
	s_mov_b32 s0, 0x224cf950
	v_rndne_f32_e32 v11, v2
	v_fma_f32 v12, 0x3fb8aa3b, |v5|, -v2
	v_cmp_ngt_f32_e64 vcc_lo, 0xc2ce8ed0, |v5|
	v_fmaak_f32 v4, s0, v3, 0xa3c2be86
	v_cmp_nlt_f32_e64 s0, 0x42b17218, |v5|
	v_sub_f32_e32 v2, v2, v11
	v_fma_f32 v12, 0x32a5705f, |v5|, v12
	s_delay_alu instid0(VALU_DEP_4) | instskip(NEXT) | instid1(VALU_DEP_1)
	v_fmaak_f32 v9, v3, v4, 0xa24cf950
	v_dual_add_f32 v2, v2, v12 :: v_dual_add_f32 v9, 0x25331f1f, v9
	s_delay_alu instid0(VALU_DEP_1) | instskip(NEXT) | instid1(VALU_DEP_1)
	v_exp_f32_e32 v2, v2
	v_fma_f32 v4, v3, v9, -v4
	s_delay_alu instid0(VALU_DEP_1) | instskip(NEXT) | instid1(VALU_DEP_1)
	v_add_f32_e32 v4, 0xa69f5554, v4
	v_fma_f32 v9, v3, v4, -v9
	s_delay_alu instid0(VALU_DEP_1) | instskip(NEXT) | instid1(VALU_DEP_1)
	v_add_f32_e32 v9, 0x2808ebf8, v9
	v_fma_f32 v4, v3, v9, -v4
	s_delay_alu instid0(VALU_DEP_1) | instskip(NEXT) | instid1(VALU_DEP_1)
	v_add_f32_e32 v4, 0xa9631471, v4
	v_fma_f32 v9, v3, v4, -v9
	s_delay_alu instid0(VALU_DEP_1) | instskip(NEXT) | instid1(VALU_DEP_1)
	v_add_f32_e32 v9, 0x2ab57bc2, v9
	v_fma_f32 v4, v3, v9, -v4
	s_delay_alu instid0(VALU_DEP_1) | instskip(NEXT) | instid1(VALU_DEP_1)
	v_add_f32_e32 v4, 0xac0b9c1b, v4
	v_fma_f32 v9, v3, v4, -v9
	s_delay_alu instid0(VALU_DEP_1) | instskip(NEXT) | instid1(VALU_DEP_1)
	v_add_f32_e32 v9, 0x2d4e7716, v9
	v_fma_f32 v4, v3, v9, -v4
	s_delay_alu instid0(VALU_DEP_1) | instskip(NEXT) | instid1(VALU_DEP_1)
	v_add_f32_e32 v4, 0xae92881d, v4
	v_fma_f32 v9, v3, v4, -v9
	s_delay_alu instid0(VALU_DEP_1) | instskip(NEXT) | instid1(VALU_DEP_1)
	v_add_f32_e32 v9, 0x2fc751a6, v9
	v_fma_f32 v4, v3, v9, -v4
	s_delay_alu instid0(VALU_DEP_1) | instskip(NEXT) | instid1(VALU_DEP_1)
	v_add_f32_e32 v4, 0xb101b0d9, v4
	v_fma_f32 v9, v3, v4, -v9
	s_delay_alu instid0(VALU_DEP_1) | instskip(NEXT) | instid1(VALU_DEP_1)
	v_add_f32_e32 v9, 0x32212c70, v9
	v_fma_f32 v4, v3, v9, -v4
	s_delay_alu instid0(VALU_DEP_1) | instskip(NEXT) | instid1(VALU_DEP_1)
	v_add_f32_e32 v4, 0xb33ee9f1, v4
	v_fma_f32 v9, v3, v4, -v9
	s_delay_alu instid0(VALU_DEP_1) | instskip(NEXT) | instid1(VALU_DEP_1)
	v_add_f32_e32 v9, 0x34571a26, v9
	v_fma_f32 v4, v3, v9, -v4
	s_delay_alu instid0(VALU_DEP_1) | instskip(NEXT) | instid1(VALU_DEP_1)
	v_add_f32_e32 v4, 0xb56603cc, v4
	v_fma_f32 v9, v3, v4, -v9
	s_delay_alu instid0(VALU_DEP_1) | instskip(NEXT) | instid1(VALU_DEP_1)
	v_add_f32_e32 v9, 0x3668e277, v9
	v_fma_f32 v4, v3, v9, -v4
	s_delay_alu instid0(VALU_DEP_1) | instskip(NEXT) | instid1(VALU_DEP_1)
	v_add_f32_e32 v4, 0xb75eafce, v4
	v_fma_f32 v9, v3, v4, -v9
	s_delay_alu instid0(VALU_DEP_1) | instskip(NEXT) | instid1(VALU_DEP_1)
	v_add_f32_e32 v9, 0x38488daa, v9
	v_fma_f32 v4, v3, v9, -v4
	s_delay_alu instid0(VALU_DEP_1) | instskip(NEXT) | instid1(VALU_DEP_1)
	v_add_f32_e32 v4, 0xb9299e57, v4
	v_fma_f32 v9, v3, v4, -v9
	s_delay_alu instid0(VALU_DEP_1) | instskip(NEXT) | instid1(VALU_DEP_1)
	v_add_f32_e32 v9, 0x3a064aee, v9
	v_fma_f32 v4, v3, v9, -v4
	s_delay_alu instid0(VALU_DEP_1) | instskip(NEXT) | instid1(VALU_DEP_1)
	v_add_f32_e32 v4, 0xbac66310, v4
	v_fma_f32 v9, v3, v4, -v9
	s_delay_alu instid0(VALU_DEP_1) | instskip(NEXT) | instid1(VALU_DEP_1)
	v_add_f32_e32 v9, 0x3b88329a, v9
	v_fma_f32 v4, v3, v9, -v4
	s_delay_alu instid0(VALU_DEP_1) | instskip(NEXT) | instid1(VALU_DEP_1)
	v_add_f32_e32 v4, 0xbc2d14fc, v4
	v_fma_f32 v9, v3, v4, -v9
	s_delay_alu instid0(VALU_DEP_1) | instskip(NEXT) | instid1(VALU_DEP_1)
	v_add_f32_e32 v9, 0x3cca8f1f, v9
	v_fma_f32 v4, v3, v9, -v4
	s_delay_alu instid0(VALU_DEP_1) | instskip(NEXT) | instid1(VALU_DEP_1)
	v_add_f32_e32 v4, 0xbd58dde3, v4
	v_fma_f32 v9, v3, v4, -v9
	s_delay_alu instid0(VALU_DEP_1) | instskip(NEXT) | instid1(VALU_DEP_1)
	v_add_f32_e32 v9, 0x3dd236d7, v9
	v_fma_f32 v4, v3, v9, -v4
	s_delay_alu instid0(VALU_DEP_1) | instskip(NEXT) | instid1(VALU_DEP_1)
	v_add_f32_e32 v4, 0xbe34a688, v4
	v_fma_f32 v3, v3, v4, -v9
	v_cvt_i32_f32_e32 v4, v11
	s_delay_alu instid0(VALU_DEP_2) | instskip(NEXT) | instid1(VALU_DEP_2)
	v_add_f32_e32 v3, 0x3e81531c, v3
	v_ldexp_f32 v2, v2, v4
	s_delay_alu instid0(VALU_DEP_1) | instskip(NEXT) | instid1(VALU_DEP_1)
	v_dual_sub_f32 v3, v3, v9 :: v_dual_cndmask_b32 v4, 0, v2
	v_mul_f32_e32 v3, 0.5, v3
	s_delay_alu instid0(VALU_DEP_1) | instskip(NEXT) | instid1(VALU_DEP_3)
	v_mul_f32_e64 v2, |v5|, v3
	v_cndmask_b32_e64 v3, 0x7f800000, v4, s0
	s_mov_b32 s0, exec_lo
	v_cmpx_ngt_f32_e32 0, v5
	s_xor_b32 s0, exec_lo, s0
; %bb.38:
	s_delay_alu instid0(VALU_DEP_2)
	v_mul_f32_e32 v9, v3, v2
                                        ; implicit-def: $vgpr3
                                        ; implicit-def: $vgpr2
; %bb.39:
	s_and_not1_saveexec_b32 s0, s0
; %bb.40:
	v_mul_f32_e64 v9, v2, -v3
; %bb.41:
	s_or_b32 exec_lo, exec_lo, s0
                                        ; implicit-def: $vgpr2_vgpr3_vgpr4_vgpr5
                                        ; implicit-def: $vgpr2
.LBB11_42:
	s_and_not1_saveexec_b32 s1, s1
	s_cbranch_execz .LBB11_48
; %bb.43:
	v_and_b32_e32 v3, 0x7fffffff, v5
	s_mov_b32 s0, 0x230aab6e
	s_delay_alu instid0(VALU_DEP_1) | instskip(SKIP_1) | instid1(VALU_DEP_2)
	v_div_scale_f32 v4, null, v3, v3, 0x42000000
	v_div_scale_f32 v3, vcc_lo, 0x42000000, v3, 0x42000000
	v_rcp_f32_e32 v9, v4
	v_nop
	s_delay_alu instid0(TRANS32_DEP_1) | instskip(NEXT) | instid1(VALU_DEP_1)
	v_fma_f32 v11, -v4, v9, 1.0
	v_fmac_f32_e32 v9, v11, v9
	s_delay_alu instid0(VALU_DEP_1) | instskip(NEXT) | instid1(VALU_DEP_1)
	v_mul_f32_e32 v11, v3, v9
	v_fma_f32 v12, -v4, v11, v3
	s_delay_alu instid0(VALU_DEP_1) | instskip(SKIP_1) | instid1(VALU_DEP_2)
	v_fmac_f32_e32 v11, v12, v9
	v_fma_f32 v12, 0x3fb8aa3b, |v5|, -v2
	v_fma_f32 v3, -v4, v11, v3
	s_delay_alu instid0(VALU_DEP_2) | instskip(NEXT) | instid1(VALU_DEP_2)
	v_fma_f32 v12, 0x32a5705f, |v5|, v12
	v_div_fmas_f32 v3, v3, v9, v11
	v_rndne_f32_e32 v11, v2
	v_cmp_ngt_f32_e64 vcc_lo, 0xc2ce8ed0, |v5|
	s_delay_alu instid0(VALU_DEP_3) | instskip(NEXT) | instid1(VALU_DEP_3)
	v_div_fixup_f32 v3, v3, |v5|, 0x42000000
	v_sub_f32_e32 v2, v2, v11
	v_cvt_i32_f32_e32 v11, v11
	s_delay_alu instid0(VALU_DEP_2) | instskip(NEXT) | instid1(VALU_DEP_1)
	v_dual_add_f32 v3, -2.0, v3 :: v_dual_add_f32 v2, v2, v12
	v_fmaak_f32 v4, s0, v3, 0x22a2dc57
	s_delay_alu instid0(VALU_DEP_2) | instskip(SKIP_1) | instid1(TRANS32_DEP_1)
	v_exp_f32_e32 v2, v2
	v_cmp_nlt_f32_e64 s0, 0x42b17218, |v5|
	v_ldexp_f32 v2, v2, v11
	s_delay_alu instid0(VALU_DEP_1) | instskip(NEXT) | instid1(VALU_DEP_1)
	v_dual_fmaak_f32 v9, v3, v4, 0xa30aab6e :: v_dual_cndmask_b32 v2, 0, v2
	v_add_f32_e32 v9, 0xa456751e, v9
	s_delay_alu instid0(VALU_DEP_2) | instskip(NEXT) | instid1(VALU_DEP_2)
	v_cndmask_b32_e64 v2, 0x7f800000, v2, s0
	v_fma_f32 v4, v3, v9, -v4
	s_mov_b32 s0, exec_lo
	s_delay_alu instid0(VALU_DEP_1) | instskip(NEXT) | instid1(VALU_DEP_1)
	v_add_f32_e32 v4, 0xa4140365, v4
	v_fma_f32 v9, v3, v4, -v9
	s_delay_alu instid0(VALU_DEP_1) | instskip(NEXT) | instid1(VALU_DEP_1)
	v_add_f32_e32 v9, 0x25aac8b0, v9
	v_fma_f32 v4, v3, v9, -v4
	;; [unrolled: 3-line block ×21, first 2 shown]
	v_mul_f32_e64 v4, 0x4f800000, |v5|
	s_delay_alu instid0(VALU_DEP_2) | instskip(NEXT) | instid1(VALU_DEP_1)
	v_add_f32_e32 v3, 0x3f4750c6, v3
	v_sub_f32_e32 v3, v3, v9
	v_cmpx_ngt_f32_e32 0, v5
	s_xor_b32 s4, exec_lo, s0
	s_cbranch_execz .LBB11_45
; %bb.44:
	v_cmp_gt_f32_e64 vcc_lo, 0xf800000, |v5|
	v_mul_f32_e32 v3, 0.5, v3
	s_delay_alu instid0(VALU_DEP_2) | instskip(NEXT) | instid1(VALU_DEP_2)
	v_cndmask_b32_e64 v4, |v5|, v4, vcc_lo
	v_mul_f32_e32 v2, v2, v3
	s_delay_alu instid0(VALU_DEP_2) | instskip(SKIP_1) | instid1(TRANS32_DEP_1)
	v_sqrt_f32_e32 v5, v4
	v_nop
	v_dual_add_nc_u32 v9, -1, v5 :: v_dual_add_nc_u32 v11, 1, v5
	s_delay_alu instid0(VALU_DEP_1) | instskip(NEXT) | instid1(VALU_DEP_1)
	v_dual_fma_f32 v12, -v9, v5, v4 :: v_dual_fma_f32 v13, -v11, v5, v4
	v_cmp_ge_f32_e64 s0, 0, v12
	s_delay_alu instid0(VALU_DEP_1) | instskip(NEXT) | instid1(VALU_DEP_3)
	v_cndmask_b32_e64 v5, v5, v9, s0
	v_cmp_lt_f32_e64 s0, 0, v13
	s_delay_alu instid0(VALU_DEP_1) | instskip(NEXT) | instid1(VALU_DEP_1)
	v_cndmask_b32_e64 v5, v5, v11, s0
	v_mul_f32_e32 v9, 0x37800000, v5
	s_delay_alu instid0(VALU_DEP_1) | instskip(SKIP_1) | instid1(VALU_DEP_2)
	v_cndmask_b32_e32 v5, v5, v9, vcc_lo
	v_cmp_class_f32_e64 vcc_lo, v4, 0x260
	v_cndmask_b32_e32 v3, v5, v4, vcc_lo
	s_delay_alu instid0(VALU_DEP_1) | instskip(NEXT) | instid1(VALU_DEP_1)
	v_div_scale_f32 v4, null, v3, v3, v2
	v_rcp_f32_e32 v5, v4
	v_nop
	s_delay_alu instid0(TRANS32_DEP_1) | instskip(NEXT) | instid1(VALU_DEP_1)
	v_fma_f32 v9, -v4, v5, 1.0
	v_fmac_f32_e32 v5, v9, v5
	v_div_scale_f32 v9, vcc_lo, v2, v3, v2
	s_delay_alu instid0(VALU_DEP_1) | instskip(NEXT) | instid1(VALU_DEP_1)
	v_mul_f32_e32 v11, v9, v5
	v_fma_f32 v12, -v4, v11, v9
	s_delay_alu instid0(VALU_DEP_1) | instskip(NEXT) | instid1(VALU_DEP_1)
	v_fmac_f32_e32 v11, v12, v5
	v_fma_f32 v4, -v4, v11, v9
	s_delay_alu instid0(VALU_DEP_1) | instskip(NEXT) | instid1(VALU_DEP_1)
	v_div_fmas_f32 v4, v4, v5, v11
	v_div_fixup_f32 v9, v4, v3, v2
                                        ; implicit-def: $vgpr2_vgpr3_vgpr4_vgpr5
                                        ; implicit-def: $vgpr4
                                        ; implicit-def: $vgpr3
                                        ; implicit-def: $vgpr2
.LBB11_45:
	s_and_not1_saveexec_b32 s4, s4
	s_cbranch_execz .LBB11_47
; %bb.46:
	v_cmp_gt_f32_e64 vcc_lo, 0xf800000, |v5|
	v_mul_f32_e32 v3, -0.5, v3
	s_delay_alu instid0(VALU_DEP_2) | instskip(NEXT) | instid1(VALU_DEP_2)
	v_cndmask_b32_e64 v4, |v5|, v4, vcc_lo
	v_mul_f32_e32 v2, v2, v3
	s_delay_alu instid0(VALU_DEP_2) | instskip(SKIP_1) | instid1(TRANS32_DEP_1)
	v_sqrt_f32_e32 v5, v4
	v_nop
	v_dual_add_nc_u32 v9, -1, v5 :: v_dual_add_nc_u32 v11, 1, v5
	s_delay_alu instid0(VALU_DEP_1) | instskip(NEXT) | instid1(VALU_DEP_1)
	v_dual_fma_f32 v12, -v9, v5, v4 :: v_dual_fma_f32 v13, -v11, v5, v4
	v_cmp_ge_f32_e64 s0, 0, v12
	s_delay_alu instid0(VALU_DEP_1) | instskip(NEXT) | instid1(VALU_DEP_3)
	v_cndmask_b32_e64 v5, v5, v9, s0
	v_cmp_lt_f32_e64 s0, 0, v13
	s_delay_alu instid0(VALU_DEP_1) | instskip(NEXT) | instid1(VALU_DEP_1)
	v_cndmask_b32_e64 v5, v5, v11, s0
	v_mul_f32_e32 v9, 0x37800000, v5
	s_delay_alu instid0(VALU_DEP_1) | instskip(SKIP_1) | instid1(VALU_DEP_2)
	v_cndmask_b32_e32 v5, v5, v9, vcc_lo
	v_cmp_class_f32_e64 vcc_lo, v4, 0x260
	v_cndmask_b32_e32 v3, v5, v4, vcc_lo
	s_delay_alu instid0(VALU_DEP_1) | instskip(NEXT) | instid1(VALU_DEP_1)
	v_div_scale_f32 v4, null, v3, v3, v2
	v_rcp_f32_e32 v5, v4
	v_nop
	s_delay_alu instid0(TRANS32_DEP_1) | instskip(NEXT) | instid1(VALU_DEP_1)
	v_fma_f32 v9, -v4, v5, 1.0
	v_fmac_f32_e32 v5, v9, v5
	v_div_scale_f32 v9, vcc_lo, v2, v3, v2
	s_delay_alu instid0(VALU_DEP_1) | instskip(NEXT) | instid1(VALU_DEP_1)
	v_mul_f32_e32 v11, v9, v5
	v_fma_f32 v12, -v4, v11, v9
	s_delay_alu instid0(VALU_DEP_1) | instskip(NEXT) | instid1(VALU_DEP_1)
	v_fmac_f32_e32 v11, v12, v5
	v_fma_f32 v4, -v4, v11, v9
	s_delay_alu instid0(VALU_DEP_1) | instskip(NEXT) | instid1(VALU_DEP_1)
	v_div_fmas_f32 v4, v4, v5, v11
	v_div_fixup_f32 v9, v4, v3, v2
.LBB11_47:
	s_or_b32 exec_lo, exec_lo, s4
.LBB11_48:
	s_delay_alu instid0(SALU_CYCLE_1) | instskip(SKIP_2) | instid1(VALU_DEP_1)
	s_or_b32 exec_lo, exec_lo, s1
	v_lshl_add_u64 v[0:1], s[2:3], 2, v[0:1]
	v_mov_b32_e32 v11, 0
	v_add_nc_u64_e32 v[0:1], v[0:1], v[10:11]
	flat_store_b128 v[0:1], v[6:9]
	s_wait_dscnt 0x0
	s_set_pc_i64 s[30:31]
.Lfunc_end11:
	.size	_ZN2at6native25elementwise_kernel_helperILb0EZZZNS0_12_GLOBAL__N_130modified_bessel_i1_kernel_cudaERNS_18TensorIteratorBaseEENKUlvE_clEvENKUlvE0_clEvEUlfE_NS0_6memory8policies10vectorizedILi4ESt5arrayIPcLm2EELi4EEEEEvT0_T1_, .Lfunc_end11-_ZN2at6native25elementwise_kernel_helperILb0EZZZNS0_12_GLOBAL__N_130modified_bessel_i1_kernel_cudaERNS_18TensorIteratorBaseEENKUlvE_clEvENKUlvE0_clEvEUlfE_NS0_6memory8policies10vectorizedILi4ESt5arrayIPcLm2EELi4EEEEEvT0_T1_
                                        ; -- End function
	.set .L_ZN2at6native25elementwise_kernel_helperILb0EZZZNS0_12_GLOBAL__N_130modified_bessel_i1_kernel_cudaERNS_18TensorIteratorBaseEENKUlvE_clEvENKUlvE0_clEvEUlfE_NS0_6memory8policies10vectorizedILi4ESt5arrayIPcLm2EELi4EEEEEvT0_T1_.num_vgpr, 32
	.set .L_ZN2at6native25elementwise_kernel_helperILb0EZZZNS0_12_GLOBAL__N_130modified_bessel_i1_kernel_cudaERNS_18TensorIteratorBaseEENKUlvE_clEvENKUlvE0_clEvEUlfE_NS0_6memory8policies10vectorizedILi4ESt5arrayIPcLm2EELi4EEEEEvT0_T1_.num_agpr, 0
	.set .L_ZN2at6native25elementwise_kernel_helperILb0EZZZNS0_12_GLOBAL__N_130modified_bessel_i1_kernel_cudaERNS_18TensorIteratorBaseEENKUlvE_clEvENKUlvE0_clEvEUlfE_NS0_6memory8policies10vectorizedILi4ESt5arrayIPcLm2EELi4EEEEEvT0_T1_.numbered_sgpr, 32
	.set .L_ZN2at6native25elementwise_kernel_helperILb0EZZZNS0_12_GLOBAL__N_130modified_bessel_i1_kernel_cudaERNS_18TensorIteratorBaseEENKUlvE_clEvENKUlvE0_clEvEUlfE_NS0_6memory8policies10vectorizedILi4ESt5arrayIPcLm2EELi4EEEEEvT0_T1_.num_named_barrier, 0
	.set .L_ZN2at6native25elementwise_kernel_helperILb0EZZZNS0_12_GLOBAL__N_130modified_bessel_i1_kernel_cudaERNS_18TensorIteratorBaseEENKUlvE_clEvENKUlvE0_clEvEUlfE_NS0_6memory8policies10vectorizedILi4ESt5arrayIPcLm2EELi4EEEEEvT0_T1_.private_seg_size, 0
	.set .L_ZN2at6native25elementwise_kernel_helperILb0EZZZNS0_12_GLOBAL__N_130modified_bessel_i1_kernel_cudaERNS_18TensorIteratorBaseEENKUlvE_clEvENKUlvE0_clEvEUlfE_NS0_6memory8policies10vectorizedILi4ESt5arrayIPcLm2EELi4EEEEEvT0_T1_.uses_vcc, 1
	.set .L_ZN2at6native25elementwise_kernel_helperILb0EZZZNS0_12_GLOBAL__N_130modified_bessel_i1_kernel_cudaERNS_18TensorIteratorBaseEENKUlvE_clEvENKUlvE0_clEvEUlfE_NS0_6memory8policies10vectorizedILi4ESt5arrayIPcLm2EELi4EEEEEvT0_T1_.uses_flat_scratch, 0
	.set .L_ZN2at6native25elementwise_kernel_helperILb0EZZZNS0_12_GLOBAL__N_130modified_bessel_i1_kernel_cudaERNS_18TensorIteratorBaseEENKUlvE_clEvENKUlvE0_clEvEUlfE_NS0_6memory8policies10vectorizedILi4ESt5arrayIPcLm2EELi4EEEEEvT0_T1_.has_dyn_sized_stack, 0
	.set .L_ZN2at6native25elementwise_kernel_helperILb0EZZZNS0_12_GLOBAL__N_130modified_bessel_i1_kernel_cudaERNS_18TensorIteratorBaseEENKUlvE_clEvENKUlvE0_clEvEUlfE_NS0_6memory8policies10vectorizedILi4ESt5arrayIPcLm2EELi4EEEEEvT0_T1_.has_recursion, 0
	.set .L_ZN2at6native25elementwise_kernel_helperILb0EZZZNS0_12_GLOBAL__N_130modified_bessel_i1_kernel_cudaERNS_18TensorIteratorBaseEENKUlvE_clEvENKUlvE0_clEvEUlfE_NS0_6memory8policies10vectorizedILi4ESt5arrayIPcLm2EELi4EEEEEvT0_T1_.has_indirect_call, 0
	.section	.AMDGPU.csdata,"",@progbits
; Function info:
; codeLenInByte = 8148
; TotalNumSgprs: 34
; NumVgprs: 32
; ScratchSize: 0
; MemoryBound: 0
	.section	.text._ZN2at6native29vectorized_elementwise_kernelILi16EZZZNS0_12_GLOBAL__N_130modified_bessel_i1_kernel_cudaERNS_18TensorIteratorBaseEENKUlvE_clEvENKUlvE0_clEvEUlfE_St5arrayIPcLm2EEEEviT0_T1_,"axG",@progbits,_ZN2at6native29vectorized_elementwise_kernelILi16EZZZNS0_12_GLOBAL__N_130modified_bessel_i1_kernel_cudaERNS_18TensorIteratorBaseEENKUlvE_clEvENKUlvE0_clEvEUlfE_St5arrayIPcLm2EEEEviT0_T1_,comdat
	.globl	_ZN2at6native29vectorized_elementwise_kernelILi16EZZZNS0_12_GLOBAL__N_130modified_bessel_i1_kernel_cudaERNS_18TensorIteratorBaseEENKUlvE_clEvENKUlvE0_clEvEUlfE_St5arrayIPcLm2EEEEviT0_T1_ ; -- Begin function _ZN2at6native29vectorized_elementwise_kernelILi16EZZZNS0_12_GLOBAL__N_130modified_bessel_i1_kernel_cudaERNS_18TensorIteratorBaseEENKUlvE_clEvENKUlvE0_clEvEUlfE_St5arrayIPcLm2EEEEviT0_T1_
	.p2align	8
	.type	_ZN2at6native29vectorized_elementwise_kernelILi16EZZZNS0_12_GLOBAL__N_130modified_bessel_i1_kernel_cudaERNS_18TensorIteratorBaseEENKUlvE_clEvENKUlvE0_clEvEUlfE_St5arrayIPcLm2EEEEviT0_T1_,@function
_ZN2at6native29vectorized_elementwise_kernelILi16EZZZNS0_12_GLOBAL__N_130modified_bessel_i1_kernel_cudaERNS_18TensorIteratorBaseEENKUlvE_clEvENKUlvE0_clEvEUlfE_St5arrayIPcLm2EEEEviT0_T1_: ; @_ZN2at6native29vectorized_elementwise_kernelILi16EZZZNS0_12_GLOBAL__N_130modified_bessel_i1_kernel_cudaERNS_18TensorIteratorBaseEENKUlvE_clEvENKUlvE0_clEvEUlfE_St5arrayIPcLm2EEEEviT0_T1_
; %bb.0:
	s_clause 0x1
	s_load_b32 s2, s[0:1], 0x0
	s_load_b128 s[8:11], s[0:1], 0x8
	s_wait_xcnt 0x0
	s_bfe_u32 s0, ttmp6, 0x4000c
	s_and_b32 s1, ttmp6, 15
	s_add_co_i32 s0, s0, 1
	s_getreg_b32 s3, hwreg(HW_REG_IB_STS2, 6, 4)
	s_mul_i32 s0, ttmp9, s0
	v_mov_b32_e32 v31, v0
	s_add_co_i32 s1, s1, s0
	s_cmp_eq_u32 s3, 0
	s_mov_b32 s32, 0
	s_cselect_b32 s0, ttmp9, s1
	s_delay_alu instid0(SALU_CYCLE_1)
	s_lshl_b32 s0, s0, 10
	s_wait_kmcnt 0x0
	s_sub_co_i32 s5, s2, s0
	s_mov_b32 s0, -1
	s_cmp_gt_i32 s5, 0x3ff
	s_cbranch_scc1 .LBB12_3
; %bb.1:
	s_and_not1_b32 vcc_lo, exec_lo, s0
	s_cbranch_vccz .LBB12_4
.LBB12_2:
	s_endpgm
.LBB12_3:
	v_dual_mov_b32 v0, s8 :: v_dual_mov_b32 v1, s9
	v_dual_mov_b32 v2, s10 :: v_dual_mov_b32 v3, s11
	s_get_pc_i64 s[0:1]
	s_add_nc_u64 s[0:1], s[0:1], _ZN2at6native25elementwise_kernel_helperILb0EZZZNS0_12_GLOBAL__N_130modified_bessel_i1_kernel_cudaERNS_18TensorIteratorBaseEENKUlvE_clEvENKUlvE0_clEvEUlfE_NS0_6memory8policies10vectorizedILi4ESt5arrayIPcLm2EELi4EEEEEvT0_T1_@rel64+4
	s_delay_alu instid0(SALU_CYCLE_1)
	s_swap_pc_i64 s[30:31], s[0:1]
	s_cbranch_execnz .LBB12_2
.LBB12_4:
	v_dual_mov_b32 v0, s8 :: v_dual_mov_b32 v1, s9
	v_dual_mov_b32 v2, s10 :: v_dual_mov_b32 v3, s11
	v_mov_b32_e32 v4, s5
	s_get_pc_i64 s[0:1]
	s_add_nc_u64 s[0:1], s[0:1], _ZN2at6native25elementwise_kernel_helperILb0EZZZNS0_12_GLOBAL__N_130modified_bessel_i1_kernel_cudaERNS_18TensorIteratorBaseEENKUlvE_clEvENKUlvE0_clEvEUlfE_NS0_6memory8policies11unroll_baseILi256ESt5arrayIPcLm2EE23TrivialOffsetCalculatorILi1EjESF_NS8_15LoadWithoutCastENS8_16StoreWithoutCastELi4ELi1EEEEEvT0_T1_@rel64+4
	s_delay_alu instid0(SALU_CYCLE_1)
	s_swap_pc_i64 s[30:31], s[0:1]
	s_endpgm
	.section	.rodata,"a",@progbits
	.p2align	6, 0x0
	.amdhsa_kernel _ZN2at6native29vectorized_elementwise_kernelILi16EZZZNS0_12_GLOBAL__N_130modified_bessel_i1_kernel_cudaERNS_18TensorIteratorBaseEENKUlvE_clEvENKUlvE0_clEvEUlfE_St5arrayIPcLm2EEEEviT0_T1_
		.amdhsa_group_segment_fixed_size 0
		.amdhsa_private_segment_fixed_size 0
		.amdhsa_kernarg_size 24
		.amdhsa_user_sgpr_count 2
		.amdhsa_user_sgpr_dispatch_ptr 0
		.amdhsa_user_sgpr_queue_ptr 0
		.amdhsa_user_sgpr_kernarg_segment_ptr 1
		.amdhsa_user_sgpr_dispatch_id 0
		.amdhsa_user_sgpr_kernarg_preload_length 0
		.amdhsa_user_sgpr_kernarg_preload_offset 0
		.amdhsa_user_sgpr_private_segment_size 0
		.amdhsa_wavefront_size32 1
		.amdhsa_uses_dynamic_stack 0
		.amdhsa_enable_private_segment 0
		.amdhsa_system_sgpr_workgroup_id_x 1
		.amdhsa_system_sgpr_workgroup_id_y 0
		.amdhsa_system_sgpr_workgroup_id_z 0
		.amdhsa_system_sgpr_workgroup_info 0
		.amdhsa_system_vgpr_workitem_id 0
		.amdhsa_next_free_vgpr 32
		.amdhsa_next_free_sgpr 33
		.amdhsa_named_barrier_count 0
		.amdhsa_reserve_vcc 1
		.amdhsa_float_round_mode_32 0
		.amdhsa_float_round_mode_16_64 0
		.amdhsa_float_denorm_mode_32 3
		.amdhsa_float_denorm_mode_16_64 3
		.amdhsa_fp16_overflow 0
		.amdhsa_memory_ordered 1
		.amdhsa_forward_progress 1
		.amdhsa_inst_pref_size 2
		.amdhsa_round_robin_scheduling 0
		.amdhsa_exception_fp_ieee_invalid_op 0
		.amdhsa_exception_fp_denorm_src 0
		.amdhsa_exception_fp_ieee_div_zero 0
		.amdhsa_exception_fp_ieee_overflow 0
		.amdhsa_exception_fp_ieee_underflow 0
		.amdhsa_exception_fp_ieee_inexact 0
		.amdhsa_exception_int_div_zero 0
	.end_amdhsa_kernel
	.section	.text._ZN2at6native29vectorized_elementwise_kernelILi16EZZZNS0_12_GLOBAL__N_130modified_bessel_i1_kernel_cudaERNS_18TensorIteratorBaseEENKUlvE_clEvENKUlvE0_clEvEUlfE_St5arrayIPcLm2EEEEviT0_T1_,"axG",@progbits,_ZN2at6native29vectorized_elementwise_kernelILi16EZZZNS0_12_GLOBAL__N_130modified_bessel_i1_kernel_cudaERNS_18TensorIteratorBaseEENKUlvE_clEvENKUlvE0_clEvEUlfE_St5arrayIPcLm2EEEEviT0_T1_,comdat
.Lfunc_end12:
	.size	_ZN2at6native29vectorized_elementwise_kernelILi16EZZZNS0_12_GLOBAL__N_130modified_bessel_i1_kernel_cudaERNS_18TensorIteratorBaseEENKUlvE_clEvENKUlvE0_clEvEUlfE_St5arrayIPcLm2EEEEviT0_T1_, .Lfunc_end12-_ZN2at6native29vectorized_elementwise_kernelILi16EZZZNS0_12_GLOBAL__N_130modified_bessel_i1_kernel_cudaERNS_18TensorIteratorBaseEENKUlvE_clEvENKUlvE0_clEvEUlfE_St5arrayIPcLm2EEEEviT0_T1_
                                        ; -- End function
	.set _ZN2at6native29vectorized_elementwise_kernelILi16EZZZNS0_12_GLOBAL__N_130modified_bessel_i1_kernel_cudaERNS_18TensorIteratorBaseEENKUlvE_clEvENKUlvE0_clEvEUlfE_St5arrayIPcLm2EEEEviT0_T1_.num_vgpr, max(32, .L_ZN2at6native25elementwise_kernel_helperILb0EZZZNS0_12_GLOBAL__N_130modified_bessel_i1_kernel_cudaERNS_18TensorIteratorBaseEENKUlvE_clEvENKUlvE0_clEvEUlfE_NS0_6memory8policies10vectorizedILi4ESt5arrayIPcLm2EELi4EEEEEvT0_T1_.num_vgpr, .L_ZN2at6native25elementwise_kernel_helperILb0EZZZNS0_12_GLOBAL__N_130modified_bessel_i1_kernel_cudaERNS_18TensorIteratorBaseEENKUlvE_clEvENKUlvE0_clEvEUlfE_NS0_6memory8policies11unroll_baseILi256ESt5arrayIPcLm2EE23TrivialOffsetCalculatorILi1EjESF_NS8_15LoadWithoutCastENS8_16StoreWithoutCastELi4ELi1EEEEEvT0_T1_.num_vgpr)
	.set _ZN2at6native29vectorized_elementwise_kernelILi16EZZZNS0_12_GLOBAL__N_130modified_bessel_i1_kernel_cudaERNS_18TensorIteratorBaseEENKUlvE_clEvENKUlvE0_clEvEUlfE_St5arrayIPcLm2EEEEviT0_T1_.num_agpr, max(0, .L_ZN2at6native25elementwise_kernel_helperILb0EZZZNS0_12_GLOBAL__N_130modified_bessel_i1_kernel_cudaERNS_18TensorIteratorBaseEENKUlvE_clEvENKUlvE0_clEvEUlfE_NS0_6memory8policies10vectorizedILi4ESt5arrayIPcLm2EELi4EEEEEvT0_T1_.num_agpr, .L_ZN2at6native25elementwise_kernel_helperILb0EZZZNS0_12_GLOBAL__N_130modified_bessel_i1_kernel_cudaERNS_18TensorIteratorBaseEENKUlvE_clEvENKUlvE0_clEvEUlfE_NS0_6memory8policies11unroll_baseILi256ESt5arrayIPcLm2EE23TrivialOffsetCalculatorILi1EjESF_NS8_15LoadWithoutCastENS8_16StoreWithoutCastELi4ELi1EEEEEvT0_T1_.num_agpr)
	.set _ZN2at6native29vectorized_elementwise_kernelILi16EZZZNS0_12_GLOBAL__N_130modified_bessel_i1_kernel_cudaERNS_18TensorIteratorBaseEENKUlvE_clEvENKUlvE0_clEvEUlfE_St5arrayIPcLm2EEEEviT0_T1_.numbered_sgpr, max(33, .L_ZN2at6native25elementwise_kernel_helperILb0EZZZNS0_12_GLOBAL__N_130modified_bessel_i1_kernel_cudaERNS_18TensorIteratorBaseEENKUlvE_clEvENKUlvE0_clEvEUlfE_NS0_6memory8policies10vectorizedILi4ESt5arrayIPcLm2EELi4EEEEEvT0_T1_.numbered_sgpr, .L_ZN2at6native25elementwise_kernel_helperILb0EZZZNS0_12_GLOBAL__N_130modified_bessel_i1_kernel_cudaERNS_18TensorIteratorBaseEENKUlvE_clEvENKUlvE0_clEvEUlfE_NS0_6memory8policies11unroll_baseILi256ESt5arrayIPcLm2EE23TrivialOffsetCalculatorILi1EjESF_NS8_15LoadWithoutCastENS8_16StoreWithoutCastELi4ELi1EEEEEvT0_T1_.numbered_sgpr)
	.set _ZN2at6native29vectorized_elementwise_kernelILi16EZZZNS0_12_GLOBAL__N_130modified_bessel_i1_kernel_cudaERNS_18TensorIteratorBaseEENKUlvE_clEvENKUlvE0_clEvEUlfE_St5arrayIPcLm2EEEEviT0_T1_.num_named_barrier, max(0, .L_ZN2at6native25elementwise_kernel_helperILb0EZZZNS0_12_GLOBAL__N_130modified_bessel_i1_kernel_cudaERNS_18TensorIteratorBaseEENKUlvE_clEvENKUlvE0_clEvEUlfE_NS0_6memory8policies10vectorizedILi4ESt5arrayIPcLm2EELi4EEEEEvT0_T1_.num_named_barrier, .L_ZN2at6native25elementwise_kernel_helperILb0EZZZNS0_12_GLOBAL__N_130modified_bessel_i1_kernel_cudaERNS_18TensorIteratorBaseEENKUlvE_clEvENKUlvE0_clEvEUlfE_NS0_6memory8policies11unroll_baseILi256ESt5arrayIPcLm2EE23TrivialOffsetCalculatorILi1EjESF_NS8_15LoadWithoutCastENS8_16StoreWithoutCastELi4ELi1EEEEEvT0_T1_.num_named_barrier)
	.set _ZN2at6native29vectorized_elementwise_kernelILi16EZZZNS0_12_GLOBAL__N_130modified_bessel_i1_kernel_cudaERNS_18TensorIteratorBaseEENKUlvE_clEvENKUlvE0_clEvEUlfE_St5arrayIPcLm2EEEEviT0_T1_.private_seg_size, 0+max(.L_ZN2at6native25elementwise_kernel_helperILb0EZZZNS0_12_GLOBAL__N_130modified_bessel_i1_kernel_cudaERNS_18TensorIteratorBaseEENKUlvE_clEvENKUlvE0_clEvEUlfE_NS0_6memory8policies10vectorizedILi4ESt5arrayIPcLm2EELi4EEEEEvT0_T1_.private_seg_size, .L_ZN2at6native25elementwise_kernel_helperILb0EZZZNS0_12_GLOBAL__N_130modified_bessel_i1_kernel_cudaERNS_18TensorIteratorBaseEENKUlvE_clEvENKUlvE0_clEvEUlfE_NS0_6memory8policies11unroll_baseILi256ESt5arrayIPcLm2EE23TrivialOffsetCalculatorILi1EjESF_NS8_15LoadWithoutCastENS8_16StoreWithoutCastELi4ELi1EEEEEvT0_T1_.private_seg_size)
	.set _ZN2at6native29vectorized_elementwise_kernelILi16EZZZNS0_12_GLOBAL__N_130modified_bessel_i1_kernel_cudaERNS_18TensorIteratorBaseEENKUlvE_clEvENKUlvE0_clEvEUlfE_St5arrayIPcLm2EEEEviT0_T1_.uses_vcc, or(1, .L_ZN2at6native25elementwise_kernel_helperILb0EZZZNS0_12_GLOBAL__N_130modified_bessel_i1_kernel_cudaERNS_18TensorIteratorBaseEENKUlvE_clEvENKUlvE0_clEvEUlfE_NS0_6memory8policies10vectorizedILi4ESt5arrayIPcLm2EELi4EEEEEvT0_T1_.uses_vcc, .L_ZN2at6native25elementwise_kernel_helperILb0EZZZNS0_12_GLOBAL__N_130modified_bessel_i1_kernel_cudaERNS_18TensorIteratorBaseEENKUlvE_clEvENKUlvE0_clEvEUlfE_NS0_6memory8policies11unroll_baseILi256ESt5arrayIPcLm2EE23TrivialOffsetCalculatorILi1EjESF_NS8_15LoadWithoutCastENS8_16StoreWithoutCastELi4ELi1EEEEEvT0_T1_.uses_vcc)
	.set _ZN2at6native29vectorized_elementwise_kernelILi16EZZZNS0_12_GLOBAL__N_130modified_bessel_i1_kernel_cudaERNS_18TensorIteratorBaseEENKUlvE_clEvENKUlvE0_clEvEUlfE_St5arrayIPcLm2EEEEviT0_T1_.uses_flat_scratch, or(0, .L_ZN2at6native25elementwise_kernel_helperILb0EZZZNS0_12_GLOBAL__N_130modified_bessel_i1_kernel_cudaERNS_18TensorIteratorBaseEENKUlvE_clEvENKUlvE0_clEvEUlfE_NS0_6memory8policies10vectorizedILi4ESt5arrayIPcLm2EELi4EEEEEvT0_T1_.uses_flat_scratch, .L_ZN2at6native25elementwise_kernel_helperILb0EZZZNS0_12_GLOBAL__N_130modified_bessel_i1_kernel_cudaERNS_18TensorIteratorBaseEENKUlvE_clEvENKUlvE0_clEvEUlfE_NS0_6memory8policies11unroll_baseILi256ESt5arrayIPcLm2EE23TrivialOffsetCalculatorILi1EjESF_NS8_15LoadWithoutCastENS8_16StoreWithoutCastELi4ELi1EEEEEvT0_T1_.uses_flat_scratch)
	.set _ZN2at6native29vectorized_elementwise_kernelILi16EZZZNS0_12_GLOBAL__N_130modified_bessel_i1_kernel_cudaERNS_18TensorIteratorBaseEENKUlvE_clEvENKUlvE0_clEvEUlfE_St5arrayIPcLm2EEEEviT0_T1_.has_dyn_sized_stack, or(0, .L_ZN2at6native25elementwise_kernel_helperILb0EZZZNS0_12_GLOBAL__N_130modified_bessel_i1_kernel_cudaERNS_18TensorIteratorBaseEENKUlvE_clEvENKUlvE0_clEvEUlfE_NS0_6memory8policies10vectorizedILi4ESt5arrayIPcLm2EELi4EEEEEvT0_T1_.has_dyn_sized_stack, .L_ZN2at6native25elementwise_kernel_helperILb0EZZZNS0_12_GLOBAL__N_130modified_bessel_i1_kernel_cudaERNS_18TensorIteratorBaseEENKUlvE_clEvENKUlvE0_clEvEUlfE_NS0_6memory8policies11unroll_baseILi256ESt5arrayIPcLm2EE23TrivialOffsetCalculatorILi1EjESF_NS8_15LoadWithoutCastENS8_16StoreWithoutCastELi4ELi1EEEEEvT0_T1_.has_dyn_sized_stack)
	.set _ZN2at6native29vectorized_elementwise_kernelILi16EZZZNS0_12_GLOBAL__N_130modified_bessel_i1_kernel_cudaERNS_18TensorIteratorBaseEENKUlvE_clEvENKUlvE0_clEvEUlfE_St5arrayIPcLm2EEEEviT0_T1_.has_recursion, or(0, .L_ZN2at6native25elementwise_kernel_helperILb0EZZZNS0_12_GLOBAL__N_130modified_bessel_i1_kernel_cudaERNS_18TensorIteratorBaseEENKUlvE_clEvENKUlvE0_clEvEUlfE_NS0_6memory8policies10vectorizedILi4ESt5arrayIPcLm2EELi4EEEEEvT0_T1_.has_recursion, .L_ZN2at6native25elementwise_kernel_helperILb0EZZZNS0_12_GLOBAL__N_130modified_bessel_i1_kernel_cudaERNS_18TensorIteratorBaseEENKUlvE_clEvENKUlvE0_clEvEUlfE_NS0_6memory8policies11unroll_baseILi256ESt5arrayIPcLm2EE23TrivialOffsetCalculatorILi1EjESF_NS8_15LoadWithoutCastENS8_16StoreWithoutCastELi4ELi1EEEEEvT0_T1_.has_recursion)
	.set _ZN2at6native29vectorized_elementwise_kernelILi16EZZZNS0_12_GLOBAL__N_130modified_bessel_i1_kernel_cudaERNS_18TensorIteratorBaseEENKUlvE_clEvENKUlvE0_clEvEUlfE_St5arrayIPcLm2EEEEviT0_T1_.has_indirect_call, or(0, .L_ZN2at6native25elementwise_kernel_helperILb0EZZZNS0_12_GLOBAL__N_130modified_bessel_i1_kernel_cudaERNS_18TensorIteratorBaseEENKUlvE_clEvENKUlvE0_clEvEUlfE_NS0_6memory8policies10vectorizedILi4ESt5arrayIPcLm2EELi4EEEEEvT0_T1_.has_indirect_call, .L_ZN2at6native25elementwise_kernel_helperILb0EZZZNS0_12_GLOBAL__N_130modified_bessel_i1_kernel_cudaERNS_18TensorIteratorBaseEENKUlvE_clEvENKUlvE0_clEvEUlfE_NS0_6memory8policies11unroll_baseILi256ESt5arrayIPcLm2EE23TrivialOffsetCalculatorILi1EjESF_NS8_15LoadWithoutCastENS8_16StoreWithoutCastELi4ELi1EEEEEvT0_T1_.has_indirect_call)
	.section	.AMDGPU.csdata,"",@progbits
; Kernel info:
; codeLenInByte = 204
; TotalNumSgprs: 35
; NumVgprs: 32
; ScratchSize: 0
; MemoryBound: 0
; FloatMode: 240
; IeeeMode: 1
; LDSByteSize: 0 bytes/workgroup (compile time only)
; SGPRBlocks: 0
; VGPRBlocks: 1
; NumSGPRsForWavesPerEU: 35
; NumVGPRsForWavesPerEU: 32
; NamedBarCnt: 0
; Occupancy: 16
; WaveLimiterHint : 0
; COMPUTE_PGM_RSRC2:SCRATCH_EN: 0
; COMPUTE_PGM_RSRC2:USER_SGPR: 2
; COMPUTE_PGM_RSRC2:TRAP_HANDLER: 0
; COMPUTE_PGM_RSRC2:TGID_X_EN: 1
; COMPUTE_PGM_RSRC2:TGID_Y_EN: 0
; COMPUTE_PGM_RSRC2:TGID_Z_EN: 0
; COMPUTE_PGM_RSRC2:TIDIG_COMP_CNT: 0
	.section	.text._ZN2at6native29vectorized_elementwise_kernelILi8EZZZNS0_12_GLOBAL__N_130modified_bessel_i1_kernel_cudaERNS_18TensorIteratorBaseEENKUlvE_clEvENKUlvE0_clEvEUlfE_St5arrayIPcLm2EEEEviT0_T1_,"axG",@progbits,_ZN2at6native29vectorized_elementwise_kernelILi8EZZZNS0_12_GLOBAL__N_130modified_bessel_i1_kernel_cudaERNS_18TensorIteratorBaseEENKUlvE_clEvENKUlvE0_clEvEUlfE_St5arrayIPcLm2EEEEviT0_T1_,comdat
	.globl	_ZN2at6native29vectorized_elementwise_kernelILi8EZZZNS0_12_GLOBAL__N_130modified_bessel_i1_kernel_cudaERNS_18TensorIteratorBaseEENKUlvE_clEvENKUlvE0_clEvEUlfE_St5arrayIPcLm2EEEEviT0_T1_ ; -- Begin function _ZN2at6native29vectorized_elementwise_kernelILi8EZZZNS0_12_GLOBAL__N_130modified_bessel_i1_kernel_cudaERNS_18TensorIteratorBaseEENKUlvE_clEvENKUlvE0_clEvEUlfE_St5arrayIPcLm2EEEEviT0_T1_
	.p2align	8
	.type	_ZN2at6native29vectorized_elementwise_kernelILi8EZZZNS0_12_GLOBAL__N_130modified_bessel_i1_kernel_cudaERNS_18TensorIteratorBaseEENKUlvE_clEvENKUlvE0_clEvEUlfE_St5arrayIPcLm2EEEEviT0_T1_,@function
_ZN2at6native29vectorized_elementwise_kernelILi8EZZZNS0_12_GLOBAL__N_130modified_bessel_i1_kernel_cudaERNS_18TensorIteratorBaseEENKUlvE_clEvENKUlvE0_clEvEUlfE_St5arrayIPcLm2EEEEviT0_T1_: ; @_ZN2at6native29vectorized_elementwise_kernelILi8EZZZNS0_12_GLOBAL__N_130modified_bessel_i1_kernel_cudaERNS_18TensorIteratorBaseEENKUlvE_clEvENKUlvE0_clEvEUlfE_St5arrayIPcLm2EEEEviT0_T1_
; %bb.0:
	s_clause 0x1
	s_load_b32 s2, s[0:1], 0x0
	s_load_b128 s[8:11], s[0:1], 0x8
	s_wait_xcnt 0x0
	s_bfe_u32 s0, ttmp6, 0x4000c
	s_and_b32 s1, ttmp6, 15
	s_add_co_i32 s0, s0, 1
	s_getreg_b32 s3, hwreg(HW_REG_IB_STS2, 6, 4)
	s_mul_i32 s0, ttmp9, s0
	v_mov_b32_e32 v31, v0
	s_add_co_i32 s1, s1, s0
	s_cmp_eq_u32 s3, 0
	s_mov_b32 s32, 0
	s_cselect_b32 s0, ttmp9, s1
	s_delay_alu instid0(SALU_CYCLE_1)
	s_lshl_b32 s0, s0, 10
	s_wait_kmcnt 0x0
	s_sub_co_i32 s5, s2, s0
	s_mov_b32 s0, -1
	s_cmp_gt_i32 s5, 0x3ff
	s_cbranch_scc1 .LBB13_3
; %bb.1:
	s_and_not1_b32 vcc_lo, exec_lo, s0
	s_cbranch_vccz .LBB13_4
.LBB13_2:
	s_endpgm
.LBB13_3:
	v_dual_mov_b32 v0, s8 :: v_dual_mov_b32 v1, s9
	v_dual_mov_b32 v2, s10 :: v_dual_mov_b32 v3, s11
	s_get_pc_i64 s[0:1]
	s_add_nc_u64 s[0:1], s[0:1], _ZN2at6native25elementwise_kernel_helperILb0EZZZNS0_12_GLOBAL__N_130modified_bessel_i1_kernel_cudaERNS_18TensorIteratorBaseEENKUlvE_clEvENKUlvE0_clEvEUlfE_NS0_6memory8policies10vectorizedILi4ESt5arrayIPcLm2EELi4EEEEEvT0_T1_@rel64+4
	s_delay_alu instid0(SALU_CYCLE_1)
	s_swap_pc_i64 s[30:31], s[0:1]
	s_cbranch_execnz .LBB13_2
.LBB13_4:
	v_dual_mov_b32 v0, s8 :: v_dual_mov_b32 v1, s9
	v_dual_mov_b32 v2, s10 :: v_dual_mov_b32 v3, s11
	v_mov_b32_e32 v4, s5
	s_get_pc_i64 s[0:1]
	s_add_nc_u64 s[0:1], s[0:1], _ZN2at6native25elementwise_kernel_helperILb0EZZZNS0_12_GLOBAL__N_130modified_bessel_i1_kernel_cudaERNS_18TensorIteratorBaseEENKUlvE_clEvENKUlvE0_clEvEUlfE_NS0_6memory8policies11unroll_baseILi256ESt5arrayIPcLm2EE23TrivialOffsetCalculatorILi1EjESF_NS8_15LoadWithoutCastENS8_16StoreWithoutCastELi4ELi1EEEEEvT0_T1_@rel64+4
	s_delay_alu instid0(SALU_CYCLE_1)
	s_swap_pc_i64 s[30:31], s[0:1]
	s_endpgm
	.section	.rodata,"a",@progbits
	.p2align	6, 0x0
	.amdhsa_kernel _ZN2at6native29vectorized_elementwise_kernelILi8EZZZNS0_12_GLOBAL__N_130modified_bessel_i1_kernel_cudaERNS_18TensorIteratorBaseEENKUlvE_clEvENKUlvE0_clEvEUlfE_St5arrayIPcLm2EEEEviT0_T1_
		.amdhsa_group_segment_fixed_size 0
		.amdhsa_private_segment_fixed_size 0
		.amdhsa_kernarg_size 24
		.amdhsa_user_sgpr_count 2
		.amdhsa_user_sgpr_dispatch_ptr 0
		.amdhsa_user_sgpr_queue_ptr 0
		.amdhsa_user_sgpr_kernarg_segment_ptr 1
		.amdhsa_user_sgpr_dispatch_id 0
		.amdhsa_user_sgpr_kernarg_preload_length 0
		.amdhsa_user_sgpr_kernarg_preload_offset 0
		.amdhsa_user_sgpr_private_segment_size 0
		.amdhsa_wavefront_size32 1
		.amdhsa_uses_dynamic_stack 0
		.amdhsa_enable_private_segment 0
		.amdhsa_system_sgpr_workgroup_id_x 1
		.amdhsa_system_sgpr_workgroup_id_y 0
		.amdhsa_system_sgpr_workgroup_id_z 0
		.amdhsa_system_sgpr_workgroup_info 0
		.amdhsa_system_vgpr_workitem_id 0
		.amdhsa_next_free_vgpr 32
		.amdhsa_next_free_sgpr 33
		.amdhsa_named_barrier_count 0
		.amdhsa_reserve_vcc 1
		.amdhsa_float_round_mode_32 0
		.amdhsa_float_round_mode_16_64 0
		.amdhsa_float_denorm_mode_32 3
		.amdhsa_float_denorm_mode_16_64 3
		.amdhsa_fp16_overflow 0
		.amdhsa_memory_ordered 1
		.amdhsa_forward_progress 1
		.amdhsa_inst_pref_size 2
		.amdhsa_round_robin_scheduling 0
		.amdhsa_exception_fp_ieee_invalid_op 0
		.amdhsa_exception_fp_denorm_src 0
		.amdhsa_exception_fp_ieee_div_zero 0
		.amdhsa_exception_fp_ieee_overflow 0
		.amdhsa_exception_fp_ieee_underflow 0
		.amdhsa_exception_fp_ieee_inexact 0
		.amdhsa_exception_int_div_zero 0
	.end_amdhsa_kernel
	.section	.text._ZN2at6native29vectorized_elementwise_kernelILi8EZZZNS0_12_GLOBAL__N_130modified_bessel_i1_kernel_cudaERNS_18TensorIteratorBaseEENKUlvE_clEvENKUlvE0_clEvEUlfE_St5arrayIPcLm2EEEEviT0_T1_,"axG",@progbits,_ZN2at6native29vectorized_elementwise_kernelILi8EZZZNS0_12_GLOBAL__N_130modified_bessel_i1_kernel_cudaERNS_18TensorIteratorBaseEENKUlvE_clEvENKUlvE0_clEvEUlfE_St5arrayIPcLm2EEEEviT0_T1_,comdat
.Lfunc_end13:
	.size	_ZN2at6native29vectorized_elementwise_kernelILi8EZZZNS0_12_GLOBAL__N_130modified_bessel_i1_kernel_cudaERNS_18TensorIteratorBaseEENKUlvE_clEvENKUlvE0_clEvEUlfE_St5arrayIPcLm2EEEEviT0_T1_, .Lfunc_end13-_ZN2at6native29vectorized_elementwise_kernelILi8EZZZNS0_12_GLOBAL__N_130modified_bessel_i1_kernel_cudaERNS_18TensorIteratorBaseEENKUlvE_clEvENKUlvE0_clEvEUlfE_St5arrayIPcLm2EEEEviT0_T1_
                                        ; -- End function
	.set _ZN2at6native29vectorized_elementwise_kernelILi8EZZZNS0_12_GLOBAL__N_130modified_bessel_i1_kernel_cudaERNS_18TensorIteratorBaseEENKUlvE_clEvENKUlvE0_clEvEUlfE_St5arrayIPcLm2EEEEviT0_T1_.num_vgpr, max(32, .L_ZN2at6native25elementwise_kernel_helperILb0EZZZNS0_12_GLOBAL__N_130modified_bessel_i1_kernel_cudaERNS_18TensorIteratorBaseEENKUlvE_clEvENKUlvE0_clEvEUlfE_NS0_6memory8policies10vectorizedILi4ESt5arrayIPcLm2EELi4EEEEEvT0_T1_.num_vgpr, .L_ZN2at6native25elementwise_kernel_helperILb0EZZZNS0_12_GLOBAL__N_130modified_bessel_i1_kernel_cudaERNS_18TensorIteratorBaseEENKUlvE_clEvENKUlvE0_clEvEUlfE_NS0_6memory8policies11unroll_baseILi256ESt5arrayIPcLm2EE23TrivialOffsetCalculatorILi1EjESF_NS8_15LoadWithoutCastENS8_16StoreWithoutCastELi4ELi1EEEEEvT0_T1_.num_vgpr)
	.set _ZN2at6native29vectorized_elementwise_kernelILi8EZZZNS0_12_GLOBAL__N_130modified_bessel_i1_kernel_cudaERNS_18TensorIteratorBaseEENKUlvE_clEvENKUlvE0_clEvEUlfE_St5arrayIPcLm2EEEEviT0_T1_.num_agpr, max(0, .L_ZN2at6native25elementwise_kernel_helperILb0EZZZNS0_12_GLOBAL__N_130modified_bessel_i1_kernel_cudaERNS_18TensorIteratorBaseEENKUlvE_clEvENKUlvE0_clEvEUlfE_NS0_6memory8policies10vectorizedILi4ESt5arrayIPcLm2EELi4EEEEEvT0_T1_.num_agpr, .L_ZN2at6native25elementwise_kernel_helperILb0EZZZNS0_12_GLOBAL__N_130modified_bessel_i1_kernel_cudaERNS_18TensorIteratorBaseEENKUlvE_clEvENKUlvE0_clEvEUlfE_NS0_6memory8policies11unroll_baseILi256ESt5arrayIPcLm2EE23TrivialOffsetCalculatorILi1EjESF_NS8_15LoadWithoutCastENS8_16StoreWithoutCastELi4ELi1EEEEEvT0_T1_.num_agpr)
	.set _ZN2at6native29vectorized_elementwise_kernelILi8EZZZNS0_12_GLOBAL__N_130modified_bessel_i1_kernel_cudaERNS_18TensorIteratorBaseEENKUlvE_clEvENKUlvE0_clEvEUlfE_St5arrayIPcLm2EEEEviT0_T1_.numbered_sgpr, max(33, .L_ZN2at6native25elementwise_kernel_helperILb0EZZZNS0_12_GLOBAL__N_130modified_bessel_i1_kernel_cudaERNS_18TensorIteratorBaseEENKUlvE_clEvENKUlvE0_clEvEUlfE_NS0_6memory8policies10vectorizedILi4ESt5arrayIPcLm2EELi4EEEEEvT0_T1_.numbered_sgpr, .L_ZN2at6native25elementwise_kernel_helperILb0EZZZNS0_12_GLOBAL__N_130modified_bessel_i1_kernel_cudaERNS_18TensorIteratorBaseEENKUlvE_clEvENKUlvE0_clEvEUlfE_NS0_6memory8policies11unroll_baseILi256ESt5arrayIPcLm2EE23TrivialOffsetCalculatorILi1EjESF_NS8_15LoadWithoutCastENS8_16StoreWithoutCastELi4ELi1EEEEEvT0_T1_.numbered_sgpr)
	.set _ZN2at6native29vectorized_elementwise_kernelILi8EZZZNS0_12_GLOBAL__N_130modified_bessel_i1_kernel_cudaERNS_18TensorIteratorBaseEENKUlvE_clEvENKUlvE0_clEvEUlfE_St5arrayIPcLm2EEEEviT0_T1_.num_named_barrier, max(0, .L_ZN2at6native25elementwise_kernel_helperILb0EZZZNS0_12_GLOBAL__N_130modified_bessel_i1_kernel_cudaERNS_18TensorIteratorBaseEENKUlvE_clEvENKUlvE0_clEvEUlfE_NS0_6memory8policies10vectorizedILi4ESt5arrayIPcLm2EELi4EEEEEvT0_T1_.num_named_barrier, .L_ZN2at6native25elementwise_kernel_helperILb0EZZZNS0_12_GLOBAL__N_130modified_bessel_i1_kernel_cudaERNS_18TensorIteratorBaseEENKUlvE_clEvENKUlvE0_clEvEUlfE_NS0_6memory8policies11unroll_baseILi256ESt5arrayIPcLm2EE23TrivialOffsetCalculatorILi1EjESF_NS8_15LoadWithoutCastENS8_16StoreWithoutCastELi4ELi1EEEEEvT0_T1_.num_named_barrier)
	.set _ZN2at6native29vectorized_elementwise_kernelILi8EZZZNS0_12_GLOBAL__N_130modified_bessel_i1_kernel_cudaERNS_18TensorIteratorBaseEENKUlvE_clEvENKUlvE0_clEvEUlfE_St5arrayIPcLm2EEEEviT0_T1_.private_seg_size, 0+max(.L_ZN2at6native25elementwise_kernel_helperILb0EZZZNS0_12_GLOBAL__N_130modified_bessel_i1_kernel_cudaERNS_18TensorIteratorBaseEENKUlvE_clEvENKUlvE0_clEvEUlfE_NS0_6memory8policies10vectorizedILi4ESt5arrayIPcLm2EELi4EEEEEvT0_T1_.private_seg_size, .L_ZN2at6native25elementwise_kernel_helperILb0EZZZNS0_12_GLOBAL__N_130modified_bessel_i1_kernel_cudaERNS_18TensorIteratorBaseEENKUlvE_clEvENKUlvE0_clEvEUlfE_NS0_6memory8policies11unroll_baseILi256ESt5arrayIPcLm2EE23TrivialOffsetCalculatorILi1EjESF_NS8_15LoadWithoutCastENS8_16StoreWithoutCastELi4ELi1EEEEEvT0_T1_.private_seg_size)
	.set _ZN2at6native29vectorized_elementwise_kernelILi8EZZZNS0_12_GLOBAL__N_130modified_bessel_i1_kernel_cudaERNS_18TensorIteratorBaseEENKUlvE_clEvENKUlvE0_clEvEUlfE_St5arrayIPcLm2EEEEviT0_T1_.uses_vcc, or(1, .L_ZN2at6native25elementwise_kernel_helperILb0EZZZNS0_12_GLOBAL__N_130modified_bessel_i1_kernel_cudaERNS_18TensorIteratorBaseEENKUlvE_clEvENKUlvE0_clEvEUlfE_NS0_6memory8policies10vectorizedILi4ESt5arrayIPcLm2EELi4EEEEEvT0_T1_.uses_vcc, .L_ZN2at6native25elementwise_kernel_helperILb0EZZZNS0_12_GLOBAL__N_130modified_bessel_i1_kernel_cudaERNS_18TensorIteratorBaseEENKUlvE_clEvENKUlvE0_clEvEUlfE_NS0_6memory8policies11unroll_baseILi256ESt5arrayIPcLm2EE23TrivialOffsetCalculatorILi1EjESF_NS8_15LoadWithoutCastENS8_16StoreWithoutCastELi4ELi1EEEEEvT0_T1_.uses_vcc)
	.set _ZN2at6native29vectorized_elementwise_kernelILi8EZZZNS0_12_GLOBAL__N_130modified_bessel_i1_kernel_cudaERNS_18TensorIteratorBaseEENKUlvE_clEvENKUlvE0_clEvEUlfE_St5arrayIPcLm2EEEEviT0_T1_.uses_flat_scratch, or(0, .L_ZN2at6native25elementwise_kernel_helperILb0EZZZNS0_12_GLOBAL__N_130modified_bessel_i1_kernel_cudaERNS_18TensorIteratorBaseEENKUlvE_clEvENKUlvE0_clEvEUlfE_NS0_6memory8policies10vectorizedILi4ESt5arrayIPcLm2EELi4EEEEEvT0_T1_.uses_flat_scratch, .L_ZN2at6native25elementwise_kernel_helperILb0EZZZNS0_12_GLOBAL__N_130modified_bessel_i1_kernel_cudaERNS_18TensorIteratorBaseEENKUlvE_clEvENKUlvE0_clEvEUlfE_NS0_6memory8policies11unroll_baseILi256ESt5arrayIPcLm2EE23TrivialOffsetCalculatorILi1EjESF_NS8_15LoadWithoutCastENS8_16StoreWithoutCastELi4ELi1EEEEEvT0_T1_.uses_flat_scratch)
	.set _ZN2at6native29vectorized_elementwise_kernelILi8EZZZNS0_12_GLOBAL__N_130modified_bessel_i1_kernel_cudaERNS_18TensorIteratorBaseEENKUlvE_clEvENKUlvE0_clEvEUlfE_St5arrayIPcLm2EEEEviT0_T1_.has_dyn_sized_stack, or(0, .L_ZN2at6native25elementwise_kernel_helperILb0EZZZNS0_12_GLOBAL__N_130modified_bessel_i1_kernel_cudaERNS_18TensorIteratorBaseEENKUlvE_clEvENKUlvE0_clEvEUlfE_NS0_6memory8policies10vectorizedILi4ESt5arrayIPcLm2EELi4EEEEEvT0_T1_.has_dyn_sized_stack, .L_ZN2at6native25elementwise_kernel_helperILb0EZZZNS0_12_GLOBAL__N_130modified_bessel_i1_kernel_cudaERNS_18TensorIteratorBaseEENKUlvE_clEvENKUlvE0_clEvEUlfE_NS0_6memory8policies11unroll_baseILi256ESt5arrayIPcLm2EE23TrivialOffsetCalculatorILi1EjESF_NS8_15LoadWithoutCastENS8_16StoreWithoutCastELi4ELi1EEEEEvT0_T1_.has_dyn_sized_stack)
	.set _ZN2at6native29vectorized_elementwise_kernelILi8EZZZNS0_12_GLOBAL__N_130modified_bessel_i1_kernel_cudaERNS_18TensorIteratorBaseEENKUlvE_clEvENKUlvE0_clEvEUlfE_St5arrayIPcLm2EEEEviT0_T1_.has_recursion, or(0, .L_ZN2at6native25elementwise_kernel_helperILb0EZZZNS0_12_GLOBAL__N_130modified_bessel_i1_kernel_cudaERNS_18TensorIteratorBaseEENKUlvE_clEvENKUlvE0_clEvEUlfE_NS0_6memory8policies10vectorizedILi4ESt5arrayIPcLm2EELi4EEEEEvT0_T1_.has_recursion, .L_ZN2at6native25elementwise_kernel_helperILb0EZZZNS0_12_GLOBAL__N_130modified_bessel_i1_kernel_cudaERNS_18TensorIteratorBaseEENKUlvE_clEvENKUlvE0_clEvEUlfE_NS0_6memory8policies11unroll_baseILi256ESt5arrayIPcLm2EE23TrivialOffsetCalculatorILi1EjESF_NS8_15LoadWithoutCastENS8_16StoreWithoutCastELi4ELi1EEEEEvT0_T1_.has_recursion)
	.set _ZN2at6native29vectorized_elementwise_kernelILi8EZZZNS0_12_GLOBAL__N_130modified_bessel_i1_kernel_cudaERNS_18TensorIteratorBaseEENKUlvE_clEvENKUlvE0_clEvEUlfE_St5arrayIPcLm2EEEEviT0_T1_.has_indirect_call, or(0, .L_ZN2at6native25elementwise_kernel_helperILb0EZZZNS0_12_GLOBAL__N_130modified_bessel_i1_kernel_cudaERNS_18TensorIteratorBaseEENKUlvE_clEvENKUlvE0_clEvEUlfE_NS0_6memory8policies10vectorizedILi4ESt5arrayIPcLm2EELi4EEEEEvT0_T1_.has_indirect_call, .L_ZN2at6native25elementwise_kernel_helperILb0EZZZNS0_12_GLOBAL__N_130modified_bessel_i1_kernel_cudaERNS_18TensorIteratorBaseEENKUlvE_clEvENKUlvE0_clEvEUlfE_NS0_6memory8policies11unroll_baseILi256ESt5arrayIPcLm2EE23TrivialOffsetCalculatorILi1EjESF_NS8_15LoadWithoutCastENS8_16StoreWithoutCastELi4ELi1EEEEEvT0_T1_.has_indirect_call)
	.section	.AMDGPU.csdata,"",@progbits
; Kernel info:
; codeLenInByte = 204
; TotalNumSgprs: 35
; NumVgprs: 32
; ScratchSize: 0
; MemoryBound: 0
; FloatMode: 240
; IeeeMode: 1
; LDSByteSize: 0 bytes/workgroup (compile time only)
; SGPRBlocks: 0
; VGPRBlocks: 1
; NumSGPRsForWavesPerEU: 35
; NumVGPRsForWavesPerEU: 32
; NamedBarCnt: 0
; Occupancy: 16
; WaveLimiterHint : 0
; COMPUTE_PGM_RSRC2:SCRATCH_EN: 0
; COMPUTE_PGM_RSRC2:USER_SGPR: 2
; COMPUTE_PGM_RSRC2:TRAP_HANDLER: 0
; COMPUTE_PGM_RSRC2:TGID_X_EN: 1
; COMPUTE_PGM_RSRC2:TGID_Y_EN: 0
; COMPUTE_PGM_RSRC2:TGID_Z_EN: 0
; COMPUTE_PGM_RSRC2:TIDIG_COMP_CNT: 0
	.section	.text._ZN2at6native29vectorized_elementwise_kernelILi4EZZZNS0_12_GLOBAL__N_130modified_bessel_i1_kernel_cudaERNS_18TensorIteratorBaseEENKUlvE_clEvENKUlvE0_clEvEUlfE_St5arrayIPcLm2EEEEviT0_T1_,"axG",@progbits,_ZN2at6native29vectorized_elementwise_kernelILi4EZZZNS0_12_GLOBAL__N_130modified_bessel_i1_kernel_cudaERNS_18TensorIteratorBaseEENKUlvE_clEvENKUlvE0_clEvEUlfE_St5arrayIPcLm2EEEEviT0_T1_,comdat
	.globl	_ZN2at6native29vectorized_elementwise_kernelILi4EZZZNS0_12_GLOBAL__N_130modified_bessel_i1_kernel_cudaERNS_18TensorIteratorBaseEENKUlvE_clEvENKUlvE0_clEvEUlfE_St5arrayIPcLm2EEEEviT0_T1_ ; -- Begin function _ZN2at6native29vectorized_elementwise_kernelILi4EZZZNS0_12_GLOBAL__N_130modified_bessel_i1_kernel_cudaERNS_18TensorIteratorBaseEENKUlvE_clEvENKUlvE0_clEvEUlfE_St5arrayIPcLm2EEEEviT0_T1_
	.p2align	8
	.type	_ZN2at6native29vectorized_elementwise_kernelILi4EZZZNS0_12_GLOBAL__N_130modified_bessel_i1_kernel_cudaERNS_18TensorIteratorBaseEENKUlvE_clEvENKUlvE0_clEvEUlfE_St5arrayIPcLm2EEEEviT0_T1_,@function
_ZN2at6native29vectorized_elementwise_kernelILi4EZZZNS0_12_GLOBAL__N_130modified_bessel_i1_kernel_cudaERNS_18TensorIteratorBaseEENKUlvE_clEvENKUlvE0_clEvEUlfE_St5arrayIPcLm2EEEEviT0_T1_: ; @_ZN2at6native29vectorized_elementwise_kernelILi4EZZZNS0_12_GLOBAL__N_130modified_bessel_i1_kernel_cudaERNS_18TensorIteratorBaseEENKUlvE_clEvENKUlvE0_clEvEUlfE_St5arrayIPcLm2EEEEviT0_T1_
; %bb.0:
	s_clause 0x1
	s_load_b32 s2, s[0:1], 0x0
	s_load_b128 s[8:11], s[0:1], 0x8
	s_wait_xcnt 0x0
	s_bfe_u32 s0, ttmp6, 0x4000c
	s_and_b32 s1, ttmp6, 15
	s_add_co_i32 s0, s0, 1
	s_getreg_b32 s3, hwreg(HW_REG_IB_STS2, 6, 4)
	s_mul_i32 s0, ttmp9, s0
	v_mov_b32_e32 v31, v0
	s_add_co_i32 s1, s1, s0
	s_cmp_eq_u32 s3, 0
	s_mov_b32 s32, 0
	s_cselect_b32 s0, ttmp9, s1
	s_delay_alu instid0(SALU_CYCLE_1)
	s_lshl_b32 s0, s0, 10
	s_wait_kmcnt 0x0
	s_sub_co_i32 s5, s2, s0
	s_mov_b32 s0, -1
	s_cmp_gt_i32 s5, 0x3ff
	s_cbranch_scc1 .LBB14_3
; %bb.1:
	s_and_not1_b32 vcc_lo, exec_lo, s0
	s_cbranch_vccz .LBB14_4
.LBB14_2:
	s_endpgm
.LBB14_3:
	v_dual_mov_b32 v0, s8 :: v_dual_mov_b32 v1, s9
	v_dual_mov_b32 v2, s10 :: v_dual_mov_b32 v3, s11
	s_get_pc_i64 s[0:1]
	s_add_nc_u64 s[0:1], s[0:1], _ZN2at6native25elementwise_kernel_helperILb0EZZZNS0_12_GLOBAL__N_130modified_bessel_i1_kernel_cudaERNS_18TensorIteratorBaseEENKUlvE_clEvENKUlvE0_clEvEUlfE_NS0_6memory8policies10vectorizedILi4ESt5arrayIPcLm2EELi4EEEEEvT0_T1_@rel64+4
	s_delay_alu instid0(SALU_CYCLE_1)
	s_swap_pc_i64 s[30:31], s[0:1]
	s_cbranch_execnz .LBB14_2
.LBB14_4:
	v_dual_mov_b32 v0, s8 :: v_dual_mov_b32 v1, s9
	v_dual_mov_b32 v2, s10 :: v_dual_mov_b32 v3, s11
	v_mov_b32_e32 v4, s5
	s_get_pc_i64 s[0:1]
	s_add_nc_u64 s[0:1], s[0:1], _ZN2at6native25elementwise_kernel_helperILb0EZZZNS0_12_GLOBAL__N_130modified_bessel_i1_kernel_cudaERNS_18TensorIteratorBaseEENKUlvE_clEvENKUlvE0_clEvEUlfE_NS0_6memory8policies11unroll_baseILi256ESt5arrayIPcLm2EE23TrivialOffsetCalculatorILi1EjESF_NS8_15LoadWithoutCastENS8_16StoreWithoutCastELi4ELi1EEEEEvT0_T1_@rel64+4
	s_delay_alu instid0(SALU_CYCLE_1)
	s_swap_pc_i64 s[30:31], s[0:1]
	s_endpgm
	.section	.rodata,"a",@progbits
	.p2align	6, 0x0
	.amdhsa_kernel _ZN2at6native29vectorized_elementwise_kernelILi4EZZZNS0_12_GLOBAL__N_130modified_bessel_i1_kernel_cudaERNS_18TensorIteratorBaseEENKUlvE_clEvENKUlvE0_clEvEUlfE_St5arrayIPcLm2EEEEviT0_T1_
		.amdhsa_group_segment_fixed_size 0
		.amdhsa_private_segment_fixed_size 0
		.amdhsa_kernarg_size 24
		.amdhsa_user_sgpr_count 2
		.amdhsa_user_sgpr_dispatch_ptr 0
		.amdhsa_user_sgpr_queue_ptr 0
		.amdhsa_user_sgpr_kernarg_segment_ptr 1
		.amdhsa_user_sgpr_dispatch_id 0
		.amdhsa_user_sgpr_kernarg_preload_length 0
		.amdhsa_user_sgpr_kernarg_preload_offset 0
		.amdhsa_user_sgpr_private_segment_size 0
		.amdhsa_wavefront_size32 1
		.amdhsa_uses_dynamic_stack 0
		.amdhsa_enable_private_segment 0
		.amdhsa_system_sgpr_workgroup_id_x 1
		.amdhsa_system_sgpr_workgroup_id_y 0
		.amdhsa_system_sgpr_workgroup_id_z 0
		.amdhsa_system_sgpr_workgroup_info 0
		.amdhsa_system_vgpr_workitem_id 0
		.amdhsa_next_free_vgpr 32
		.amdhsa_next_free_sgpr 33
		.amdhsa_named_barrier_count 0
		.amdhsa_reserve_vcc 1
		.amdhsa_float_round_mode_32 0
		.amdhsa_float_round_mode_16_64 0
		.amdhsa_float_denorm_mode_32 3
		.amdhsa_float_denorm_mode_16_64 3
		.amdhsa_fp16_overflow 0
		.amdhsa_memory_ordered 1
		.amdhsa_forward_progress 1
		.amdhsa_inst_pref_size 2
		.amdhsa_round_robin_scheduling 0
		.amdhsa_exception_fp_ieee_invalid_op 0
		.amdhsa_exception_fp_denorm_src 0
		.amdhsa_exception_fp_ieee_div_zero 0
		.amdhsa_exception_fp_ieee_overflow 0
		.amdhsa_exception_fp_ieee_underflow 0
		.amdhsa_exception_fp_ieee_inexact 0
		.amdhsa_exception_int_div_zero 0
	.end_amdhsa_kernel
	.section	.text._ZN2at6native29vectorized_elementwise_kernelILi4EZZZNS0_12_GLOBAL__N_130modified_bessel_i1_kernel_cudaERNS_18TensorIteratorBaseEENKUlvE_clEvENKUlvE0_clEvEUlfE_St5arrayIPcLm2EEEEviT0_T1_,"axG",@progbits,_ZN2at6native29vectorized_elementwise_kernelILi4EZZZNS0_12_GLOBAL__N_130modified_bessel_i1_kernel_cudaERNS_18TensorIteratorBaseEENKUlvE_clEvENKUlvE0_clEvEUlfE_St5arrayIPcLm2EEEEviT0_T1_,comdat
.Lfunc_end14:
	.size	_ZN2at6native29vectorized_elementwise_kernelILi4EZZZNS0_12_GLOBAL__N_130modified_bessel_i1_kernel_cudaERNS_18TensorIteratorBaseEENKUlvE_clEvENKUlvE0_clEvEUlfE_St5arrayIPcLm2EEEEviT0_T1_, .Lfunc_end14-_ZN2at6native29vectorized_elementwise_kernelILi4EZZZNS0_12_GLOBAL__N_130modified_bessel_i1_kernel_cudaERNS_18TensorIteratorBaseEENKUlvE_clEvENKUlvE0_clEvEUlfE_St5arrayIPcLm2EEEEviT0_T1_
                                        ; -- End function
	.set _ZN2at6native29vectorized_elementwise_kernelILi4EZZZNS0_12_GLOBAL__N_130modified_bessel_i1_kernel_cudaERNS_18TensorIteratorBaseEENKUlvE_clEvENKUlvE0_clEvEUlfE_St5arrayIPcLm2EEEEviT0_T1_.num_vgpr, max(32, .L_ZN2at6native25elementwise_kernel_helperILb0EZZZNS0_12_GLOBAL__N_130modified_bessel_i1_kernel_cudaERNS_18TensorIteratorBaseEENKUlvE_clEvENKUlvE0_clEvEUlfE_NS0_6memory8policies10vectorizedILi4ESt5arrayIPcLm2EELi4EEEEEvT0_T1_.num_vgpr, .L_ZN2at6native25elementwise_kernel_helperILb0EZZZNS0_12_GLOBAL__N_130modified_bessel_i1_kernel_cudaERNS_18TensorIteratorBaseEENKUlvE_clEvENKUlvE0_clEvEUlfE_NS0_6memory8policies11unroll_baseILi256ESt5arrayIPcLm2EE23TrivialOffsetCalculatorILi1EjESF_NS8_15LoadWithoutCastENS8_16StoreWithoutCastELi4ELi1EEEEEvT0_T1_.num_vgpr)
	.set _ZN2at6native29vectorized_elementwise_kernelILi4EZZZNS0_12_GLOBAL__N_130modified_bessel_i1_kernel_cudaERNS_18TensorIteratorBaseEENKUlvE_clEvENKUlvE0_clEvEUlfE_St5arrayIPcLm2EEEEviT0_T1_.num_agpr, max(0, .L_ZN2at6native25elementwise_kernel_helperILb0EZZZNS0_12_GLOBAL__N_130modified_bessel_i1_kernel_cudaERNS_18TensorIteratorBaseEENKUlvE_clEvENKUlvE0_clEvEUlfE_NS0_6memory8policies10vectorizedILi4ESt5arrayIPcLm2EELi4EEEEEvT0_T1_.num_agpr, .L_ZN2at6native25elementwise_kernel_helperILb0EZZZNS0_12_GLOBAL__N_130modified_bessel_i1_kernel_cudaERNS_18TensorIteratorBaseEENKUlvE_clEvENKUlvE0_clEvEUlfE_NS0_6memory8policies11unroll_baseILi256ESt5arrayIPcLm2EE23TrivialOffsetCalculatorILi1EjESF_NS8_15LoadWithoutCastENS8_16StoreWithoutCastELi4ELi1EEEEEvT0_T1_.num_agpr)
	.set _ZN2at6native29vectorized_elementwise_kernelILi4EZZZNS0_12_GLOBAL__N_130modified_bessel_i1_kernel_cudaERNS_18TensorIteratorBaseEENKUlvE_clEvENKUlvE0_clEvEUlfE_St5arrayIPcLm2EEEEviT0_T1_.numbered_sgpr, max(33, .L_ZN2at6native25elementwise_kernel_helperILb0EZZZNS0_12_GLOBAL__N_130modified_bessel_i1_kernel_cudaERNS_18TensorIteratorBaseEENKUlvE_clEvENKUlvE0_clEvEUlfE_NS0_6memory8policies10vectorizedILi4ESt5arrayIPcLm2EELi4EEEEEvT0_T1_.numbered_sgpr, .L_ZN2at6native25elementwise_kernel_helperILb0EZZZNS0_12_GLOBAL__N_130modified_bessel_i1_kernel_cudaERNS_18TensorIteratorBaseEENKUlvE_clEvENKUlvE0_clEvEUlfE_NS0_6memory8policies11unroll_baseILi256ESt5arrayIPcLm2EE23TrivialOffsetCalculatorILi1EjESF_NS8_15LoadWithoutCastENS8_16StoreWithoutCastELi4ELi1EEEEEvT0_T1_.numbered_sgpr)
	.set _ZN2at6native29vectorized_elementwise_kernelILi4EZZZNS0_12_GLOBAL__N_130modified_bessel_i1_kernel_cudaERNS_18TensorIteratorBaseEENKUlvE_clEvENKUlvE0_clEvEUlfE_St5arrayIPcLm2EEEEviT0_T1_.num_named_barrier, max(0, .L_ZN2at6native25elementwise_kernel_helperILb0EZZZNS0_12_GLOBAL__N_130modified_bessel_i1_kernel_cudaERNS_18TensorIteratorBaseEENKUlvE_clEvENKUlvE0_clEvEUlfE_NS0_6memory8policies10vectorizedILi4ESt5arrayIPcLm2EELi4EEEEEvT0_T1_.num_named_barrier, .L_ZN2at6native25elementwise_kernel_helperILb0EZZZNS0_12_GLOBAL__N_130modified_bessel_i1_kernel_cudaERNS_18TensorIteratorBaseEENKUlvE_clEvENKUlvE0_clEvEUlfE_NS0_6memory8policies11unroll_baseILi256ESt5arrayIPcLm2EE23TrivialOffsetCalculatorILi1EjESF_NS8_15LoadWithoutCastENS8_16StoreWithoutCastELi4ELi1EEEEEvT0_T1_.num_named_barrier)
	.set _ZN2at6native29vectorized_elementwise_kernelILi4EZZZNS0_12_GLOBAL__N_130modified_bessel_i1_kernel_cudaERNS_18TensorIteratorBaseEENKUlvE_clEvENKUlvE0_clEvEUlfE_St5arrayIPcLm2EEEEviT0_T1_.private_seg_size, 0+max(.L_ZN2at6native25elementwise_kernel_helperILb0EZZZNS0_12_GLOBAL__N_130modified_bessel_i1_kernel_cudaERNS_18TensorIteratorBaseEENKUlvE_clEvENKUlvE0_clEvEUlfE_NS0_6memory8policies10vectorizedILi4ESt5arrayIPcLm2EELi4EEEEEvT0_T1_.private_seg_size, .L_ZN2at6native25elementwise_kernel_helperILb0EZZZNS0_12_GLOBAL__N_130modified_bessel_i1_kernel_cudaERNS_18TensorIteratorBaseEENKUlvE_clEvENKUlvE0_clEvEUlfE_NS0_6memory8policies11unroll_baseILi256ESt5arrayIPcLm2EE23TrivialOffsetCalculatorILi1EjESF_NS8_15LoadWithoutCastENS8_16StoreWithoutCastELi4ELi1EEEEEvT0_T1_.private_seg_size)
	.set _ZN2at6native29vectorized_elementwise_kernelILi4EZZZNS0_12_GLOBAL__N_130modified_bessel_i1_kernel_cudaERNS_18TensorIteratorBaseEENKUlvE_clEvENKUlvE0_clEvEUlfE_St5arrayIPcLm2EEEEviT0_T1_.uses_vcc, or(1, .L_ZN2at6native25elementwise_kernel_helperILb0EZZZNS0_12_GLOBAL__N_130modified_bessel_i1_kernel_cudaERNS_18TensorIteratorBaseEENKUlvE_clEvENKUlvE0_clEvEUlfE_NS0_6memory8policies10vectorizedILi4ESt5arrayIPcLm2EELi4EEEEEvT0_T1_.uses_vcc, .L_ZN2at6native25elementwise_kernel_helperILb0EZZZNS0_12_GLOBAL__N_130modified_bessel_i1_kernel_cudaERNS_18TensorIteratorBaseEENKUlvE_clEvENKUlvE0_clEvEUlfE_NS0_6memory8policies11unroll_baseILi256ESt5arrayIPcLm2EE23TrivialOffsetCalculatorILi1EjESF_NS8_15LoadWithoutCastENS8_16StoreWithoutCastELi4ELi1EEEEEvT0_T1_.uses_vcc)
	.set _ZN2at6native29vectorized_elementwise_kernelILi4EZZZNS0_12_GLOBAL__N_130modified_bessel_i1_kernel_cudaERNS_18TensorIteratorBaseEENKUlvE_clEvENKUlvE0_clEvEUlfE_St5arrayIPcLm2EEEEviT0_T1_.uses_flat_scratch, or(0, .L_ZN2at6native25elementwise_kernel_helperILb0EZZZNS0_12_GLOBAL__N_130modified_bessel_i1_kernel_cudaERNS_18TensorIteratorBaseEENKUlvE_clEvENKUlvE0_clEvEUlfE_NS0_6memory8policies10vectorizedILi4ESt5arrayIPcLm2EELi4EEEEEvT0_T1_.uses_flat_scratch, .L_ZN2at6native25elementwise_kernel_helperILb0EZZZNS0_12_GLOBAL__N_130modified_bessel_i1_kernel_cudaERNS_18TensorIteratorBaseEENKUlvE_clEvENKUlvE0_clEvEUlfE_NS0_6memory8policies11unroll_baseILi256ESt5arrayIPcLm2EE23TrivialOffsetCalculatorILi1EjESF_NS8_15LoadWithoutCastENS8_16StoreWithoutCastELi4ELi1EEEEEvT0_T1_.uses_flat_scratch)
	.set _ZN2at6native29vectorized_elementwise_kernelILi4EZZZNS0_12_GLOBAL__N_130modified_bessel_i1_kernel_cudaERNS_18TensorIteratorBaseEENKUlvE_clEvENKUlvE0_clEvEUlfE_St5arrayIPcLm2EEEEviT0_T1_.has_dyn_sized_stack, or(0, .L_ZN2at6native25elementwise_kernel_helperILb0EZZZNS0_12_GLOBAL__N_130modified_bessel_i1_kernel_cudaERNS_18TensorIteratorBaseEENKUlvE_clEvENKUlvE0_clEvEUlfE_NS0_6memory8policies10vectorizedILi4ESt5arrayIPcLm2EELi4EEEEEvT0_T1_.has_dyn_sized_stack, .L_ZN2at6native25elementwise_kernel_helperILb0EZZZNS0_12_GLOBAL__N_130modified_bessel_i1_kernel_cudaERNS_18TensorIteratorBaseEENKUlvE_clEvENKUlvE0_clEvEUlfE_NS0_6memory8policies11unroll_baseILi256ESt5arrayIPcLm2EE23TrivialOffsetCalculatorILi1EjESF_NS8_15LoadWithoutCastENS8_16StoreWithoutCastELi4ELi1EEEEEvT0_T1_.has_dyn_sized_stack)
	.set _ZN2at6native29vectorized_elementwise_kernelILi4EZZZNS0_12_GLOBAL__N_130modified_bessel_i1_kernel_cudaERNS_18TensorIteratorBaseEENKUlvE_clEvENKUlvE0_clEvEUlfE_St5arrayIPcLm2EEEEviT0_T1_.has_recursion, or(0, .L_ZN2at6native25elementwise_kernel_helperILb0EZZZNS0_12_GLOBAL__N_130modified_bessel_i1_kernel_cudaERNS_18TensorIteratorBaseEENKUlvE_clEvENKUlvE0_clEvEUlfE_NS0_6memory8policies10vectorizedILi4ESt5arrayIPcLm2EELi4EEEEEvT0_T1_.has_recursion, .L_ZN2at6native25elementwise_kernel_helperILb0EZZZNS0_12_GLOBAL__N_130modified_bessel_i1_kernel_cudaERNS_18TensorIteratorBaseEENKUlvE_clEvENKUlvE0_clEvEUlfE_NS0_6memory8policies11unroll_baseILi256ESt5arrayIPcLm2EE23TrivialOffsetCalculatorILi1EjESF_NS8_15LoadWithoutCastENS8_16StoreWithoutCastELi4ELi1EEEEEvT0_T1_.has_recursion)
	.set _ZN2at6native29vectorized_elementwise_kernelILi4EZZZNS0_12_GLOBAL__N_130modified_bessel_i1_kernel_cudaERNS_18TensorIteratorBaseEENKUlvE_clEvENKUlvE0_clEvEUlfE_St5arrayIPcLm2EEEEviT0_T1_.has_indirect_call, or(0, .L_ZN2at6native25elementwise_kernel_helperILb0EZZZNS0_12_GLOBAL__N_130modified_bessel_i1_kernel_cudaERNS_18TensorIteratorBaseEENKUlvE_clEvENKUlvE0_clEvEUlfE_NS0_6memory8policies10vectorizedILi4ESt5arrayIPcLm2EELi4EEEEEvT0_T1_.has_indirect_call, .L_ZN2at6native25elementwise_kernel_helperILb0EZZZNS0_12_GLOBAL__N_130modified_bessel_i1_kernel_cudaERNS_18TensorIteratorBaseEENKUlvE_clEvENKUlvE0_clEvEUlfE_NS0_6memory8policies11unroll_baseILi256ESt5arrayIPcLm2EE23TrivialOffsetCalculatorILi1EjESF_NS8_15LoadWithoutCastENS8_16StoreWithoutCastELi4ELi1EEEEEvT0_T1_.has_indirect_call)
	.section	.AMDGPU.csdata,"",@progbits
; Kernel info:
; codeLenInByte = 204
; TotalNumSgprs: 35
; NumVgprs: 32
; ScratchSize: 0
; MemoryBound: 0
; FloatMode: 240
; IeeeMode: 1
; LDSByteSize: 0 bytes/workgroup (compile time only)
; SGPRBlocks: 0
; VGPRBlocks: 1
; NumSGPRsForWavesPerEU: 35
; NumVGPRsForWavesPerEU: 32
; NamedBarCnt: 0
; Occupancy: 16
; WaveLimiterHint : 0
; COMPUTE_PGM_RSRC2:SCRATCH_EN: 0
; COMPUTE_PGM_RSRC2:USER_SGPR: 2
; COMPUTE_PGM_RSRC2:TRAP_HANDLER: 0
; COMPUTE_PGM_RSRC2:TGID_X_EN: 1
; COMPUTE_PGM_RSRC2:TGID_Y_EN: 0
; COMPUTE_PGM_RSRC2:TGID_Z_EN: 0
; COMPUTE_PGM_RSRC2:TIDIG_COMP_CNT: 0
	.section	.text._ZN2at6native29vectorized_elementwise_kernelILi2EZZZNS0_12_GLOBAL__N_130modified_bessel_i1_kernel_cudaERNS_18TensorIteratorBaseEENKUlvE_clEvENKUlvE0_clEvEUlfE_St5arrayIPcLm2EEEEviT0_T1_,"axG",@progbits,_ZN2at6native29vectorized_elementwise_kernelILi2EZZZNS0_12_GLOBAL__N_130modified_bessel_i1_kernel_cudaERNS_18TensorIteratorBaseEENKUlvE_clEvENKUlvE0_clEvEUlfE_St5arrayIPcLm2EEEEviT0_T1_,comdat
	.globl	_ZN2at6native29vectorized_elementwise_kernelILi2EZZZNS0_12_GLOBAL__N_130modified_bessel_i1_kernel_cudaERNS_18TensorIteratorBaseEENKUlvE_clEvENKUlvE0_clEvEUlfE_St5arrayIPcLm2EEEEviT0_T1_ ; -- Begin function _ZN2at6native29vectorized_elementwise_kernelILi2EZZZNS0_12_GLOBAL__N_130modified_bessel_i1_kernel_cudaERNS_18TensorIteratorBaseEENKUlvE_clEvENKUlvE0_clEvEUlfE_St5arrayIPcLm2EEEEviT0_T1_
	.p2align	8
	.type	_ZN2at6native29vectorized_elementwise_kernelILi2EZZZNS0_12_GLOBAL__N_130modified_bessel_i1_kernel_cudaERNS_18TensorIteratorBaseEENKUlvE_clEvENKUlvE0_clEvEUlfE_St5arrayIPcLm2EEEEviT0_T1_,@function
_ZN2at6native29vectorized_elementwise_kernelILi2EZZZNS0_12_GLOBAL__N_130modified_bessel_i1_kernel_cudaERNS_18TensorIteratorBaseEENKUlvE_clEvENKUlvE0_clEvEUlfE_St5arrayIPcLm2EEEEviT0_T1_: ; @_ZN2at6native29vectorized_elementwise_kernelILi2EZZZNS0_12_GLOBAL__N_130modified_bessel_i1_kernel_cudaERNS_18TensorIteratorBaseEENKUlvE_clEvENKUlvE0_clEvEUlfE_St5arrayIPcLm2EEEEviT0_T1_
; %bb.0:
	s_clause 0x1
	s_load_b32 s2, s[0:1], 0x0
	s_load_b128 s[4:7], s[0:1], 0x8
	s_wait_xcnt 0x0
	s_bfe_u32 s0, ttmp6, 0x4000c
	s_and_b32 s1, ttmp6, 15
	s_add_co_i32 s0, s0, 1
	s_getreg_b32 s3, hwreg(HW_REG_IB_STS2, 6, 4)
	s_mul_i32 s0, ttmp9, s0
	s_mov_b32 s32, 0
	s_add_co_i32 s1, s1, s0
	s_cmp_eq_u32 s3, 0
	s_cselect_b32 s0, ttmp9, s1
	s_mov_b32 s1, -1
	s_lshl_b32 s0, s0, 10
	s_wait_kmcnt 0x0
	s_sub_co_i32 s8, s2, s0
	s_delay_alu instid0(SALU_CYCLE_1)
	s_cmp_gt_i32 s8, 0x3ff
	s_cbranch_scc1 .LBB15_3
; %bb.1:
	s_and_b32 vcc_lo, exec_lo, s1
	s_cbranch_vccnz .LBB15_52
.LBB15_2:
	s_sendmsg sendmsg(MSG_DEALLOC_VGPRS)
	s_endpgm
.LBB15_3:
	s_ashr_i32 s1, s0, 31
                                        ; implicit-def: $vgpr4
	s_delay_alu instid0(SALU_CYCLE_1) | instskip(NEXT) | instid1(SALU_CYCLE_1)
	s_lshl_b64 s[2:3], s[0:1], 2
	s_add_nc_u64 s[0:1], s[6:7], s[2:3]
	s_clause 0x1
	global_load_b64 v[6:7], v0, s[0:1] scale_offset
	global_load_b64 v[2:3], v0, s[0:1] offset:2048 scale_offset
	s_wait_xcnt 0x0
	s_mov_b32 s1, exec_lo
	s_wait_loadcnt 0x1
	v_mul_f32_e64 v1, 0x3fb8aa3b, |v6|
	v_cmpx_ge_f32_e64 0x41000000, |v6|
	s_xor_b32 s1, exec_lo, s1
	s_cbranch_execz .LBB15_9
; %bb.4:
	v_fma_f32 v4, |v6|, 0.5, -2.0
	s_mov_b32 s0, 0x224cf950
	v_rndne_f32_e32 v9, v1
	v_fma_f32 v10, 0x3fb8aa3b, |v6|, -v1
	v_cmp_ngt_f32_e64 vcc_lo, 0xc2ce8ed0, |v6|
	v_fmaak_f32 v5, s0, v4, 0xa3c2be86
	v_cmp_nlt_f32_e64 s0, 0x42b17218, |v6|
	v_sub_f32_e32 v1, v1, v9
	v_fma_f32 v10, 0x32a5705f, |v6|, v10
	s_delay_alu instid0(VALU_DEP_1) | instskip(NEXT) | instid1(VALU_DEP_1)
	v_dual_fmaak_f32 v8, v4, v5, 0xa24cf950 :: v_dual_add_f32 v1, v1, v10
	v_add_f32_e32 v8, 0x25331f1f, v8
	s_delay_alu instid0(VALU_DEP_2) | instskip(NEXT) | instid1(VALU_DEP_1)
	v_exp_f32_e32 v1, v1
	v_fma_f32 v5, v4, v8, -v5
	s_delay_alu instid0(VALU_DEP_1) | instskip(NEXT) | instid1(VALU_DEP_1)
	v_add_f32_e32 v5, 0xa69f5554, v5
	v_fma_f32 v8, v4, v5, -v8
	s_delay_alu instid0(VALU_DEP_1) | instskip(NEXT) | instid1(VALU_DEP_1)
	v_add_f32_e32 v8, 0x2808ebf8, v8
	;; [unrolled: 3-line block ×25, first 2 shown]
	v_fma_f32 v4, v4, v5, -v8
	v_cvt_i32_f32_e32 v5, v9
	s_delay_alu instid0(VALU_DEP_2) | instskip(NEXT) | instid1(VALU_DEP_2)
	v_add_f32_e32 v4, 0x3e81531c, v4
	v_ldexp_f32 v1, v1, v5
	s_delay_alu instid0(VALU_DEP_1) | instskip(NEXT) | instid1(VALU_DEP_1)
	v_dual_sub_f32 v4, v4, v8 :: v_dual_cndmask_b32 v5, 0, v1
	v_mul_f32_e32 v4, 0.5, v4
	s_delay_alu instid0(VALU_DEP_2) | instskip(SKIP_1) | instid1(VALU_DEP_2)
	v_cndmask_b32_e64 v5, 0x7f800000, v5, s0
	s_mov_b32 s0, exec_lo
	v_mul_f32_e64 v1, |v6|, v4
                                        ; implicit-def: $vgpr4
	v_cmpx_ngt_f32_e32 0, v6
	s_xor_b32 s0, exec_lo, s0
; %bb.5:
	s_delay_alu instid0(VALU_DEP_2)
	v_mul_f32_e32 v4, v5, v1
                                        ; implicit-def: $vgpr5
                                        ; implicit-def: $vgpr1
; %bb.6:
	s_and_not1_saveexec_b32 s0, s0
; %bb.7:
	v_mul_f32_e64 v4, v1, -v5
; %bb.8:
	s_or_b32 exec_lo, exec_lo, s0
                                        ; implicit-def: $vgpr1
.LBB15_9:
	s_and_not1_saveexec_b32 s1, s1
	s_cbranch_execz .LBB15_15
; %bb.10:
	v_and_b32_e32 v4, 0x7fffffff, v6
	s_mov_b32 s0, 0x230aab6e
	s_delay_alu instid0(VALU_DEP_1) | instskip(SKIP_1) | instid1(VALU_DEP_2)
	v_div_scale_f32 v5, null, v4, v4, 0x42000000
	v_div_scale_f32 v4, vcc_lo, 0x42000000, v4, 0x42000000
	v_rcp_f32_e32 v8, v5
	v_nop
	s_delay_alu instid0(TRANS32_DEP_1) | instskip(NEXT) | instid1(VALU_DEP_1)
	v_fma_f32 v9, -v5, v8, 1.0
	v_fmac_f32_e32 v8, v9, v8
	s_delay_alu instid0(VALU_DEP_1) | instskip(NEXT) | instid1(VALU_DEP_1)
	v_mul_f32_e32 v9, v4, v8
	v_fma_f32 v10, -v5, v9, v4
	s_delay_alu instid0(VALU_DEP_1) | instskip(SKIP_1) | instid1(VALU_DEP_2)
	v_fmac_f32_e32 v9, v10, v8
	v_fma_f32 v10, 0x3fb8aa3b, |v6|, -v1
	v_fma_f32 v4, -v5, v9, v4
	s_delay_alu instid0(VALU_DEP_2) | instskip(NEXT) | instid1(VALU_DEP_2)
	v_fma_f32 v10, 0x32a5705f, |v6|, v10
	v_div_fmas_f32 v4, v4, v8, v9
	v_rndne_f32_e32 v9, v1
	v_cmp_ngt_f32_e64 vcc_lo, 0xc2ce8ed0, |v6|
	s_delay_alu instid0(VALU_DEP_3) | instskip(NEXT) | instid1(VALU_DEP_3)
	v_div_fixup_f32 v4, v4, |v6|, 0x42000000
	v_sub_f32_e32 v1, v1, v9
	v_cvt_i32_f32_e32 v9, v9
	s_delay_alu instid0(VALU_DEP_2) | instskip(NEXT) | instid1(VALU_DEP_1)
	v_dual_add_f32 v4, -2.0, v4 :: v_dual_add_f32 v1, v1, v10
	v_fmaak_f32 v5, s0, v4, 0x22a2dc57
	v_cmp_nlt_f32_e64 s0, 0x42b17218, |v6|
	s_delay_alu instid0(VALU_DEP_3) | instskip(NEXT) | instid1(VALU_DEP_2)
	v_exp_f32_e32 v1, v1
	v_fmaak_f32 v8, v4, v5, 0xa30aab6e
	s_delay_alu instid0(TRANS32_DEP_1) | instskip(NEXT) | instid1(VALU_DEP_1)
	v_ldexp_f32 v1, v1, v9
	v_dual_add_f32 v8, 0xa456751e, v8 :: v_dual_cndmask_b32 v1, 0, v1
	s_delay_alu instid0(VALU_DEP_1) | instskip(NEXT) | instid1(VALU_DEP_2)
	v_fma_f32 v5, v4, v8, -v5
	v_cndmask_b32_e64 v1, 0x7f800000, v1, s0
	s_delay_alu instid0(VALU_DEP_2) | instskip(SKIP_1) | instid1(VALU_DEP_1)
	v_add_f32_e32 v5, 0xa4140365, v5
	s_mov_b32 s0, exec_lo
	v_fma_f32 v8, v4, v5, -v8
	s_delay_alu instid0(VALU_DEP_1) | instskip(NEXT) | instid1(VALU_DEP_1)
	v_add_f32_e32 v8, 0x25aac8b0, v8
	v_fma_f32 v5, v4, v8, -v5
	s_delay_alu instid0(VALU_DEP_1) | instskip(NEXT) | instid1(VALU_DEP_1)
	v_add_f32_e32 v5, 0x25beb473, v5
	;; [unrolled: 3-line block ×21, first 2 shown]
	v_sub_f32_e32 v5, v4, v8
	v_mul_f32_e64 v8, 0x4f800000, |v6|
                                        ; implicit-def: $vgpr4
	v_cmpx_ngt_f32_e32 0, v6
	s_xor_b32 s9, exec_lo, s0
	s_cbranch_execz .LBB15_12
; %bb.11:
	v_cmp_gt_f32_e64 vcc_lo, 0xf800000, |v6|
	v_mul_f32_e32 v5, 0.5, v5
	s_delay_alu instid0(VALU_DEP_2) | instskip(NEXT) | instid1(VALU_DEP_1)
	v_cndmask_b32_e64 v4, |v6|, v8, vcc_lo
	v_sqrt_f32_e32 v8, v4
	v_nop
	s_delay_alu instid0(TRANS32_DEP_1) | instskip(NEXT) | instid1(VALU_DEP_1)
	v_dual_add_nc_u32 v9, -1, v8 :: v_dual_add_nc_u32 v10, 1, v8
	v_dual_fma_f32 v11, -v9, v8, v4 :: v_dual_fma_f32 v12, -v10, v8, v4
	s_delay_alu instid0(VALU_DEP_1) | instskip(NEXT) | instid1(VALU_DEP_1)
	v_cmp_ge_f32_e64 s0, 0, v11
	v_cndmask_b32_e64 v8, v8, v9, s0
	s_delay_alu instid0(VALU_DEP_3) | instskip(NEXT) | instid1(VALU_DEP_1)
	v_cmp_lt_f32_e64 s0, 0, v12
	v_cndmask_b32_e64 v8, v8, v10, s0
	s_delay_alu instid0(VALU_DEP_1) | instskip(NEXT) | instid1(VALU_DEP_1)
	v_mul_f32_e32 v9, 0x37800000, v8
	v_cndmask_b32_e32 v8, v8, v9, vcc_lo
	v_cmp_class_f32_e64 vcc_lo, v4, 0x260
	s_delay_alu instid0(VALU_DEP_2) | instskip(NEXT) | instid1(VALU_DEP_1)
	v_dual_mul_f32 v1, v1, v5 :: v_dual_cndmask_b32 v4, v8, v4
	v_div_scale_f32 v5, null, v4, v4, v1
	s_delay_alu instid0(VALU_DEP_1) | instskip(SKIP_1) | instid1(TRANS32_DEP_1)
	v_rcp_f32_e32 v8, v5
	v_nop
	v_fma_f32 v9, -v5, v8, 1.0
	s_delay_alu instid0(VALU_DEP_1) | instskip(SKIP_1) | instid1(VALU_DEP_1)
	v_fmac_f32_e32 v8, v9, v8
	v_div_scale_f32 v9, vcc_lo, v1, v4, v1
	v_mul_f32_e32 v10, v9, v8
	s_delay_alu instid0(VALU_DEP_1) | instskip(NEXT) | instid1(VALU_DEP_1)
	v_fma_f32 v11, -v5, v10, v9
	v_fmac_f32_e32 v10, v11, v8
	s_delay_alu instid0(VALU_DEP_1) | instskip(NEXT) | instid1(VALU_DEP_1)
	v_fma_f32 v5, -v5, v10, v9
	v_div_fmas_f32 v5, v5, v8, v10
                                        ; implicit-def: $vgpr8
	s_delay_alu instid0(VALU_DEP_1)
	v_div_fixup_f32 v4, v5, v4, v1
                                        ; implicit-def: $vgpr5
                                        ; implicit-def: $vgpr1
.LBB15_12:
	s_and_not1_saveexec_b32 s9, s9
	s_cbranch_execz .LBB15_14
; %bb.13:
	v_cmp_gt_f32_e64 vcc_lo, 0xf800000, |v6|
	v_mul_f32_e32 v5, -0.5, v5
	s_delay_alu instid0(VALU_DEP_2) | instskip(NEXT) | instid1(VALU_DEP_2)
	v_cndmask_b32_e64 v4, |v6|, v8, vcc_lo
	v_mul_f32_e32 v1, v1, v5
	s_delay_alu instid0(VALU_DEP_2) | instskip(SKIP_1) | instid1(TRANS32_DEP_1)
	v_sqrt_f32_e32 v6, v4
	v_nop
	v_dual_add_nc_u32 v8, -1, v6 :: v_dual_add_nc_u32 v9, 1, v6
	s_delay_alu instid0(VALU_DEP_1) | instskip(NEXT) | instid1(VALU_DEP_1)
	v_dual_fma_f32 v10, -v8, v6, v4 :: v_dual_fma_f32 v11, -v9, v6, v4
	v_cmp_ge_f32_e64 s0, 0, v10
	s_delay_alu instid0(VALU_DEP_1) | instskip(NEXT) | instid1(VALU_DEP_3)
	v_cndmask_b32_e64 v6, v6, v8, s0
	v_cmp_lt_f32_e64 s0, 0, v11
	s_delay_alu instid0(VALU_DEP_1) | instskip(NEXT) | instid1(VALU_DEP_1)
	v_cndmask_b32_e64 v6, v6, v9, s0
	v_mul_f32_e32 v8, 0x37800000, v6
	s_delay_alu instid0(VALU_DEP_1) | instskip(SKIP_1) | instid1(VALU_DEP_2)
	v_cndmask_b32_e32 v6, v6, v8, vcc_lo
	v_cmp_class_f32_e64 vcc_lo, v4, 0x260
	v_cndmask_b32_e32 v4, v6, v4, vcc_lo
	s_delay_alu instid0(VALU_DEP_1) | instskip(NEXT) | instid1(VALU_DEP_1)
	v_div_scale_f32 v5, null, v4, v4, v1
	v_rcp_f32_e32 v6, v5
	v_nop
	s_delay_alu instid0(TRANS32_DEP_1) | instskip(NEXT) | instid1(VALU_DEP_1)
	v_fma_f32 v8, -v5, v6, 1.0
	v_fmac_f32_e32 v6, v8, v6
	v_div_scale_f32 v8, vcc_lo, v1, v4, v1
	s_delay_alu instid0(VALU_DEP_1) | instskip(NEXT) | instid1(VALU_DEP_1)
	v_mul_f32_e32 v9, v8, v6
	v_fma_f32 v10, -v5, v9, v8
	s_delay_alu instid0(VALU_DEP_1) | instskip(NEXT) | instid1(VALU_DEP_1)
	v_fmac_f32_e32 v9, v10, v6
	v_fma_f32 v5, -v5, v9, v8
	s_delay_alu instid0(VALU_DEP_1) | instskip(NEXT) | instid1(VALU_DEP_1)
	v_div_fmas_f32 v5, v5, v6, v9
	v_div_fixup_f32 v4, v5, v4, v1
.LBB15_14:
	s_or_b32 exec_lo, exec_lo, s9
.LBB15_15:
	s_delay_alu instid0(SALU_CYCLE_1)
	s_or_b32 exec_lo, exec_lo, s1
	v_mul_f32_e64 v1, 0x3fb8aa3b, |v7|
	s_mov_b32 s1, exec_lo
	v_cmpx_ge_f32_e64 0x41000000, |v7|
	s_xor_b32 s1, exec_lo, s1
	s_cbranch_execz .LBB15_21
; %bb.16:
	v_fma_f32 v5, |v7|, 0.5, -2.0
	v_rndne_f32_e32 v9, v1
	v_fma_f32 v10, 0x3fb8aa3b, |v7|, -v1
	s_mov_b32 s0, 0x224cf950
	v_cmp_ngt_f32_e64 vcc_lo, 0xc2ce8ed0, |v7|
	s_delay_alu instid0(VALU_DEP_3) | instskip(NEXT) | instid1(VALU_DEP_3)
	v_sub_f32_e32 v1, v1, v9
	v_fma_f32 v10, 0x32a5705f, |v7|, v10
	v_fmaak_f32 v6, s0, v5, 0xa3c2be86
	v_cmp_nlt_f32_e64 s0, 0x42b17218, |v7|
	s_delay_alu instid0(VALU_DEP_3) | instskip(NEXT) | instid1(VALU_DEP_3)
	v_add_f32_e32 v1, v1, v10
	v_fmaak_f32 v8, v5, v6, 0xa24cf950
	s_delay_alu instid0(VALU_DEP_2) | instskip(NEXT) | instid1(VALU_DEP_1)
	v_exp_f32_e32 v1, v1
	v_add_f32_e32 v8, 0x25331f1f, v8
	s_delay_alu instid0(VALU_DEP_1) | instskip(NEXT) | instid1(VALU_DEP_1)
	v_fma_f32 v6, v5, v8, -v6
	v_add_f32_e32 v6, 0xa69f5554, v6
	s_delay_alu instid0(VALU_DEP_1) | instskip(NEXT) | instid1(VALU_DEP_1)
	v_fma_f32 v8, v5, v6, -v8
	v_add_f32_e32 v8, 0x2808ebf8, v8
	s_delay_alu instid0(VALU_DEP_1) | instskip(NEXT) | instid1(VALU_DEP_1)
	v_fma_f32 v6, v5, v8, -v6
	v_add_f32_e32 v6, 0xa9631471, v6
	s_delay_alu instid0(VALU_DEP_1) | instskip(NEXT) | instid1(VALU_DEP_1)
	v_fma_f32 v8, v5, v6, -v8
	v_add_f32_e32 v8, 0x2ab57bc2, v8
	s_delay_alu instid0(VALU_DEP_1) | instskip(NEXT) | instid1(VALU_DEP_1)
	v_fma_f32 v6, v5, v8, -v6
	v_add_f32_e32 v6, 0xac0b9c1b, v6
	s_delay_alu instid0(VALU_DEP_1) | instskip(NEXT) | instid1(VALU_DEP_1)
	v_fma_f32 v8, v5, v6, -v8
	v_add_f32_e32 v8, 0x2d4e7716, v8
	s_delay_alu instid0(VALU_DEP_1) | instskip(NEXT) | instid1(VALU_DEP_1)
	v_fma_f32 v6, v5, v8, -v6
	v_add_f32_e32 v6, 0xae92881d, v6
	s_delay_alu instid0(VALU_DEP_1) | instskip(NEXT) | instid1(VALU_DEP_1)
	v_fma_f32 v8, v5, v6, -v8
	v_add_f32_e32 v8, 0x2fc751a6, v8
	s_delay_alu instid0(VALU_DEP_1) | instskip(NEXT) | instid1(VALU_DEP_1)
	v_fma_f32 v6, v5, v8, -v6
	v_add_f32_e32 v6, 0xb101b0d9, v6
	s_delay_alu instid0(VALU_DEP_1) | instskip(NEXT) | instid1(VALU_DEP_1)
	v_fma_f32 v8, v5, v6, -v8
	v_add_f32_e32 v8, 0x32212c70, v8
	s_delay_alu instid0(VALU_DEP_1) | instskip(NEXT) | instid1(VALU_DEP_1)
	v_fma_f32 v6, v5, v8, -v6
	v_add_f32_e32 v6, 0xb33ee9f1, v6
	s_delay_alu instid0(VALU_DEP_1) | instskip(NEXT) | instid1(VALU_DEP_1)
	v_fma_f32 v8, v5, v6, -v8
	v_add_f32_e32 v8, 0x34571a26, v8
	s_delay_alu instid0(VALU_DEP_1) | instskip(NEXT) | instid1(VALU_DEP_1)
	v_fma_f32 v6, v5, v8, -v6
	v_add_f32_e32 v6, 0xb56603cc, v6
	s_delay_alu instid0(VALU_DEP_1) | instskip(NEXT) | instid1(VALU_DEP_1)
	v_fma_f32 v8, v5, v6, -v8
	v_add_f32_e32 v8, 0x3668e277, v8
	s_delay_alu instid0(VALU_DEP_1) | instskip(NEXT) | instid1(VALU_DEP_1)
	v_fma_f32 v6, v5, v8, -v6
	v_add_f32_e32 v6, 0xb75eafce, v6
	s_delay_alu instid0(VALU_DEP_1) | instskip(NEXT) | instid1(VALU_DEP_1)
	v_fma_f32 v8, v5, v6, -v8
	v_add_f32_e32 v8, 0x38488daa, v8
	s_delay_alu instid0(VALU_DEP_1) | instskip(NEXT) | instid1(VALU_DEP_1)
	v_fma_f32 v6, v5, v8, -v6
	v_add_f32_e32 v6, 0xb9299e57, v6
	s_delay_alu instid0(VALU_DEP_1) | instskip(NEXT) | instid1(VALU_DEP_1)
	v_fma_f32 v8, v5, v6, -v8
	v_add_f32_e32 v8, 0x3a064aee, v8
	s_delay_alu instid0(VALU_DEP_1) | instskip(NEXT) | instid1(VALU_DEP_1)
	v_fma_f32 v6, v5, v8, -v6
	v_add_f32_e32 v6, 0xbac66310, v6
	s_delay_alu instid0(VALU_DEP_1) | instskip(NEXT) | instid1(VALU_DEP_1)
	v_fma_f32 v8, v5, v6, -v8
	v_add_f32_e32 v8, 0x3b88329a, v8
	s_delay_alu instid0(VALU_DEP_1) | instskip(NEXT) | instid1(VALU_DEP_1)
	v_fma_f32 v6, v5, v8, -v6
	v_add_f32_e32 v6, 0xbc2d14fc, v6
	s_delay_alu instid0(VALU_DEP_1) | instskip(NEXT) | instid1(VALU_DEP_1)
	v_fma_f32 v8, v5, v6, -v8
	v_add_f32_e32 v8, 0x3cca8f1f, v8
	s_delay_alu instid0(VALU_DEP_1) | instskip(NEXT) | instid1(VALU_DEP_1)
	v_fma_f32 v6, v5, v8, -v6
	v_add_f32_e32 v6, 0xbd58dde3, v6
	s_delay_alu instid0(VALU_DEP_1) | instskip(NEXT) | instid1(VALU_DEP_1)
	v_fma_f32 v8, v5, v6, -v8
	v_add_f32_e32 v8, 0x3dd236d7, v8
	s_delay_alu instid0(VALU_DEP_1) | instskip(NEXT) | instid1(VALU_DEP_1)
	v_fma_f32 v6, v5, v8, -v6
	v_add_f32_e32 v6, 0xbe34a688, v6
	s_delay_alu instid0(VALU_DEP_1) | instskip(SKIP_1) | instid1(VALU_DEP_2)
	v_fma_f32 v5, v5, v6, -v8
	v_cvt_i32_f32_e32 v6, v9
	v_add_f32_e32 v5, 0x3e81531c, v5
	s_delay_alu instid0(VALU_DEP_2) | instskip(NEXT) | instid1(VALU_DEP_1)
	v_ldexp_f32 v1, v1, v6
	v_dual_sub_f32 v5, v5, v8 :: v_dual_cndmask_b32 v6, 0, v1
	s_delay_alu instid0(VALU_DEP_1) | instskip(NEXT) | instid1(VALU_DEP_2)
	v_mul_f32_e32 v5, 0.5, v5
	v_cndmask_b32_e64 v6, 0x7f800000, v6, s0
	s_mov_b32 s0, exec_lo
	s_delay_alu instid0(VALU_DEP_2)
	v_mul_f32_e64 v1, |v7|, v5
	v_cmpx_ngt_f32_e32 0, v7
	s_xor_b32 s0, exec_lo, s0
; %bb.17:
	s_delay_alu instid0(VALU_DEP_2)
	v_mul_f32_e32 v5, v6, v1
                                        ; implicit-def: $vgpr6
                                        ; implicit-def: $vgpr1
; %bb.18:
	s_and_not1_saveexec_b32 s0, s0
; %bb.19:
	v_mul_f32_e64 v5, v1, -v6
; %bb.20:
	s_or_b32 exec_lo, exec_lo, s0
                                        ; implicit-def: $vgpr6_vgpr7
                                        ; implicit-def: $vgpr1
.LBB15_21:
	s_and_not1_saveexec_b32 s1, s1
	s_cbranch_execz .LBB15_27
; %bb.22:
	v_and_b32_e32 v5, 0x7fffffff, v7
	s_mov_b32 s0, 0x230aab6e
	s_delay_alu instid0(VALU_DEP_1) | instskip(SKIP_1) | instid1(VALU_DEP_2)
	v_div_scale_f32 v6, null, v5, v5, 0x42000000
	v_div_scale_f32 v5, vcc_lo, 0x42000000, v5, 0x42000000
	v_rcp_f32_e32 v8, v6
	v_nop
	s_delay_alu instid0(TRANS32_DEP_1) | instskip(NEXT) | instid1(VALU_DEP_1)
	v_fma_f32 v9, -v6, v8, 1.0
	v_fmac_f32_e32 v8, v9, v8
	s_delay_alu instid0(VALU_DEP_1) | instskip(NEXT) | instid1(VALU_DEP_1)
	v_mul_f32_e32 v9, v5, v8
	v_fma_f32 v10, -v6, v9, v5
	s_delay_alu instid0(VALU_DEP_1) | instskip(SKIP_1) | instid1(VALU_DEP_2)
	v_fmac_f32_e32 v9, v10, v8
	v_fma_f32 v10, 0x3fb8aa3b, |v7|, -v1
	v_fma_f32 v5, -v6, v9, v5
	s_delay_alu instid0(VALU_DEP_2) | instskip(NEXT) | instid1(VALU_DEP_2)
	v_fma_f32 v10, 0x32a5705f, |v7|, v10
	v_div_fmas_f32 v5, v5, v8, v9
	v_rndne_f32_e32 v9, v1
	v_cmp_ngt_f32_e64 vcc_lo, 0xc2ce8ed0, |v7|
	s_delay_alu instid0(VALU_DEP_3) | instskip(NEXT) | instid1(VALU_DEP_3)
	v_div_fixup_f32 v5, v5, |v7|, 0x42000000
	v_sub_f32_e32 v1, v1, v9
	v_cvt_i32_f32_e32 v9, v9
	s_delay_alu instid0(VALU_DEP_2) | instskip(NEXT) | instid1(VALU_DEP_1)
	v_dual_add_f32 v5, -2.0, v5 :: v_dual_add_f32 v1, v1, v10
	v_fmaak_f32 v6, s0, v5, 0x22a2dc57
	s_delay_alu instid0(VALU_DEP_2) | instskip(SKIP_1) | instid1(TRANS32_DEP_1)
	v_exp_f32_e32 v1, v1
	v_cmp_nlt_f32_e64 s0, 0x42b17218, |v7|
	v_ldexp_f32 v1, v1, v9
	s_delay_alu instid0(VALU_DEP_1) | instskip(NEXT) | instid1(VALU_DEP_1)
	v_dual_fmaak_f32 v8, v5, v6, 0xa30aab6e :: v_dual_cndmask_b32 v1, 0, v1
	v_add_f32_e32 v8, 0xa456751e, v8
	s_delay_alu instid0(VALU_DEP_2) | instskip(NEXT) | instid1(VALU_DEP_2)
	v_cndmask_b32_e64 v1, 0x7f800000, v1, s0
	v_fma_f32 v6, v5, v8, -v6
	s_mov_b32 s0, exec_lo
	s_delay_alu instid0(VALU_DEP_1) | instskip(NEXT) | instid1(VALU_DEP_1)
	v_add_f32_e32 v6, 0xa4140365, v6
	v_fma_f32 v8, v5, v6, -v8
	s_delay_alu instid0(VALU_DEP_1) | instskip(NEXT) | instid1(VALU_DEP_1)
	v_add_f32_e32 v8, 0x25aac8b0, v8
	v_fma_f32 v6, v5, v8, -v6
	;; [unrolled: 3-line block ×21, first 2 shown]
	s_delay_alu instid0(VALU_DEP_1) | instskip(NEXT) | instid1(VALU_DEP_1)
	v_add_f32_e32 v5, 0x3f4750c6, v5
	v_sub_f32_e32 v6, v5, v8
	v_mul_f32_e64 v8, 0x4f800000, |v7|
	v_cmpx_ngt_f32_e32 0, v7
	s_xor_b32 s9, exec_lo, s0
	s_cbranch_execz .LBB15_24
; %bb.23:
	v_cmp_gt_f32_e64 vcc_lo, 0xf800000, |v7|
	v_mul_f32_e32 v6, 0.5, v6
	s_delay_alu instid0(VALU_DEP_2) | instskip(NEXT) | instid1(VALU_DEP_2)
	v_cndmask_b32_e64 v5, |v7|, v8, vcc_lo
	v_mul_f32_e32 v1, v1, v6
	s_delay_alu instid0(VALU_DEP_2) | instskip(SKIP_1) | instid1(TRANS32_DEP_1)
	v_sqrt_f32_e32 v7, v5
	v_nop
	v_dual_add_nc_u32 v8, -1, v7 :: v_dual_add_nc_u32 v9, 1, v7
	s_delay_alu instid0(VALU_DEP_1) | instskip(NEXT) | instid1(VALU_DEP_1)
	v_dual_fma_f32 v10, -v8, v7, v5 :: v_dual_fma_f32 v11, -v9, v7, v5
	v_cmp_ge_f32_e64 s0, 0, v10
	s_delay_alu instid0(VALU_DEP_1) | instskip(NEXT) | instid1(VALU_DEP_3)
	v_cndmask_b32_e64 v7, v7, v8, s0
	v_cmp_lt_f32_e64 s0, 0, v11
	s_delay_alu instid0(VALU_DEP_1) | instskip(NEXT) | instid1(VALU_DEP_1)
	v_cndmask_b32_e64 v7, v7, v9, s0
	v_mul_f32_e32 v8, 0x37800000, v7
	s_delay_alu instid0(VALU_DEP_1) | instskip(SKIP_1) | instid1(VALU_DEP_2)
	v_cndmask_b32_e32 v7, v7, v8, vcc_lo
	v_cmp_class_f32_e64 vcc_lo, v5, 0x260
	v_cndmask_b32_e32 v5, v7, v5, vcc_lo
	s_delay_alu instid0(VALU_DEP_1) | instskip(NEXT) | instid1(VALU_DEP_1)
	v_div_scale_f32 v6, null, v5, v5, v1
	v_rcp_f32_e32 v7, v6
	v_nop
	s_delay_alu instid0(TRANS32_DEP_1) | instskip(NEXT) | instid1(VALU_DEP_1)
	v_fma_f32 v8, -v6, v7, 1.0
	v_fmac_f32_e32 v7, v8, v7
	v_div_scale_f32 v8, vcc_lo, v1, v5, v1
	s_delay_alu instid0(VALU_DEP_1) | instskip(NEXT) | instid1(VALU_DEP_1)
	v_mul_f32_e32 v9, v8, v7
	v_fma_f32 v10, -v6, v9, v8
	s_delay_alu instid0(VALU_DEP_1) | instskip(NEXT) | instid1(VALU_DEP_1)
	v_fmac_f32_e32 v9, v10, v7
	v_fma_f32 v6, -v6, v9, v8
                                        ; implicit-def: $vgpr8
	s_delay_alu instid0(VALU_DEP_1) | instskip(NEXT) | instid1(VALU_DEP_1)
	v_div_fmas_f32 v6, v6, v7, v9
	v_div_fixup_f32 v5, v6, v5, v1
                                        ; implicit-def: $vgpr6_vgpr7
                                        ; implicit-def: $vgpr6
                                        ; implicit-def: $vgpr1
.LBB15_24:
	s_and_not1_saveexec_b32 s9, s9
	s_cbranch_execz .LBB15_26
; %bb.25:
	v_cmp_gt_f32_e64 vcc_lo, 0xf800000, |v7|
	v_mul_f32_e32 v6, -0.5, v6
	s_delay_alu instid0(VALU_DEP_2) | instskip(NEXT) | instid1(VALU_DEP_2)
	v_cndmask_b32_e64 v5, |v7|, v8, vcc_lo
	v_mul_f32_e32 v1, v1, v6
	s_delay_alu instid0(VALU_DEP_2) | instskip(SKIP_1) | instid1(TRANS32_DEP_1)
	v_sqrt_f32_e32 v7, v5
	v_nop
	v_dual_add_nc_u32 v8, -1, v7 :: v_dual_add_nc_u32 v9, 1, v7
	s_delay_alu instid0(VALU_DEP_1) | instskip(NEXT) | instid1(VALU_DEP_1)
	v_dual_fma_f32 v10, -v8, v7, v5 :: v_dual_fma_f32 v11, -v9, v7, v5
	v_cmp_ge_f32_e64 s0, 0, v10
	s_delay_alu instid0(VALU_DEP_1) | instskip(NEXT) | instid1(VALU_DEP_3)
	v_cndmask_b32_e64 v7, v7, v8, s0
	v_cmp_lt_f32_e64 s0, 0, v11
	s_delay_alu instid0(VALU_DEP_1) | instskip(NEXT) | instid1(VALU_DEP_1)
	v_cndmask_b32_e64 v7, v7, v9, s0
	v_mul_f32_e32 v8, 0x37800000, v7
	s_delay_alu instid0(VALU_DEP_1) | instskip(SKIP_1) | instid1(VALU_DEP_2)
	v_cndmask_b32_e32 v7, v7, v8, vcc_lo
	v_cmp_class_f32_e64 vcc_lo, v5, 0x260
	v_cndmask_b32_e32 v5, v7, v5, vcc_lo
	s_delay_alu instid0(VALU_DEP_1) | instskip(NEXT) | instid1(VALU_DEP_1)
	v_div_scale_f32 v6, null, v5, v5, v1
	v_rcp_f32_e32 v7, v6
	v_nop
	s_delay_alu instid0(TRANS32_DEP_1) | instskip(NEXT) | instid1(VALU_DEP_1)
	v_fma_f32 v8, -v6, v7, 1.0
	v_fmac_f32_e32 v7, v8, v7
	v_div_scale_f32 v8, vcc_lo, v1, v5, v1
	s_delay_alu instid0(VALU_DEP_1) | instskip(NEXT) | instid1(VALU_DEP_1)
	v_mul_f32_e32 v9, v8, v7
	v_fma_f32 v10, -v6, v9, v8
	s_delay_alu instid0(VALU_DEP_1) | instskip(NEXT) | instid1(VALU_DEP_1)
	v_fmac_f32_e32 v9, v10, v7
	v_fma_f32 v6, -v6, v9, v8
	s_delay_alu instid0(VALU_DEP_1) | instskip(NEXT) | instid1(VALU_DEP_1)
	v_div_fmas_f32 v6, v6, v7, v9
	v_div_fixup_f32 v5, v6, v5, v1
.LBB15_26:
	s_or_b32 exec_lo, exec_lo, s9
.LBB15_27:
	s_delay_alu instid0(SALU_CYCLE_1)
	s_or_b32 exec_lo, exec_lo, s1
	s_wait_loadcnt 0x0
	v_mul_f32_e64 v1, 0x3fb8aa3b, |v2|
	s_mov_b32 s1, exec_lo
                                        ; implicit-def: $vgpr6
	v_cmpx_ge_f32_e64 0x41000000, |v2|
	s_xor_b32 s1, exec_lo, s1
	s_cbranch_execz .LBB15_33
; %bb.28:
	v_fma_f32 v6, |v2|, 0.5, -2.0
	s_mov_b32 s0, 0x224cf950
	v_rndne_f32_e32 v9, v1
	v_fma_f32 v10, 0x3fb8aa3b, |v2|, -v1
	v_cmp_ngt_f32_e64 vcc_lo, 0xc2ce8ed0, |v2|
	v_fmaak_f32 v7, s0, v6, 0xa3c2be86
	v_cmp_nlt_f32_e64 s0, 0x42b17218, |v2|
	v_sub_f32_e32 v1, v1, v9
	v_fma_f32 v10, 0x32a5705f, |v2|, v10
	s_delay_alu instid0(VALU_DEP_1) | instskip(NEXT) | instid1(VALU_DEP_1)
	v_dual_fmaak_f32 v8, v6, v7, 0xa24cf950 :: v_dual_add_f32 v1, v1, v10
	v_add_f32_e32 v8, 0x25331f1f, v8
	s_delay_alu instid0(VALU_DEP_2) | instskip(NEXT) | instid1(VALU_DEP_1)
	v_exp_f32_e32 v1, v1
	v_fma_f32 v7, v6, v8, -v7
	s_delay_alu instid0(VALU_DEP_1) | instskip(NEXT) | instid1(VALU_DEP_1)
	v_add_f32_e32 v7, 0xa69f5554, v7
	v_fma_f32 v8, v6, v7, -v8
	s_delay_alu instid0(VALU_DEP_1) | instskip(NEXT) | instid1(VALU_DEP_1)
	v_add_f32_e32 v8, 0x2808ebf8, v8
	;; [unrolled: 3-line block ×25, first 2 shown]
	v_fma_f32 v6, v6, v7, -v8
	v_cvt_i32_f32_e32 v7, v9
	s_delay_alu instid0(VALU_DEP_2) | instskip(NEXT) | instid1(VALU_DEP_2)
	v_add_f32_e32 v6, 0x3e81531c, v6
	v_ldexp_f32 v1, v1, v7
	s_delay_alu instid0(VALU_DEP_1) | instskip(NEXT) | instid1(VALU_DEP_1)
	v_dual_sub_f32 v6, v6, v8 :: v_dual_cndmask_b32 v7, 0, v1
	v_mul_f32_e32 v6, 0.5, v6
	s_delay_alu instid0(VALU_DEP_2) | instskip(SKIP_1) | instid1(VALU_DEP_2)
	v_cndmask_b32_e64 v7, 0x7f800000, v7, s0
	s_mov_b32 s0, exec_lo
	v_mul_f32_e64 v1, |v2|, v6
                                        ; implicit-def: $vgpr6
	v_cmpx_ngt_f32_e32 0, v2
	s_xor_b32 s0, exec_lo, s0
; %bb.29:
	s_delay_alu instid0(VALU_DEP_2)
	v_mul_f32_e32 v6, v7, v1
                                        ; implicit-def: $vgpr7
                                        ; implicit-def: $vgpr1
; %bb.30:
	s_and_not1_saveexec_b32 s0, s0
; %bb.31:
	v_mul_f32_e64 v6, v1, -v7
; %bb.32:
	s_or_b32 exec_lo, exec_lo, s0
                                        ; implicit-def: $vgpr1
.LBB15_33:
	s_and_not1_saveexec_b32 s1, s1
	s_cbranch_execz .LBB15_39
; %bb.34:
	v_and_b32_e32 v6, 0x7fffffff, v2
	s_mov_b32 s0, 0x230aab6e
	s_delay_alu instid0(VALU_DEP_1) | instskip(SKIP_1) | instid1(VALU_DEP_2)
	v_div_scale_f32 v7, null, v6, v6, 0x42000000
	v_div_scale_f32 v6, vcc_lo, 0x42000000, v6, 0x42000000
	v_rcp_f32_e32 v8, v7
	v_nop
	s_delay_alu instid0(TRANS32_DEP_1) | instskip(NEXT) | instid1(VALU_DEP_1)
	v_fma_f32 v9, -v7, v8, 1.0
	v_fmac_f32_e32 v8, v9, v8
	s_delay_alu instid0(VALU_DEP_1) | instskip(NEXT) | instid1(VALU_DEP_1)
	v_mul_f32_e32 v9, v6, v8
	v_fma_f32 v10, -v7, v9, v6
	s_delay_alu instid0(VALU_DEP_1) | instskip(SKIP_1) | instid1(VALU_DEP_2)
	v_fmac_f32_e32 v9, v10, v8
	v_fma_f32 v10, 0x3fb8aa3b, |v2|, -v1
	v_fma_f32 v6, -v7, v9, v6
	s_delay_alu instid0(VALU_DEP_2) | instskip(NEXT) | instid1(VALU_DEP_2)
	v_fma_f32 v10, 0x32a5705f, |v2|, v10
	v_div_fmas_f32 v6, v6, v8, v9
	v_rndne_f32_e32 v9, v1
	v_cmp_ngt_f32_e64 vcc_lo, 0xc2ce8ed0, |v2|
	s_delay_alu instid0(VALU_DEP_3) | instskip(NEXT) | instid1(VALU_DEP_3)
	v_div_fixup_f32 v6, v6, |v2|, 0x42000000
	v_sub_f32_e32 v1, v1, v9
	v_cvt_i32_f32_e32 v9, v9
	s_delay_alu instid0(VALU_DEP_3) | instskip(NEXT) | instid1(VALU_DEP_3)
	v_add_f32_e32 v6, -2.0, v6
	v_add_f32_e32 v1, v1, v10
	s_delay_alu instid0(VALU_DEP_2) | instskip(SKIP_1) | instid1(VALU_DEP_3)
	v_fmaak_f32 v7, s0, v6, 0x22a2dc57
	v_cmp_nlt_f32_e64 s0, 0x42b17218, |v2|
	v_exp_f32_e32 v1, v1
	s_delay_alu instid0(VALU_DEP_2) | instskip(NEXT) | instid1(TRANS32_DEP_1)
	v_fmaak_f32 v8, v6, v7, 0xa30aab6e
	v_ldexp_f32 v1, v1, v9
	s_delay_alu instid0(VALU_DEP_1) | instskip(NEXT) | instid1(VALU_DEP_1)
	v_dual_add_f32 v8, 0xa456751e, v8 :: v_dual_cndmask_b32 v1, 0, v1
	v_fma_f32 v7, v6, v8, -v7
	s_delay_alu instid0(VALU_DEP_2) | instskip(NEXT) | instid1(VALU_DEP_2)
	v_cndmask_b32_e64 v1, 0x7f800000, v1, s0
	v_add_f32_e32 v7, 0xa4140365, v7
	s_mov_b32 s0, exec_lo
	s_delay_alu instid0(VALU_DEP_1) | instskip(NEXT) | instid1(VALU_DEP_1)
	v_fma_f32 v8, v6, v7, -v8
	v_add_f32_e32 v8, 0x25aac8b0, v8
	s_delay_alu instid0(VALU_DEP_1) | instskip(NEXT) | instid1(VALU_DEP_1)
	v_fma_f32 v7, v6, v8, -v7
	v_add_f32_e32 v7, 0x25beb473, v7
	;; [unrolled: 3-line block ×21, first 2 shown]
	s_delay_alu instid0(VALU_DEP_1)
	v_sub_f32_e32 v7, v6, v8
	v_mul_f32_e64 v8, 0x4f800000, |v2|
                                        ; implicit-def: $vgpr6
	v_cmpx_ngt_f32_e32 0, v2
	s_xor_b32 s9, exec_lo, s0
	s_cbranch_execz .LBB15_36
; %bb.35:
	v_cmp_gt_f32_e64 vcc_lo, 0xf800000, |v2|
	v_mul_f32_e32 v7, 0.5, v7
	s_delay_alu instid0(VALU_DEP_2) | instskip(NEXT) | instid1(VALU_DEP_2)
	v_cndmask_b32_e64 v6, |v2|, v8, vcc_lo
	v_mul_f32_e32 v1, v1, v7
	s_delay_alu instid0(VALU_DEP_2) | instskip(SKIP_1) | instid1(TRANS32_DEP_1)
	v_sqrt_f32_e32 v8, v6
	v_nop
	v_dual_add_nc_u32 v9, -1, v8 :: v_dual_add_nc_u32 v10, 1, v8
	s_delay_alu instid0(VALU_DEP_1) | instskip(NEXT) | instid1(VALU_DEP_1)
	v_dual_fma_f32 v11, -v9, v8, v6 :: v_dual_fma_f32 v12, -v10, v8, v6
	v_cmp_ge_f32_e64 s0, 0, v11
	s_delay_alu instid0(VALU_DEP_1) | instskip(NEXT) | instid1(VALU_DEP_3)
	v_cndmask_b32_e64 v8, v8, v9, s0
	v_cmp_lt_f32_e64 s0, 0, v12
	s_delay_alu instid0(VALU_DEP_1) | instskip(NEXT) | instid1(VALU_DEP_1)
	v_cndmask_b32_e64 v8, v8, v10, s0
	v_mul_f32_e32 v9, 0x37800000, v8
	s_delay_alu instid0(VALU_DEP_1) | instskip(SKIP_1) | instid1(VALU_DEP_2)
	v_cndmask_b32_e32 v8, v8, v9, vcc_lo
	v_cmp_class_f32_e64 vcc_lo, v6, 0x260
	v_cndmask_b32_e32 v6, v8, v6, vcc_lo
	s_delay_alu instid0(VALU_DEP_1) | instskip(NEXT) | instid1(VALU_DEP_1)
	v_div_scale_f32 v7, null, v6, v6, v1
	v_rcp_f32_e32 v8, v7
	v_nop
	s_delay_alu instid0(TRANS32_DEP_1) | instskip(NEXT) | instid1(VALU_DEP_1)
	v_fma_f32 v9, -v7, v8, 1.0
	v_fmac_f32_e32 v8, v9, v8
	v_div_scale_f32 v9, vcc_lo, v1, v6, v1
	s_delay_alu instid0(VALU_DEP_1) | instskip(NEXT) | instid1(VALU_DEP_1)
	v_mul_f32_e32 v10, v9, v8
	v_fma_f32 v11, -v7, v10, v9
	s_delay_alu instid0(VALU_DEP_1) | instskip(NEXT) | instid1(VALU_DEP_1)
	v_fmac_f32_e32 v10, v11, v8
	v_fma_f32 v7, -v7, v10, v9
	s_delay_alu instid0(VALU_DEP_1) | instskip(NEXT) | instid1(VALU_DEP_1)
	v_div_fmas_f32 v7, v7, v8, v10
                                        ; implicit-def: $vgpr8
	v_div_fixup_f32 v6, v7, v6, v1
                                        ; implicit-def: $vgpr7
                                        ; implicit-def: $vgpr1
.LBB15_36:
	s_and_not1_saveexec_b32 s9, s9
	s_cbranch_execz .LBB15_38
; %bb.37:
	v_cmp_gt_f32_e64 vcc_lo, 0xf800000, |v2|
	v_mul_f32_e32 v7, -0.5, v7
	s_delay_alu instid0(VALU_DEP_2) | instskip(NEXT) | instid1(VALU_DEP_2)
	v_cndmask_b32_e64 v2, |v2|, v8, vcc_lo
	v_mul_f32_e32 v1, v1, v7
	s_delay_alu instid0(VALU_DEP_2) | instskip(SKIP_1) | instid1(TRANS32_DEP_1)
	v_sqrt_f32_e32 v6, v2
	v_nop
	v_dual_add_nc_u32 v8, -1, v6 :: v_dual_add_nc_u32 v9, 1, v6
	s_delay_alu instid0(VALU_DEP_1) | instskip(NEXT) | instid1(VALU_DEP_1)
	v_dual_fma_f32 v10, -v8, v6, v2 :: v_dual_fma_f32 v11, -v9, v6, v2
	v_cmp_ge_f32_e64 s0, 0, v10
	s_delay_alu instid0(VALU_DEP_1) | instskip(NEXT) | instid1(VALU_DEP_3)
	v_cndmask_b32_e64 v6, v6, v8, s0
	v_cmp_lt_f32_e64 s0, 0, v11
	s_delay_alu instid0(VALU_DEP_1) | instskip(NEXT) | instid1(VALU_DEP_1)
	v_cndmask_b32_e64 v6, v6, v9, s0
	v_mul_f32_e32 v8, 0x37800000, v6
	s_delay_alu instid0(VALU_DEP_1) | instskip(SKIP_1) | instid1(VALU_DEP_2)
	v_cndmask_b32_e32 v6, v6, v8, vcc_lo
	v_cmp_class_f32_e64 vcc_lo, v2, 0x260
	v_cndmask_b32_e32 v2, v6, v2, vcc_lo
	s_delay_alu instid0(VALU_DEP_1) | instskip(NEXT) | instid1(VALU_DEP_1)
	v_div_scale_f32 v6, null, v2, v2, v1
	v_rcp_f32_e32 v7, v6
	v_nop
	s_delay_alu instid0(TRANS32_DEP_1) | instskip(NEXT) | instid1(VALU_DEP_1)
	v_fma_f32 v8, -v6, v7, 1.0
	v_fmac_f32_e32 v7, v8, v7
	v_div_scale_f32 v8, vcc_lo, v1, v2, v1
	s_delay_alu instid0(VALU_DEP_1) | instskip(NEXT) | instid1(VALU_DEP_1)
	v_mul_f32_e32 v9, v8, v7
	v_fma_f32 v10, -v6, v9, v8
	s_delay_alu instid0(VALU_DEP_1) | instskip(NEXT) | instid1(VALU_DEP_1)
	v_fmac_f32_e32 v9, v10, v7
	v_fma_f32 v6, -v6, v9, v8
	s_delay_alu instid0(VALU_DEP_1) | instskip(NEXT) | instid1(VALU_DEP_1)
	v_div_fmas_f32 v6, v6, v7, v9
	v_div_fixup_f32 v6, v6, v2, v1
.LBB15_38:
	s_or_b32 exec_lo, exec_lo, s9
.LBB15_39:
	s_delay_alu instid0(SALU_CYCLE_1)
	s_or_b32 exec_lo, exec_lo, s1
	v_mul_f32_e64 v1, 0x3fb8aa3b, |v3|
	s_mov_b32 s1, exec_lo
	v_cmpx_ge_f32_e64 0x41000000, |v3|
	s_xor_b32 s1, exec_lo, s1
	s_cbranch_execz .LBB15_45
; %bb.40:
	v_fma_f32 v2, |v3|, 0.5, -2.0
	s_mov_b32 s0, 0x224cf950
	v_rndne_f32_e32 v9, v1
	v_fma_f32 v10, 0x3fb8aa3b, |v3|, -v1
	v_cmp_ngt_f32_e64 vcc_lo, 0xc2ce8ed0, |v3|
	v_fmaak_f32 v7, s0, v2, 0xa3c2be86
	v_cmp_nlt_f32_e64 s0, 0x42b17218, |v3|
	v_sub_f32_e32 v1, v1, v9
	v_fma_f32 v10, 0x32a5705f, |v3|, v10
	s_delay_alu instid0(VALU_DEP_1) | instskip(NEXT) | instid1(VALU_DEP_1)
	v_dual_fmaak_f32 v8, v2, v7, 0xa24cf950 :: v_dual_add_f32 v1, v1, v10
	v_add_f32_e32 v8, 0x25331f1f, v8
	s_delay_alu instid0(VALU_DEP_2) | instskip(NEXT) | instid1(VALU_DEP_1)
	v_exp_f32_e32 v1, v1
	v_fma_f32 v7, v2, v8, -v7
	s_delay_alu instid0(VALU_DEP_1) | instskip(NEXT) | instid1(VALU_DEP_1)
	v_add_f32_e32 v7, 0xa69f5554, v7
	v_fma_f32 v8, v2, v7, -v8
	s_delay_alu instid0(VALU_DEP_1) | instskip(NEXT) | instid1(VALU_DEP_1)
	v_add_f32_e32 v8, 0x2808ebf8, v8
	;; [unrolled: 3-line block ×25, first 2 shown]
	v_fma_f32 v2, v2, v7, -v8
	v_cvt_i32_f32_e32 v7, v9
	s_delay_alu instid0(VALU_DEP_2) | instskip(NEXT) | instid1(VALU_DEP_2)
	v_add_f32_e32 v2, 0x3e81531c, v2
	v_ldexp_f32 v1, v1, v7
	s_delay_alu instid0(VALU_DEP_1) | instskip(NEXT) | instid1(VALU_DEP_1)
	v_dual_sub_f32 v2, v2, v8 :: v_dual_cndmask_b32 v7, 0, v1
	v_mul_f32_e32 v2, 0.5, v2
	s_delay_alu instid0(VALU_DEP_1) | instskip(NEXT) | instid1(VALU_DEP_3)
	v_mul_f32_e64 v1, |v3|, v2
	v_cndmask_b32_e64 v2, 0x7f800000, v7, s0
	s_mov_b32 s0, exec_lo
	v_cmpx_ngt_f32_e32 0, v3
	s_xor_b32 s0, exec_lo, s0
; %bb.41:
	s_delay_alu instid0(VALU_DEP_2)
	v_mul_f32_e32 v7, v2, v1
                                        ; implicit-def: $vgpr2
                                        ; implicit-def: $vgpr1
; %bb.42:
	s_and_not1_saveexec_b32 s0, s0
; %bb.43:
	v_mul_f32_e64 v7, v1, -v2
; %bb.44:
	s_or_b32 exec_lo, exec_lo, s0
                                        ; implicit-def: $vgpr2_vgpr3
                                        ; implicit-def: $vgpr1
.LBB15_45:
	s_and_not1_saveexec_b32 s1, s1
	s_cbranch_execz .LBB15_51
; %bb.46:
	v_and_b32_e32 v2, 0x7fffffff, v3
	s_mov_b32 s0, 0x230aab6e
	s_delay_alu instid0(VALU_DEP_1) | instskip(SKIP_1) | instid1(VALU_DEP_2)
	v_div_scale_f32 v7, null, v2, v2, 0x42000000
	v_div_scale_f32 v2, vcc_lo, 0x42000000, v2, 0x42000000
	v_rcp_f32_e32 v8, v7
	v_nop
	s_delay_alu instid0(TRANS32_DEP_1) | instskip(NEXT) | instid1(VALU_DEP_1)
	v_fma_f32 v9, -v7, v8, 1.0
	v_fmac_f32_e32 v8, v9, v8
	s_delay_alu instid0(VALU_DEP_1) | instskip(NEXT) | instid1(VALU_DEP_1)
	v_mul_f32_e32 v9, v2, v8
	v_fma_f32 v10, -v7, v9, v2
	s_delay_alu instid0(VALU_DEP_1) | instskip(SKIP_1) | instid1(VALU_DEP_2)
	v_fmac_f32_e32 v9, v10, v8
	v_fma_f32 v10, 0x3fb8aa3b, |v3|, -v1
	v_fma_f32 v2, -v7, v9, v2
	s_delay_alu instid0(VALU_DEP_2) | instskip(NEXT) | instid1(VALU_DEP_2)
	v_fma_f32 v10, 0x32a5705f, |v3|, v10
	v_div_fmas_f32 v2, v2, v8, v9
	v_rndne_f32_e32 v9, v1
	v_cmp_ngt_f32_e64 vcc_lo, 0xc2ce8ed0, |v3|
	s_delay_alu instid0(VALU_DEP_3) | instskip(NEXT) | instid1(VALU_DEP_3)
	v_div_fixup_f32 v2, v2, |v3|, 0x42000000
	v_sub_f32_e32 v1, v1, v9
	v_cvt_i32_f32_e32 v9, v9
	s_delay_alu instid0(VALU_DEP_3) | instskip(NEXT) | instid1(VALU_DEP_3)
	v_add_f32_e32 v2, -2.0, v2
	v_add_f32_e32 v1, v1, v10
	s_delay_alu instid0(VALU_DEP_2) | instskip(SKIP_1) | instid1(VALU_DEP_3)
	v_fmaak_f32 v7, s0, v2, 0x22a2dc57
	v_cmp_nlt_f32_e64 s0, 0x42b17218, |v3|
	v_exp_f32_e32 v1, v1
	s_delay_alu instid0(VALU_DEP_2) | instskip(NEXT) | instid1(TRANS32_DEP_1)
	v_fmaak_f32 v8, v2, v7, 0xa30aab6e
	v_ldexp_f32 v1, v1, v9
	s_delay_alu instid0(VALU_DEP_1) | instskip(NEXT) | instid1(VALU_DEP_1)
	v_dual_add_f32 v8, 0xa456751e, v8 :: v_dual_cndmask_b32 v1, 0, v1
	v_fma_f32 v7, v2, v8, -v7
	s_delay_alu instid0(VALU_DEP_2) | instskip(NEXT) | instid1(VALU_DEP_2)
	v_cndmask_b32_e64 v1, 0x7f800000, v1, s0
	v_add_f32_e32 v7, 0xa4140365, v7
	s_mov_b32 s0, exec_lo
	s_delay_alu instid0(VALU_DEP_1) | instskip(NEXT) | instid1(VALU_DEP_1)
	v_fma_f32 v8, v2, v7, -v8
	v_add_f32_e32 v8, 0x25aac8b0, v8
	s_delay_alu instid0(VALU_DEP_1) | instskip(NEXT) | instid1(VALU_DEP_1)
	v_fma_f32 v7, v2, v8, -v7
	v_add_f32_e32 v7, 0x25beb473, v7
	;; [unrolled: 3-line block ×21, first 2 shown]
	s_delay_alu instid0(VALU_DEP_1)
	v_sub_f32_e32 v2, v2, v8
	v_mul_f32_e64 v8, 0x4f800000, |v3|
	v_cmpx_ngt_f32_e32 0, v3
	s_xor_b32 s9, exec_lo, s0
	s_cbranch_execz .LBB15_48
; %bb.47:
	v_cmp_gt_f32_e64 vcc_lo, 0xf800000, |v3|
	v_mul_f32_e32 v2, 0.5, v2
	s_delay_alu instid0(VALU_DEP_2) | instskip(NEXT) | instid1(VALU_DEP_2)
	v_cndmask_b32_e64 v3, |v3|, v8, vcc_lo
	v_mul_f32_e32 v1, v1, v2
	s_delay_alu instid0(VALU_DEP_2) | instskip(SKIP_1) | instid1(TRANS32_DEP_1)
	v_sqrt_f32_e32 v7, v3
	v_nop
	v_dual_add_nc_u32 v8, -1, v7 :: v_dual_add_nc_u32 v9, 1, v7
	s_delay_alu instid0(VALU_DEP_1) | instskip(NEXT) | instid1(VALU_DEP_1)
	v_dual_fma_f32 v10, -v8, v7, v3 :: v_dual_fma_f32 v11, -v9, v7, v3
	v_cmp_ge_f32_e64 s0, 0, v10
	s_delay_alu instid0(VALU_DEP_1) | instskip(NEXT) | instid1(VALU_DEP_3)
	v_cndmask_b32_e64 v7, v7, v8, s0
	v_cmp_lt_f32_e64 s0, 0, v11
	s_delay_alu instid0(VALU_DEP_1) | instskip(NEXT) | instid1(VALU_DEP_1)
	v_cndmask_b32_e64 v7, v7, v9, s0
	v_mul_f32_e32 v8, 0x37800000, v7
	s_delay_alu instid0(VALU_DEP_1) | instskip(SKIP_1) | instid1(VALU_DEP_2)
	v_cndmask_b32_e32 v7, v7, v8, vcc_lo
	v_cmp_class_f32_e64 vcc_lo, v3, 0x260
	v_cndmask_b32_e32 v2, v7, v3, vcc_lo
	s_delay_alu instid0(VALU_DEP_1) | instskip(NEXT) | instid1(VALU_DEP_1)
	v_div_scale_f32 v3, null, v2, v2, v1
	v_rcp_f32_e32 v7, v3
	v_nop
	s_delay_alu instid0(TRANS32_DEP_1) | instskip(NEXT) | instid1(VALU_DEP_1)
	v_fma_f32 v8, -v3, v7, 1.0
	v_fmac_f32_e32 v7, v8, v7
	v_div_scale_f32 v8, vcc_lo, v1, v2, v1
	s_delay_alu instid0(VALU_DEP_1) | instskip(NEXT) | instid1(VALU_DEP_1)
	v_mul_f32_e32 v9, v8, v7
	v_fma_f32 v10, -v3, v9, v8
	s_delay_alu instid0(VALU_DEP_1) | instskip(NEXT) | instid1(VALU_DEP_1)
	v_fmac_f32_e32 v9, v10, v7
	v_fma_f32 v3, -v3, v9, v8
                                        ; implicit-def: $vgpr8
	s_delay_alu instid0(VALU_DEP_1) | instskip(NEXT) | instid1(VALU_DEP_1)
	v_div_fmas_f32 v3, v3, v7, v9
	v_div_fixup_f32 v7, v3, v2, v1
                                        ; implicit-def: $vgpr2_vgpr3
                                        ; implicit-def: $vgpr2
                                        ; implicit-def: $vgpr1
.LBB15_48:
	s_and_not1_saveexec_b32 s9, s9
	s_cbranch_execz .LBB15_50
; %bb.49:
	v_cmp_gt_f32_e64 vcc_lo, 0xf800000, |v3|
	v_mul_f32_e32 v2, -0.5, v2
	s_delay_alu instid0(VALU_DEP_2) | instskip(NEXT) | instid1(VALU_DEP_2)
	v_cndmask_b32_e64 v3, |v3|, v8, vcc_lo
	v_mul_f32_e32 v1, v1, v2
	s_delay_alu instid0(VALU_DEP_2) | instskip(SKIP_1) | instid1(TRANS32_DEP_1)
	v_sqrt_f32_e32 v7, v3
	v_nop
	v_dual_add_nc_u32 v8, -1, v7 :: v_dual_add_nc_u32 v9, 1, v7
	s_delay_alu instid0(VALU_DEP_1) | instskip(NEXT) | instid1(VALU_DEP_1)
	v_dual_fma_f32 v10, -v8, v7, v3 :: v_dual_fma_f32 v11, -v9, v7, v3
	v_cmp_ge_f32_e64 s0, 0, v10
	s_delay_alu instid0(VALU_DEP_1) | instskip(NEXT) | instid1(VALU_DEP_3)
	v_cndmask_b32_e64 v7, v7, v8, s0
	v_cmp_lt_f32_e64 s0, 0, v11
	s_delay_alu instid0(VALU_DEP_1) | instskip(NEXT) | instid1(VALU_DEP_1)
	v_cndmask_b32_e64 v7, v7, v9, s0
	v_mul_f32_e32 v8, 0x37800000, v7
	s_delay_alu instid0(VALU_DEP_1) | instskip(SKIP_1) | instid1(VALU_DEP_2)
	v_cndmask_b32_e32 v7, v7, v8, vcc_lo
	v_cmp_class_f32_e64 vcc_lo, v3, 0x260
	v_cndmask_b32_e32 v2, v7, v3, vcc_lo
	s_delay_alu instid0(VALU_DEP_1) | instskip(NEXT) | instid1(VALU_DEP_1)
	v_div_scale_f32 v3, null, v2, v2, v1
	v_rcp_f32_e32 v7, v3
	v_nop
	s_delay_alu instid0(TRANS32_DEP_1) | instskip(NEXT) | instid1(VALU_DEP_1)
	v_fma_f32 v8, -v3, v7, 1.0
	v_fmac_f32_e32 v7, v8, v7
	v_div_scale_f32 v8, vcc_lo, v1, v2, v1
	s_delay_alu instid0(VALU_DEP_1) | instskip(NEXT) | instid1(VALU_DEP_1)
	v_mul_f32_e32 v9, v8, v7
	v_fma_f32 v10, -v3, v9, v8
	s_delay_alu instid0(VALU_DEP_1) | instskip(NEXT) | instid1(VALU_DEP_1)
	v_fmac_f32_e32 v9, v10, v7
	v_fma_f32 v3, -v3, v9, v8
	s_delay_alu instid0(VALU_DEP_1) | instskip(NEXT) | instid1(VALU_DEP_1)
	v_div_fmas_f32 v3, v3, v7, v9
	v_div_fixup_f32 v7, v3, v2, v1
.LBB15_50:
	s_or_b32 exec_lo, exec_lo, s9
.LBB15_51:
	s_delay_alu instid0(SALU_CYCLE_1)
	s_or_b32 exec_lo, exec_lo, s1
	s_add_nc_u64 s[2:3], s[4:5], s[2:3]
	s_clause 0x1
	global_store_b64 v0, v[4:5], s[2:3] scale_offset
	global_store_b64 v0, v[6:7], s[2:3] offset:2048 scale_offset
	s_branch .LBB15_2
.LBB15_52:
	s_wait_xcnt 0x0
	v_dual_mov_b32 v31, v0 :: v_dual_mov_b32 v0, s4
	v_dual_mov_b32 v1, s5 :: v_dual_mov_b32 v2, s6
	;; [unrolled: 1-line block ×3, first 2 shown]
	s_get_pc_i64 s[0:1]
	s_add_nc_u64 s[0:1], s[0:1], _ZN2at6native25elementwise_kernel_helperILb0EZZZNS0_12_GLOBAL__N_130modified_bessel_i1_kernel_cudaERNS_18TensorIteratorBaseEENKUlvE_clEvENKUlvE0_clEvEUlfE_NS0_6memory8policies11unroll_baseILi256ESt5arrayIPcLm2EE23TrivialOffsetCalculatorILi1EjESF_NS8_15LoadWithoutCastENS8_16StoreWithoutCastELi4ELi1EEEEEvT0_T1_@rel64+4
	s_delay_alu instid0(SALU_CYCLE_1)
	s_swap_pc_i64 s[30:31], s[0:1]
	s_endpgm
	.section	.rodata,"a",@progbits
	.p2align	6, 0x0
	.amdhsa_kernel _ZN2at6native29vectorized_elementwise_kernelILi2EZZZNS0_12_GLOBAL__N_130modified_bessel_i1_kernel_cudaERNS_18TensorIteratorBaseEENKUlvE_clEvENKUlvE0_clEvEUlfE_St5arrayIPcLm2EEEEviT0_T1_
		.amdhsa_group_segment_fixed_size 0
		.amdhsa_private_segment_fixed_size 0
		.amdhsa_kernarg_size 24
		.amdhsa_user_sgpr_count 2
		.amdhsa_user_sgpr_dispatch_ptr 0
		.amdhsa_user_sgpr_queue_ptr 0
		.amdhsa_user_sgpr_kernarg_segment_ptr 1
		.amdhsa_user_sgpr_dispatch_id 0
		.amdhsa_user_sgpr_kernarg_preload_length 0
		.amdhsa_user_sgpr_kernarg_preload_offset 0
		.amdhsa_user_sgpr_private_segment_size 0
		.amdhsa_wavefront_size32 1
		.amdhsa_uses_dynamic_stack 0
		.amdhsa_enable_private_segment 0
		.amdhsa_system_sgpr_workgroup_id_x 1
		.amdhsa_system_sgpr_workgroup_id_y 0
		.amdhsa_system_sgpr_workgroup_id_z 0
		.amdhsa_system_sgpr_workgroup_info 0
		.amdhsa_system_vgpr_workitem_id 0
		.amdhsa_next_free_vgpr 32
		.amdhsa_next_free_sgpr 33
		.amdhsa_named_barrier_count 0
		.amdhsa_reserve_vcc 1
		.amdhsa_float_round_mode_32 0
		.amdhsa_float_round_mode_16_64 0
		.amdhsa_float_denorm_mode_32 3
		.amdhsa_float_denorm_mode_16_64 3
		.amdhsa_fp16_overflow 0
		.amdhsa_memory_ordered 1
		.amdhsa_forward_progress 1
		.amdhsa_inst_pref_size 65
		.amdhsa_round_robin_scheduling 0
		.amdhsa_exception_fp_ieee_invalid_op 0
		.amdhsa_exception_fp_denorm_src 0
		.amdhsa_exception_fp_ieee_div_zero 0
		.amdhsa_exception_fp_ieee_overflow 0
		.amdhsa_exception_fp_ieee_underflow 0
		.amdhsa_exception_fp_ieee_inexact 0
		.amdhsa_exception_int_div_zero 0
	.end_amdhsa_kernel
	.section	.text._ZN2at6native29vectorized_elementwise_kernelILi2EZZZNS0_12_GLOBAL__N_130modified_bessel_i1_kernel_cudaERNS_18TensorIteratorBaseEENKUlvE_clEvENKUlvE0_clEvEUlfE_St5arrayIPcLm2EEEEviT0_T1_,"axG",@progbits,_ZN2at6native29vectorized_elementwise_kernelILi2EZZZNS0_12_GLOBAL__N_130modified_bessel_i1_kernel_cudaERNS_18TensorIteratorBaseEENKUlvE_clEvENKUlvE0_clEvEUlfE_St5arrayIPcLm2EEEEviT0_T1_,comdat
.Lfunc_end15:
	.size	_ZN2at6native29vectorized_elementwise_kernelILi2EZZZNS0_12_GLOBAL__N_130modified_bessel_i1_kernel_cudaERNS_18TensorIteratorBaseEENKUlvE_clEvENKUlvE0_clEvEUlfE_St5arrayIPcLm2EEEEviT0_T1_, .Lfunc_end15-_ZN2at6native29vectorized_elementwise_kernelILi2EZZZNS0_12_GLOBAL__N_130modified_bessel_i1_kernel_cudaERNS_18TensorIteratorBaseEENKUlvE_clEvENKUlvE0_clEvEUlfE_St5arrayIPcLm2EEEEviT0_T1_
                                        ; -- End function
	.set _ZN2at6native29vectorized_elementwise_kernelILi2EZZZNS0_12_GLOBAL__N_130modified_bessel_i1_kernel_cudaERNS_18TensorIteratorBaseEENKUlvE_clEvENKUlvE0_clEvEUlfE_St5arrayIPcLm2EEEEviT0_T1_.num_vgpr, max(32, .L_ZN2at6native25elementwise_kernel_helperILb0EZZZNS0_12_GLOBAL__N_130modified_bessel_i1_kernel_cudaERNS_18TensorIteratorBaseEENKUlvE_clEvENKUlvE0_clEvEUlfE_NS0_6memory8policies11unroll_baseILi256ESt5arrayIPcLm2EE23TrivialOffsetCalculatorILi1EjESF_NS8_15LoadWithoutCastENS8_16StoreWithoutCastELi4ELi1EEEEEvT0_T1_.num_vgpr)
	.set _ZN2at6native29vectorized_elementwise_kernelILi2EZZZNS0_12_GLOBAL__N_130modified_bessel_i1_kernel_cudaERNS_18TensorIteratorBaseEENKUlvE_clEvENKUlvE0_clEvEUlfE_St5arrayIPcLm2EEEEviT0_T1_.num_agpr, max(0, .L_ZN2at6native25elementwise_kernel_helperILb0EZZZNS0_12_GLOBAL__N_130modified_bessel_i1_kernel_cudaERNS_18TensorIteratorBaseEENKUlvE_clEvENKUlvE0_clEvEUlfE_NS0_6memory8policies11unroll_baseILi256ESt5arrayIPcLm2EE23TrivialOffsetCalculatorILi1EjESF_NS8_15LoadWithoutCastENS8_16StoreWithoutCastELi4ELi1EEEEEvT0_T1_.num_agpr)
	.set _ZN2at6native29vectorized_elementwise_kernelILi2EZZZNS0_12_GLOBAL__N_130modified_bessel_i1_kernel_cudaERNS_18TensorIteratorBaseEENKUlvE_clEvENKUlvE0_clEvEUlfE_St5arrayIPcLm2EEEEviT0_T1_.numbered_sgpr, max(33, .L_ZN2at6native25elementwise_kernel_helperILb0EZZZNS0_12_GLOBAL__N_130modified_bessel_i1_kernel_cudaERNS_18TensorIteratorBaseEENKUlvE_clEvENKUlvE0_clEvEUlfE_NS0_6memory8policies11unroll_baseILi256ESt5arrayIPcLm2EE23TrivialOffsetCalculatorILi1EjESF_NS8_15LoadWithoutCastENS8_16StoreWithoutCastELi4ELi1EEEEEvT0_T1_.numbered_sgpr)
	.set _ZN2at6native29vectorized_elementwise_kernelILi2EZZZNS0_12_GLOBAL__N_130modified_bessel_i1_kernel_cudaERNS_18TensorIteratorBaseEENKUlvE_clEvENKUlvE0_clEvEUlfE_St5arrayIPcLm2EEEEviT0_T1_.num_named_barrier, max(0, .L_ZN2at6native25elementwise_kernel_helperILb0EZZZNS0_12_GLOBAL__N_130modified_bessel_i1_kernel_cudaERNS_18TensorIteratorBaseEENKUlvE_clEvENKUlvE0_clEvEUlfE_NS0_6memory8policies11unroll_baseILi256ESt5arrayIPcLm2EE23TrivialOffsetCalculatorILi1EjESF_NS8_15LoadWithoutCastENS8_16StoreWithoutCastELi4ELi1EEEEEvT0_T1_.num_named_barrier)
	.set _ZN2at6native29vectorized_elementwise_kernelILi2EZZZNS0_12_GLOBAL__N_130modified_bessel_i1_kernel_cudaERNS_18TensorIteratorBaseEENKUlvE_clEvENKUlvE0_clEvEUlfE_St5arrayIPcLm2EEEEviT0_T1_.private_seg_size, 0+max(.L_ZN2at6native25elementwise_kernel_helperILb0EZZZNS0_12_GLOBAL__N_130modified_bessel_i1_kernel_cudaERNS_18TensorIteratorBaseEENKUlvE_clEvENKUlvE0_clEvEUlfE_NS0_6memory8policies11unroll_baseILi256ESt5arrayIPcLm2EE23TrivialOffsetCalculatorILi1EjESF_NS8_15LoadWithoutCastENS8_16StoreWithoutCastELi4ELi1EEEEEvT0_T1_.private_seg_size)
	.set _ZN2at6native29vectorized_elementwise_kernelILi2EZZZNS0_12_GLOBAL__N_130modified_bessel_i1_kernel_cudaERNS_18TensorIteratorBaseEENKUlvE_clEvENKUlvE0_clEvEUlfE_St5arrayIPcLm2EEEEviT0_T1_.uses_vcc, or(1, .L_ZN2at6native25elementwise_kernel_helperILb0EZZZNS0_12_GLOBAL__N_130modified_bessel_i1_kernel_cudaERNS_18TensorIteratorBaseEENKUlvE_clEvENKUlvE0_clEvEUlfE_NS0_6memory8policies11unroll_baseILi256ESt5arrayIPcLm2EE23TrivialOffsetCalculatorILi1EjESF_NS8_15LoadWithoutCastENS8_16StoreWithoutCastELi4ELi1EEEEEvT0_T1_.uses_vcc)
	.set _ZN2at6native29vectorized_elementwise_kernelILi2EZZZNS0_12_GLOBAL__N_130modified_bessel_i1_kernel_cudaERNS_18TensorIteratorBaseEENKUlvE_clEvENKUlvE0_clEvEUlfE_St5arrayIPcLm2EEEEviT0_T1_.uses_flat_scratch, or(0, .L_ZN2at6native25elementwise_kernel_helperILb0EZZZNS0_12_GLOBAL__N_130modified_bessel_i1_kernel_cudaERNS_18TensorIteratorBaseEENKUlvE_clEvENKUlvE0_clEvEUlfE_NS0_6memory8policies11unroll_baseILi256ESt5arrayIPcLm2EE23TrivialOffsetCalculatorILi1EjESF_NS8_15LoadWithoutCastENS8_16StoreWithoutCastELi4ELi1EEEEEvT0_T1_.uses_flat_scratch)
	.set _ZN2at6native29vectorized_elementwise_kernelILi2EZZZNS0_12_GLOBAL__N_130modified_bessel_i1_kernel_cudaERNS_18TensorIteratorBaseEENKUlvE_clEvENKUlvE0_clEvEUlfE_St5arrayIPcLm2EEEEviT0_T1_.has_dyn_sized_stack, or(0, .L_ZN2at6native25elementwise_kernel_helperILb0EZZZNS0_12_GLOBAL__N_130modified_bessel_i1_kernel_cudaERNS_18TensorIteratorBaseEENKUlvE_clEvENKUlvE0_clEvEUlfE_NS0_6memory8policies11unroll_baseILi256ESt5arrayIPcLm2EE23TrivialOffsetCalculatorILi1EjESF_NS8_15LoadWithoutCastENS8_16StoreWithoutCastELi4ELi1EEEEEvT0_T1_.has_dyn_sized_stack)
	.set _ZN2at6native29vectorized_elementwise_kernelILi2EZZZNS0_12_GLOBAL__N_130modified_bessel_i1_kernel_cudaERNS_18TensorIteratorBaseEENKUlvE_clEvENKUlvE0_clEvEUlfE_St5arrayIPcLm2EEEEviT0_T1_.has_recursion, or(0, .L_ZN2at6native25elementwise_kernel_helperILb0EZZZNS0_12_GLOBAL__N_130modified_bessel_i1_kernel_cudaERNS_18TensorIteratorBaseEENKUlvE_clEvENKUlvE0_clEvEUlfE_NS0_6memory8policies11unroll_baseILi256ESt5arrayIPcLm2EE23TrivialOffsetCalculatorILi1EjESF_NS8_15LoadWithoutCastENS8_16StoreWithoutCastELi4ELi1EEEEEvT0_T1_.has_recursion)
	.set _ZN2at6native29vectorized_elementwise_kernelILi2EZZZNS0_12_GLOBAL__N_130modified_bessel_i1_kernel_cudaERNS_18TensorIteratorBaseEENKUlvE_clEvENKUlvE0_clEvEUlfE_St5arrayIPcLm2EEEEviT0_T1_.has_indirect_call, or(0, .L_ZN2at6native25elementwise_kernel_helperILb0EZZZNS0_12_GLOBAL__N_130modified_bessel_i1_kernel_cudaERNS_18TensorIteratorBaseEENKUlvE_clEvENKUlvE0_clEvEUlfE_NS0_6memory8policies11unroll_baseILi256ESt5arrayIPcLm2EE23TrivialOffsetCalculatorILi1EjESF_NS8_15LoadWithoutCastENS8_16StoreWithoutCastELi4ELi1EEEEEvT0_T1_.has_indirect_call)
	.section	.AMDGPU.csdata,"",@progbits
; Kernel info:
; codeLenInByte = 8280
; TotalNumSgprs: 35
; NumVgprs: 32
; ScratchSize: 0
; MemoryBound: 0
; FloatMode: 240
; IeeeMode: 1
; LDSByteSize: 0 bytes/workgroup (compile time only)
; SGPRBlocks: 0
; VGPRBlocks: 1
; NumSGPRsForWavesPerEU: 35
; NumVGPRsForWavesPerEU: 32
; NamedBarCnt: 0
; Occupancy: 16
; WaveLimiterHint : 1
; COMPUTE_PGM_RSRC2:SCRATCH_EN: 0
; COMPUTE_PGM_RSRC2:USER_SGPR: 2
; COMPUTE_PGM_RSRC2:TRAP_HANDLER: 0
; COMPUTE_PGM_RSRC2:TGID_X_EN: 1
; COMPUTE_PGM_RSRC2:TGID_Y_EN: 0
; COMPUTE_PGM_RSRC2:TGID_Z_EN: 0
; COMPUTE_PGM_RSRC2:TIDIG_COMP_CNT: 0
	.section	.text._ZN2at6native27unrolled_elementwise_kernelIZZZNS0_12_GLOBAL__N_130modified_bessel_i1_kernel_cudaERNS_18TensorIteratorBaseEENKUlvE_clEvENKUlvE0_clEvEUlfE_St5arrayIPcLm2EELi4E23TrivialOffsetCalculatorILi1EjESC_NS0_6memory15LoadWithoutCastENSD_16StoreWithoutCastEEEviT_T0_T2_T3_T4_T5_,"axG",@progbits,_ZN2at6native27unrolled_elementwise_kernelIZZZNS0_12_GLOBAL__N_130modified_bessel_i1_kernel_cudaERNS_18TensorIteratorBaseEENKUlvE_clEvENKUlvE0_clEvEUlfE_St5arrayIPcLm2EELi4E23TrivialOffsetCalculatorILi1EjESC_NS0_6memory15LoadWithoutCastENSD_16StoreWithoutCastEEEviT_T0_T2_T3_T4_T5_,comdat
	.globl	_ZN2at6native27unrolled_elementwise_kernelIZZZNS0_12_GLOBAL__N_130modified_bessel_i1_kernel_cudaERNS_18TensorIteratorBaseEENKUlvE_clEvENKUlvE0_clEvEUlfE_St5arrayIPcLm2EELi4E23TrivialOffsetCalculatorILi1EjESC_NS0_6memory15LoadWithoutCastENSD_16StoreWithoutCastEEEviT_T0_T2_T3_T4_T5_ ; -- Begin function _ZN2at6native27unrolled_elementwise_kernelIZZZNS0_12_GLOBAL__N_130modified_bessel_i1_kernel_cudaERNS_18TensorIteratorBaseEENKUlvE_clEvENKUlvE0_clEvEUlfE_St5arrayIPcLm2EELi4E23TrivialOffsetCalculatorILi1EjESC_NS0_6memory15LoadWithoutCastENSD_16StoreWithoutCastEEEviT_T0_T2_T3_T4_T5_
	.p2align	8
	.type	_ZN2at6native27unrolled_elementwise_kernelIZZZNS0_12_GLOBAL__N_130modified_bessel_i1_kernel_cudaERNS_18TensorIteratorBaseEENKUlvE_clEvENKUlvE0_clEvEUlfE_St5arrayIPcLm2EELi4E23TrivialOffsetCalculatorILi1EjESC_NS0_6memory15LoadWithoutCastENSD_16StoreWithoutCastEEEviT_T0_T2_T3_T4_T5_,@function
_ZN2at6native27unrolled_elementwise_kernelIZZZNS0_12_GLOBAL__N_130modified_bessel_i1_kernel_cudaERNS_18TensorIteratorBaseEENKUlvE_clEvENKUlvE0_clEvEUlfE_St5arrayIPcLm2EELi4E23TrivialOffsetCalculatorILi1EjESC_NS0_6memory15LoadWithoutCastENSD_16StoreWithoutCastEEEviT_T0_T2_T3_T4_T5_: ; @_ZN2at6native27unrolled_elementwise_kernelIZZZNS0_12_GLOBAL__N_130modified_bessel_i1_kernel_cudaERNS_18TensorIteratorBaseEENKUlvE_clEvENKUlvE0_clEvEUlfE_St5arrayIPcLm2EELi4E23TrivialOffsetCalculatorILi1EjESC_NS0_6memory15LoadWithoutCastENSD_16StoreWithoutCastEEEviT_T0_T2_T3_T4_T5_
; %bb.0:
	s_clause 0x1
	s_load_b32 s2, s[0:1], 0x0
	s_load_b128 s[4:7], s[0:1], 0x8
	s_wait_xcnt 0x0
	s_bfe_u32 s0, ttmp6, 0x4000c
	s_and_b32 s1, ttmp6, 15
	s_add_co_i32 s0, s0, 1
	s_getreg_b32 s3, hwreg(HW_REG_IB_STS2, 6, 4)
	s_mul_i32 s0, ttmp9, s0
	v_mov_b32_e32 v31, v0
	s_add_co_i32 s1, s1, s0
	s_cmp_eq_u32 s3, 0
	s_mov_b32 s32, 0
	s_cselect_b32 s3, ttmp9, s1
	s_get_pc_i64 s[0:1]
	s_add_nc_u64 s[0:1], s[0:1], _ZN2at6native25elementwise_kernel_helperILb0EZZZNS0_12_GLOBAL__N_130modified_bessel_i1_kernel_cudaERNS_18TensorIteratorBaseEENKUlvE_clEvENKUlvE0_clEvEUlfE_NS0_6memory8policies11unroll_baseILi256ESt5arrayIPcLm2EE23TrivialOffsetCalculatorILi1EjESF_NS8_15LoadWithoutCastENS8_16StoreWithoutCastELi4ELi1EEEEEvT0_T1_@rel64+4
	s_lshl_b32 s3, s3, 10
	s_wait_kmcnt 0x0
	s_sub_co_i32 s2, s2, s3
	v_dual_mov_b32 v0, s4 :: v_dual_mov_b32 v1, s5
	v_dual_mov_b32 v2, s6 :: v_dual_mov_b32 v3, s7
	v_mov_b32_e32 v4, s2
	s_swap_pc_i64 s[30:31], s[0:1]
	s_endpgm
	.section	.rodata,"a",@progbits
	.p2align	6, 0x0
	.amdhsa_kernel _ZN2at6native27unrolled_elementwise_kernelIZZZNS0_12_GLOBAL__N_130modified_bessel_i1_kernel_cudaERNS_18TensorIteratorBaseEENKUlvE_clEvENKUlvE0_clEvEUlfE_St5arrayIPcLm2EELi4E23TrivialOffsetCalculatorILi1EjESC_NS0_6memory15LoadWithoutCastENSD_16StoreWithoutCastEEEviT_T0_T2_T3_T4_T5_
		.amdhsa_group_segment_fixed_size 0
		.amdhsa_private_segment_fixed_size 0
		.amdhsa_kernarg_size 28
		.amdhsa_user_sgpr_count 2
		.amdhsa_user_sgpr_dispatch_ptr 0
		.amdhsa_user_sgpr_queue_ptr 0
		.amdhsa_user_sgpr_kernarg_segment_ptr 1
		.amdhsa_user_sgpr_dispatch_id 0
		.amdhsa_user_sgpr_kernarg_preload_length 0
		.amdhsa_user_sgpr_kernarg_preload_offset 0
		.amdhsa_user_sgpr_private_segment_size 0
		.amdhsa_wavefront_size32 1
		.amdhsa_uses_dynamic_stack 0
		.amdhsa_enable_private_segment 0
		.amdhsa_system_sgpr_workgroup_id_x 1
		.amdhsa_system_sgpr_workgroup_id_y 0
		.amdhsa_system_sgpr_workgroup_id_z 0
		.amdhsa_system_sgpr_workgroup_info 0
		.amdhsa_system_vgpr_workitem_id 0
		.amdhsa_next_free_vgpr 32
		.amdhsa_next_free_sgpr 33
		.amdhsa_named_barrier_count 0
		.amdhsa_reserve_vcc 1
		.amdhsa_float_round_mode_32 0
		.amdhsa_float_round_mode_16_64 0
		.amdhsa_float_denorm_mode_32 3
		.amdhsa_float_denorm_mode_16_64 3
		.amdhsa_fp16_overflow 0
		.amdhsa_memory_ordered 1
		.amdhsa_forward_progress 1
		.amdhsa_inst_pref_size 1
		.amdhsa_round_robin_scheduling 0
		.amdhsa_exception_fp_ieee_invalid_op 0
		.amdhsa_exception_fp_denorm_src 0
		.amdhsa_exception_fp_ieee_div_zero 0
		.amdhsa_exception_fp_ieee_overflow 0
		.amdhsa_exception_fp_ieee_underflow 0
		.amdhsa_exception_fp_ieee_inexact 0
		.amdhsa_exception_int_div_zero 0
	.end_amdhsa_kernel
	.section	.text._ZN2at6native27unrolled_elementwise_kernelIZZZNS0_12_GLOBAL__N_130modified_bessel_i1_kernel_cudaERNS_18TensorIteratorBaseEENKUlvE_clEvENKUlvE0_clEvEUlfE_St5arrayIPcLm2EELi4E23TrivialOffsetCalculatorILi1EjESC_NS0_6memory15LoadWithoutCastENSD_16StoreWithoutCastEEEviT_T0_T2_T3_T4_T5_,"axG",@progbits,_ZN2at6native27unrolled_elementwise_kernelIZZZNS0_12_GLOBAL__N_130modified_bessel_i1_kernel_cudaERNS_18TensorIteratorBaseEENKUlvE_clEvENKUlvE0_clEvEUlfE_St5arrayIPcLm2EELi4E23TrivialOffsetCalculatorILi1EjESC_NS0_6memory15LoadWithoutCastENSD_16StoreWithoutCastEEEviT_T0_T2_T3_T4_T5_,comdat
.Lfunc_end16:
	.size	_ZN2at6native27unrolled_elementwise_kernelIZZZNS0_12_GLOBAL__N_130modified_bessel_i1_kernel_cudaERNS_18TensorIteratorBaseEENKUlvE_clEvENKUlvE0_clEvEUlfE_St5arrayIPcLm2EELi4E23TrivialOffsetCalculatorILi1EjESC_NS0_6memory15LoadWithoutCastENSD_16StoreWithoutCastEEEviT_T0_T2_T3_T4_T5_, .Lfunc_end16-_ZN2at6native27unrolled_elementwise_kernelIZZZNS0_12_GLOBAL__N_130modified_bessel_i1_kernel_cudaERNS_18TensorIteratorBaseEENKUlvE_clEvENKUlvE0_clEvEUlfE_St5arrayIPcLm2EELi4E23TrivialOffsetCalculatorILi1EjESC_NS0_6memory15LoadWithoutCastENSD_16StoreWithoutCastEEEviT_T0_T2_T3_T4_T5_
                                        ; -- End function
	.set _ZN2at6native27unrolled_elementwise_kernelIZZZNS0_12_GLOBAL__N_130modified_bessel_i1_kernel_cudaERNS_18TensorIteratorBaseEENKUlvE_clEvENKUlvE0_clEvEUlfE_St5arrayIPcLm2EELi4E23TrivialOffsetCalculatorILi1EjESC_NS0_6memory15LoadWithoutCastENSD_16StoreWithoutCastEEEviT_T0_T2_T3_T4_T5_.num_vgpr, max(32, .L_ZN2at6native25elementwise_kernel_helperILb0EZZZNS0_12_GLOBAL__N_130modified_bessel_i1_kernel_cudaERNS_18TensorIteratorBaseEENKUlvE_clEvENKUlvE0_clEvEUlfE_NS0_6memory8policies11unroll_baseILi256ESt5arrayIPcLm2EE23TrivialOffsetCalculatorILi1EjESF_NS8_15LoadWithoutCastENS8_16StoreWithoutCastELi4ELi1EEEEEvT0_T1_.num_vgpr)
	.set _ZN2at6native27unrolled_elementwise_kernelIZZZNS0_12_GLOBAL__N_130modified_bessel_i1_kernel_cudaERNS_18TensorIteratorBaseEENKUlvE_clEvENKUlvE0_clEvEUlfE_St5arrayIPcLm2EELi4E23TrivialOffsetCalculatorILi1EjESC_NS0_6memory15LoadWithoutCastENSD_16StoreWithoutCastEEEviT_T0_T2_T3_T4_T5_.num_agpr, max(0, .L_ZN2at6native25elementwise_kernel_helperILb0EZZZNS0_12_GLOBAL__N_130modified_bessel_i1_kernel_cudaERNS_18TensorIteratorBaseEENKUlvE_clEvENKUlvE0_clEvEUlfE_NS0_6memory8policies11unroll_baseILi256ESt5arrayIPcLm2EE23TrivialOffsetCalculatorILi1EjESF_NS8_15LoadWithoutCastENS8_16StoreWithoutCastELi4ELi1EEEEEvT0_T1_.num_agpr)
	.set _ZN2at6native27unrolled_elementwise_kernelIZZZNS0_12_GLOBAL__N_130modified_bessel_i1_kernel_cudaERNS_18TensorIteratorBaseEENKUlvE_clEvENKUlvE0_clEvEUlfE_St5arrayIPcLm2EELi4E23TrivialOffsetCalculatorILi1EjESC_NS0_6memory15LoadWithoutCastENSD_16StoreWithoutCastEEEviT_T0_T2_T3_T4_T5_.numbered_sgpr, max(33, .L_ZN2at6native25elementwise_kernel_helperILb0EZZZNS0_12_GLOBAL__N_130modified_bessel_i1_kernel_cudaERNS_18TensorIteratorBaseEENKUlvE_clEvENKUlvE0_clEvEUlfE_NS0_6memory8policies11unroll_baseILi256ESt5arrayIPcLm2EE23TrivialOffsetCalculatorILi1EjESF_NS8_15LoadWithoutCastENS8_16StoreWithoutCastELi4ELi1EEEEEvT0_T1_.numbered_sgpr)
	.set _ZN2at6native27unrolled_elementwise_kernelIZZZNS0_12_GLOBAL__N_130modified_bessel_i1_kernel_cudaERNS_18TensorIteratorBaseEENKUlvE_clEvENKUlvE0_clEvEUlfE_St5arrayIPcLm2EELi4E23TrivialOffsetCalculatorILi1EjESC_NS0_6memory15LoadWithoutCastENSD_16StoreWithoutCastEEEviT_T0_T2_T3_T4_T5_.num_named_barrier, max(0, .L_ZN2at6native25elementwise_kernel_helperILb0EZZZNS0_12_GLOBAL__N_130modified_bessel_i1_kernel_cudaERNS_18TensorIteratorBaseEENKUlvE_clEvENKUlvE0_clEvEUlfE_NS0_6memory8policies11unroll_baseILi256ESt5arrayIPcLm2EE23TrivialOffsetCalculatorILi1EjESF_NS8_15LoadWithoutCastENS8_16StoreWithoutCastELi4ELi1EEEEEvT0_T1_.num_named_barrier)
	.set _ZN2at6native27unrolled_elementwise_kernelIZZZNS0_12_GLOBAL__N_130modified_bessel_i1_kernel_cudaERNS_18TensorIteratorBaseEENKUlvE_clEvENKUlvE0_clEvEUlfE_St5arrayIPcLm2EELi4E23TrivialOffsetCalculatorILi1EjESC_NS0_6memory15LoadWithoutCastENSD_16StoreWithoutCastEEEviT_T0_T2_T3_T4_T5_.private_seg_size, 0+max(.L_ZN2at6native25elementwise_kernel_helperILb0EZZZNS0_12_GLOBAL__N_130modified_bessel_i1_kernel_cudaERNS_18TensorIteratorBaseEENKUlvE_clEvENKUlvE0_clEvEUlfE_NS0_6memory8policies11unroll_baseILi256ESt5arrayIPcLm2EE23TrivialOffsetCalculatorILi1EjESF_NS8_15LoadWithoutCastENS8_16StoreWithoutCastELi4ELi1EEEEEvT0_T1_.private_seg_size)
	.set _ZN2at6native27unrolled_elementwise_kernelIZZZNS0_12_GLOBAL__N_130modified_bessel_i1_kernel_cudaERNS_18TensorIteratorBaseEENKUlvE_clEvENKUlvE0_clEvEUlfE_St5arrayIPcLm2EELi4E23TrivialOffsetCalculatorILi1EjESC_NS0_6memory15LoadWithoutCastENSD_16StoreWithoutCastEEEviT_T0_T2_T3_T4_T5_.uses_vcc, or(1, .L_ZN2at6native25elementwise_kernel_helperILb0EZZZNS0_12_GLOBAL__N_130modified_bessel_i1_kernel_cudaERNS_18TensorIteratorBaseEENKUlvE_clEvENKUlvE0_clEvEUlfE_NS0_6memory8policies11unroll_baseILi256ESt5arrayIPcLm2EE23TrivialOffsetCalculatorILi1EjESF_NS8_15LoadWithoutCastENS8_16StoreWithoutCastELi4ELi1EEEEEvT0_T1_.uses_vcc)
	.set _ZN2at6native27unrolled_elementwise_kernelIZZZNS0_12_GLOBAL__N_130modified_bessel_i1_kernel_cudaERNS_18TensorIteratorBaseEENKUlvE_clEvENKUlvE0_clEvEUlfE_St5arrayIPcLm2EELi4E23TrivialOffsetCalculatorILi1EjESC_NS0_6memory15LoadWithoutCastENSD_16StoreWithoutCastEEEviT_T0_T2_T3_T4_T5_.uses_flat_scratch, or(0, .L_ZN2at6native25elementwise_kernel_helperILb0EZZZNS0_12_GLOBAL__N_130modified_bessel_i1_kernel_cudaERNS_18TensorIteratorBaseEENKUlvE_clEvENKUlvE0_clEvEUlfE_NS0_6memory8policies11unroll_baseILi256ESt5arrayIPcLm2EE23TrivialOffsetCalculatorILi1EjESF_NS8_15LoadWithoutCastENS8_16StoreWithoutCastELi4ELi1EEEEEvT0_T1_.uses_flat_scratch)
	.set _ZN2at6native27unrolled_elementwise_kernelIZZZNS0_12_GLOBAL__N_130modified_bessel_i1_kernel_cudaERNS_18TensorIteratorBaseEENKUlvE_clEvENKUlvE0_clEvEUlfE_St5arrayIPcLm2EELi4E23TrivialOffsetCalculatorILi1EjESC_NS0_6memory15LoadWithoutCastENSD_16StoreWithoutCastEEEviT_T0_T2_T3_T4_T5_.has_dyn_sized_stack, or(0, .L_ZN2at6native25elementwise_kernel_helperILb0EZZZNS0_12_GLOBAL__N_130modified_bessel_i1_kernel_cudaERNS_18TensorIteratorBaseEENKUlvE_clEvENKUlvE0_clEvEUlfE_NS0_6memory8policies11unroll_baseILi256ESt5arrayIPcLm2EE23TrivialOffsetCalculatorILi1EjESF_NS8_15LoadWithoutCastENS8_16StoreWithoutCastELi4ELi1EEEEEvT0_T1_.has_dyn_sized_stack)
	.set _ZN2at6native27unrolled_elementwise_kernelIZZZNS0_12_GLOBAL__N_130modified_bessel_i1_kernel_cudaERNS_18TensorIteratorBaseEENKUlvE_clEvENKUlvE0_clEvEUlfE_St5arrayIPcLm2EELi4E23TrivialOffsetCalculatorILi1EjESC_NS0_6memory15LoadWithoutCastENSD_16StoreWithoutCastEEEviT_T0_T2_T3_T4_T5_.has_recursion, or(0, .L_ZN2at6native25elementwise_kernel_helperILb0EZZZNS0_12_GLOBAL__N_130modified_bessel_i1_kernel_cudaERNS_18TensorIteratorBaseEENKUlvE_clEvENKUlvE0_clEvEUlfE_NS0_6memory8policies11unroll_baseILi256ESt5arrayIPcLm2EE23TrivialOffsetCalculatorILi1EjESF_NS8_15LoadWithoutCastENS8_16StoreWithoutCastELi4ELi1EEEEEvT0_T1_.has_recursion)
	.set _ZN2at6native27unrolled_elementwise_kernelIZZZNS0_12_GLOBAL__N_130modified_bessel_i1_kernel_cudaERNS_18TensorIteratorBaseEENKUlvE_clEvENKUlvE0_clEvEUlfE_St5arrayIPcLm2EELi4E23TrivialOffsetCalculatorILi1EjESC_NS0_6memory15LoadWithoutCastENSD_16StoreWithoutCastEEEviT_T0_T2_T3_T4_T5_.has_indirect_call, or(0, .L_ZN2at6native25elementwise_kernel_helperILb0EZZZNS0_12_GLOBAL__N_130modified_bessel_i1_kernel_cudaERNS_18TensorIteratorBaseEENKUlvE_clEvENKUlvE0_clEvEUlfE_NS0_6memory8policies11unroll_baseILi256ESt5arrayIPcLm2EE23TrivialOffsetCalculatorILi1EjESF_NS8_15LoadWithoutCastENS8_16StoreWithoutCastELi4ELi1EEEEEvT0_T1_.has_indirect_call)
	.section	.AMDGPU.csdata,"",@progbits
; Kernel info:
; codeLenInByte = 124
; TotalNumSgprs: 35
; NumVgprs: 32
; ScratchSize: 0
; MemoryBound: 0
; FloatMode: 240
; IeeeMode: 1
; LDSByteSize: 0 bytes/workgroup (compile time only)
; SGPRBlocks: 0
; VGPRBlocks: 1
; NumSGPRsForWavesPerEU: 35
; NumVGPRsForWavesPerEU: 32
; NamedBarCnt: 0
; Occupancy: 16
; WaveLimiterHint : 0
; COMPUTE_PGM_RSRC2:SCRATCH_EN: 0
; COMPUTE_PGM_RSRC2:USER_SGPR: 2
; COMPUTE_PGM_RSRC2:TRAP_HANDLER: 0
; COMPUTE_PGM_RSRC2:TGID_X_EN: 1
; COMPUTE_PGM_RSRC2:TGID_Y_EN: 0
; COMPUTE_PGM_RSRC2:TGID_Z_EN: 0
; COMPUTE_PGM_RSRC2:TIDIG_COMP_CNT: 0
	.section	.text._ZN2at6native32elementwise_kernel_manual_unrollILi128ELi4EZNS0_22gpu_kernel_impl_nocastIZZZNS0_12_GLOBAL__N_130modified_bessel_i1_kernel_cudaERNS_18TensorIteratorBaseEENKUlvE_clEvENKUlvE0_clEvEUlfE_EEvS5_RKT_EUlibE_EEviT1_,"axG",@progbits,_ZN2at6native32elementwise_kernel_manual_unrollILi128ELi4EZNS0_22gpu_kernel_impl_nocastIZZZNS0_12_GLOBAL__N_130modified_bessel_i1_kernel_cudaERNS_18TensorIteratorBaseEENKUlvE_clEvENKUlvE0_clEvEUlfE_EEvS5_RKT_EUlibE_EEviT1_,comdat
	.globl	_ZN2at6native32elementwise_kernel_manual_unrollILi128ELi4EZNS0_22gpu_kernel_impl_nocastIZZZNS0_12_GLOBAL__N_130modified_bessel_i1_kernel_cudaERNS_18TensorIteratorBaseEENKUlvE_clEvENKUlvE0_clEvEUlfE_EEvS5_RKT_EUlibE_EEviT1_ ; -- Begin function _ZN2at6native32elementwise_kernel_manual_unrollILi128ELi4EZNS0_22gpu_kernel_impl_nocastIZZZNS0_12_GLOBAL__N_130modified_bessel_i1_kernel_cudaERNS_18TensorIteratorBaseEENKUlvE_clEvENKUlvE0_clEvEUlfE_EEvS5_RKT_EUlibE_EEviT1_
	.p2align	8
	.type	_ZN2at6native32elementwise_kernel_manual_unrollILi128ELi4EZNS0_22gpu_kernel_impl_nocastIZZZNS0_12_GLOBAL__N_130modified_bessel_i1_kernel_cudaERNS_18TensorIteratorBaseEENKUlvE_clEvENKUlvE0_clEvEUlfE_EEvS5_RKT_EUlibE_EEviT1_,@function
_ZN2at6native32elementwise_kernel_manual_unrollILi128ELi4EZNS0_22gpu_kernel_impl_nocastIZZZNS0_12_GLOBAL__N_130modified_bessel_i1_kernel_cudaERNS_18TensorIteratorBaseEENKUlvE_clEvENKUlvE0_clEvEUlfE_EEvS5_RKT_EUlibE_EEviT1_: ; @_ZN2at6native32elementwise_kernel_manual_unrollILi128ELi4EZNS0_22gpu_kernel_impl_nocastIZZZNS0_12_GLOBAL__N_130modified_bessel_i1_kernel_cudaERNS_18TensorIteratorBaseEENKUlvE_clEvENKUlvE0_clEvEUlfE_EEvS5_RKT_EUlibE_EEviT1_
; %bb.0:
	s_clause 0x1
	s_load_b32 s28, s[0:1], 0x8
	s_load_b32 s34, s[0:1], 0x0
	s_bfe_u32 s2, ttmp6, 0x4000c
	s_and_b32 s3, ttmp6, 15
	s_add_co_i32 s2, s2, 1
	s_getreg_b32 s4, hwreg(HW_REG_IB_STS2, 6, 4)
	s_mul_i32 s2, ttmp9, s2
	s_mov_b32 s17, 0
	s_add_co_i32 s3, s3, s2
	s_cmp_eq_u32 s4, 0
	s_cselect_b32 s2, ttmp9, s3
	s_delay_alu instid0(SALU_CYCLE_1) | instskip(SKIP_3) | instid1(VALU_DEP_1)
	v_lshl_or_b32 v0, s2, 9, v0
	s_add_nc_u64 s[2:3], s[0:1], 8
	s_wait_xcnt 0x0
	s_mov_b32 s0, exec_lo
	v_or_b32_e32 v8, 0x180, v0
	s_wait_kmcnt 0x0
	s_add_co_i32 s29, s28, -1
	s_delay_alu instid0(SALU_CYCLE_1)
	s_cmp_gt_u32 s29, 1
	s_cselect_b32 s30, -1, 0
	v_cmpx_le_i32_e64 s34, v8
	s_xor_b32 s31, exec_lo, s0
	s_cbranch_execz .LBB17_7
; %bb.1:
	s_clause 0x3
	s_load_b128 s[8:11], s[2:3], 0x4
	s_load_b64 s[0:1], s[2:3], 0x14
	s_load_b128 s[12:15], s[2:3], 0xc4
	s_load_b128 s[4:7], s[2:3], 0x148
	s_cmp_lg_u32 s28, 0
	s_add_nc_u64 s[20:21], s[2:3], 0xc4
	s_cselect_b32 s36, -1, 0
	s_min_u32 s35, s29, 15
	s_cmp_gt_u32 s28, 1
	s_mov_b32 s19, s17
	s_cselect_b32 s33, -1, 0
	s_wait_kmcnt 0x0
	s_mov_b32 s16, s9
	s_mov_b32 s18, s0
	s_mov_b32 s9, exec_lo
	v_cmpx_gt_i32_e64 s34, v0
	s_cbranch_execz .LBB17_14
; %bb.2:
	s_and_not1_b32 vcc_lo, exec_lo, s30
	s_cbranch_vccnz .LBB17_21
; %bb.3:
	s_and_not1_b32 vcc_lo, exec_lo, s36
	s_cbranch_vccnz .LBB17_121
; %bb.4:
	s_add_co_i32 s0, s35, 1
	s_cmp_eq_u32 s29, 2
	s_cbranch_scc1 .LBB17_123
; %bb.5:
	v_dual_mov_b32 v2, 0 :: v_dual_mov_b32 v3, 0
	v_mov_b32_e32 v1, v0
	s_and_b32 s22, s0, 28
	s_mov_b32 s23, 0
	s_mov_b64 s[24:25], s[2:3]
	s_mov_b64 s[26:27], s[20:21]
.LBB17_6:                               ; =>This Inner Loop Header: Depth=1
	s_clause 0x1
	s_load_b256 s[40:47], s[24:25], 0x4
	s_load_b128 s[56:59], s[24:25], 0x24
	s_load_b256 s[48:55], s[26:27], 0x0
	s_add_co_i32 s23, s23, 4
	s_wait_xcnt 0x0
	s_add_nc_u64 s[24:25], s[24:25], 48
	s_cmp_lg_u32 s22, s23
	s_add_nc_u64 s[26:27], s[26:27], 32
	s_wait_kmcnt 0x0
	v_mul_hi_u32 v4, s41, v1
	s_delay_alu instid0(VALU_DEP_1) | instskip(NEXT) | instid1(VALU_DEP_1)
	v_add_nc_u32_e32 v4, v1, v4
	v_lshrrev_b32_e32 v4, s42, v4
	s_delay_alu instid0(VALU_DEP_1) | instskip(NEXT) | instid1(VALU_DEP_1)
	v_mul_hi_u32 v5, s44, v4
	v_add_nc_u32_e32 v5, v4, v5
	s_delay_alu instid0(VALU_DEP_1) | instskip(NEXT) | instid1(VALU_DEP_1)
	v_lshrrev_b32_e32 v5, s45, v5
	v_mul_hi_u32 v6, s47, v5
	s_delay_alu instid0(VALU_DEP_1) | instskip(SKIP_1) | instid1(VALU_DEP_1)
	v_add_nc_u32_e32 v6, v5, v6
	v_mul_lo_u32 v7, v4, s40
	v_sub_nc_u32_e32 v1, v1, v7
	v_mul_lo_u32 v7, v5, s43
	s_delay_alu instid0(VALU_DEP_4) | instskip(NEXT) | instid1(VALU_DEP_3)
	v_lshrrev_b32_e32 v6, s56, v6
	v_mad_u32 v3, v1, s49, v3
	v_mad_u32 v1, v1, s48, v2
	s_delay_alu instid0(VALU_DEP_4) | instskip(NEXT) | instid1(VALU_DEP_4)
	v_sub_nc_u32_e32 v2, v4, v7
	v_mul_hi_u32 v8, s58, v6
	v_mul_lo_u32 v4, v6, s46
	s_delay_alu instid0(VALU_DEP_3) | instskip(SKIP_1) | instid1(VALU_DEP_4)
	v_mad_u32 v3, v2, s51, v3
	v_mad_u32 v2, v2, s50, v1
	v_add_nc_u32_e32 v7, v6, v8
	s_delay_alu instid0(VALU_DEP_1) | instskip(NEXT) | instid1(VALU_DEP_1)
	v_dual_sub_nc_u32 v4, v5, v4 :: v_dual_lshrrev_b32 v1, s59, v7
	v_mad_u32 v3, v4, s53, v3
	s_delay_alu instid0(VALU_DEP_4) | instskip(NEXT) | instid1(VALU_DEP_3)
	v_mad_u32 v2, v4, s52, v2
	v_mul_lo_u32 v5, v1, s57
	s_delay_alu instid0(VALU_DEP_1) | instskip(NEXT) | instid1(VALU_DEP_1)
	v_sub_nc_u32_e32 v4, v6, v5
	v_mad_u32 v3, v4, s55, v3
	s_delay_alu instid0(VALU_DEP_4)
	v_mad_u32 v2, v4, s54, v2
	s_cbranch_scc1 .LBB17_6
	s_branch .LBB17_124
.LBB17_7:
	s_and_not1_saveexec_b32 s0, s31
	s_cbranch_execz .LBB17_173
.LBB17_8:
	v_cndmask_b32_e64 v6, 0, 1, s30
	s_and_not1_b32 vcc_lo, exec_lo, s30
	s_cbranch_vccnz .LBB17_20
; %bb.9:
	s_cmp_lg_u32 s28, 0
	s_mov_b32 s8, 0
	s_cbranch_scc0 .LBB17_23
; %bb.10:
	s_min_u32 s1, s29, 15
	s_delay_alu instid0(SALU_CYCLE_1)
	s_add_co_i32 s1, s1, 1
	s_cmp_eq_u32 s29, 2
	s_cbranch_scc1 .LBB17_24
; %bb.11:
	v_dual_mov_b32 v2, 0 :: v_dual_mov_b32 v3, 0
	v_mov_b32_e32 v1, v0
	s_and_b32 s0, s1, 28
	s_add_nc_u64 s[4:5], s[2:3], 0xc4
	s_mov_b32 s9, 0
	s_mov_b64 s[6:7], s[2:3]
.LBB17_12:                              ; =>This Inner Loop Header: Depth=1
	s_clause 0x1
	s_load_b256 s[12:19], s[6:7], 0x4
	s_load_b128 s[36:39], s[6:7], 0x24
	s_load_b256 s[20:27], s[4:5], 0x0
	s_add_co_i32 s9, s9, 4
	s_wait_xcnt 0x0
	s_add_nc_u64 s[6:7], s[6:7], 48
	s_cmp_lg_u32 s0, s9
	s_add_nc_u64 s[4:5], s[4:5], 32
	s_wait_kmcnt 0x0
	v_mul_hi_u32 v4, s13, v1
	s_delay_alu instid0(VALU_DEP_1) | instskip(NEXT) | instid1(VALU_DEP_1)
	v_add_nc_u32_e32 v4, v1, v4
	v_lshrrev_b32_e32 v4, s14, v4
	s_delay_alu instid0(VALU_DEP_1) | instskip(NEXT) | instid1(VALU_DEP_1)
	v_mul_hi_u32 v5, s16, v4
	v_add_nc_u32_e32 v5, v4, v5
	s_delay_alu instid0(VALU_DEP_1) | instskip(NEXT) | instid1(VALU_DEP_1)
	v_lshrrev_b32_e32 v5, s17, v5
	v_mul_hi_u32 v7, s19, v5
	s_delay_alu instid0(VALU_DEP_1) | instskip(SKIP_1) | instid1(VALU_DEP_2)
	v_add_nc_u32_e32 v7, v5, v7
	v_mul_lo_u32 v9, v4, s12
	v_lshrrev_b32_e32 v7, s36, v7
	s_delay_alu instid0(VALU_DEP_1) | instskip(NEXT) | instid1(VALU_DEP_3)
	v_mul_hi_u32 v10, s38, v7
	v_sub_nc_u32_e32 v1, v1, v9
	v_mul_lo_u32 v9, v5, s15
	s_delay_alu instid0(VALU_DEP_2) | instskip(SKIP_1) | instid1(VALU_DEP_3)
	v_mad_u32 v3, v1, s21, v3
	v_mad_u32 v1, v1, s20, v2
	v_sub_nc_u32_e32 v2, v4, v9
	v_mul_lo_u32 v4, v7, s18
	v_add_nc_u32_e32 v9, v7, v10
	s_delay_alu instid0(VALU_DEP_3) | instskip(SKIP_1) | instid1(VALU_DEP_3)
	v_mad_u32 v3, v2, s23, v3
	v_mad_u32 v2, v2, s22, v1
	v_dual_sub_nc_u32 v4, v5, v4 :: v_dual_lshrrev_b32 v1, s39, v9
	s_delay_alu instid0(VALU_DEP_1) | instskip(NEXT) | instid1(VALU_DEP_2)
	v_mad_u32 v3, v4, s25, v3
	v_mul_lo_u32 v5, v1, s37
	s_delay_alu instid0(VALU_DEP_4) | instskip(NEXT) | instid1(VALU_DEP_2)
	v_mad_u32 v2, v4, s24, v2
	v_sub_nc_u32_e32 v4, v7, v5
	s_delay_alu instid0(VALU_DEP_1) | instskip(NEXT) | instid1(VALU_DEP_3)
	v_mad_u32 v3, v4, s27, v3
	v_mad_u32 v2, v4, s26, v2
	s_cbranch_scc1 .LBB17_12
; %bb.13:
	s_and_b32 s6, s1, 3
	s_mov_b32 s1, 0
	s_cmp_eq_u32 s6, 0
	s_cbranch_scc0 .LBB17_25
	s_branch .LBB17_27
.LBB17_14:
	s_or_b32 exec_lo, exec_lo, s9
	s_delay_alu instid0(SALU_CYCLE_1)
	s_mov_b32 s9, exec_lo
	v_cmpx_gt_i32_e64 s34, v0
	s_cbranch_execz .LBB17_143
.LBB17_15:
	s_and_not1_b32 vcc_lo, exec_lo, s30
	s_cbranch_vccnz .LBB17_22
; %bb.16:
	s_and_not1_b32 vcc_lo, exec_lo, s36
	s_cbranch_vccnz .LBB17_122
; %bb.17:
	s_add_co_i32 s0, s35, 1
	s_cmp_eq_u32 s29, 2
	s_cbranch_scc1 .LBB17_151
; %bb.18:
	v_dual_mov_b32 v2, 0 :: v_dual_mov_b32 v3, 0
	v_mov_b32_e32 v1, v0
	s_and_b32 s22, s0, 28
	s_mov_b32 s23, 0
	s_mov_b64 s[24:25], s[2:3]
	s_mov_b64 s[26:27], s[20:21]
.LBB17_19:                              ; =>This Inner Loop Header: Depth=1
	s_clause 0x1
	s_load_b256 s[40:47], s[24:25], 0x4
	s_load_b128 s[56:59], s[24:25], 0x24
	s_load_b256 s[48:55], s[26:27], 0x0
	s_add_co_i32 s23, s23, 4
	s_wait_xcnt 0x0
	s_add_nc_u64 s[24:25], s[24:25], 48
	s_cmp_eq_u32 s22, s23
	s_add_nc_u64 s[26:27], s[26:27], 32
	s_wait_kmcnt 0x0
	v_mul_hi_u32 v4, s41, v1
	s_delay_alu instid0(VALU_DEP_1) | instskip(NEXT) | instid1(VALU_DEP_1)
	v_add_nc_u32_e32 v4, v1, v4
	v_lshrrev_b32_e32 v4, s42, v4
	s_delay_alu instid0(VALU_DEP_1) | instskip(NEXT) | instid1(VALU_DEP_1)
	v_mul_hi_u32 v5, s44, v4
	v_add_nc_u32_e32 v5, v4, v5
	s_delay_alu instid0(VALU_DEP_1) | instskip(NEXT) | instid1(VALU_DEP_1)
	v_lshrrev_b32_e32 v5, s45, v5
	v_mul_hi_u32 v6, s47, v5
	s_delay_alu instid0(VALU_DEP_1) | instskip(SKIP_1) | instid1(VALU_DEP_1)
	v_add_nc_u32_e32 v6, v5, v6
	v_mul_lo_u32 v7, v4, s40
	v_sub_nc_u32_e32 v1, v1, v7
	v_mul_lo_u32 v7, v5, s43
	s_delay_alu instid0(VALU_DEP_4) | instskip(NEXT) | instid1(VALU_DEP_3)
	v_lshrrev_b32_e32 v6, s56, v6
	v_mad_u32 v3, v1, s49, v3
	v_mad_u32 v1, v1, s48, v2
	s_delay_alu instid0(VALU_DEP_4) | instskip(NEXT) | instid1(VALU_DEP_4)
	v_sub_nc_u32_e32 v2, v4, v7
	v_mul_hi_u32 v8, s58, v6
	v_mul_lo_u32 v4, v6, s46
	s_delay_alu instid0(VALU_DEP_3) | instskip(SKIP_1) | instid1(VALU_DEP_4)
	v_mad_u32 v3, v2, s51, v3
	v_mad_u32 v2, v2, s50, v1
	v_add_nc_u32_e32 v7, v6, v8
	s_delay_alu instid0(VALU_DEP_1) | instskip(NEXT) | instid1(VALU_DEP_1)
	v_dual_sub_nc_u32 v4, v5, v4 :: v_dual_lshrrev_b32 v1, s59, v7
	v_mad_u32 v3, v4, s53, v3
	s_delay_alu instid0(VALU_DEP_4) | instskip(NEXT) | instid1(VALU_DEP_3)
	v_mad_u32 v2, v4, s52, v2
	v_mul_lo_u32 v5, v1, s57
	s_delay_alu instid0(VALU_DEP_1) | instskip(NEXT) | instid1(VALU_DEP_1)
	v_sub_nc_u32_e32 v4, v6, v5
	v_mad_u32 v3, v4, s55, v3
	s_delay_alu instid0(VALU_DEP_4)
	v_mad_u32 v2, v4, s54, v2
	s_cbranch_scc0 .LBB17_19
	s_branch .LBB17_152
.LBB17_20:
	s_mov_b32 s8, -1
                                        ; implicit-def: $vgpr3
	s_branch .LBB17_27
.LBB17_21:
                                        ; implicit-def: $vgpr3
	s_branch .LBB17_128
.LBB17_22:
                                        ; implicit-def: $vgpr3
	s_branch .LBB17_156
.LBB17_23:
	v_dual_mov_b32 v3, 0 :: v_dual_mov_b32 v2, 0
	s_branch .LBB17_27
.LBB17_24:
	v_mov_b64_e32 v[2:3], 0
	v_mov_b32_e32 v1, v0
	s_mov_b32 s0, 0
	s_and_b32 s6, s1, 3
	s_mov_b32 s1, 0
	s_cmp_eq_u32 s6, 0
	s_cbranch_scc1 .LBB17_27
.LBB17_25:
	s_lshl_b32 s4, s0, 3
	s_mov_b32 s5, s1
	s_mul_u64 s[10:11], s[0:1], 12
	s_add_nc_u64 s[4:5], s[2:3], s[4:5]
	s_delay_alu instid0(SALU_CYCLE_1)
	s_add_nc_u64 s[0:1], s[4:5], 0xc4
	s_add_nc_u64 s[4:5], s[2:3], s[10:11]
.LBB17_26:                              ; =>This Inner Loop Header: Depth=1
	s_load_b96 s[12:14], s[4:5], 0x4
	s_load_b64 s[10:11], s[0:1], 0x0
	s_add_co_i32 s6, s6, -1
	s_wait_xcnt 0x0
	s_add_nc_u64 s[4:5], s[4:5], 12
	s_cmp_lg_u32 s6, 0
	s_add_nc_u64 s[0:1], s[0:1], 8
	s_wait_kmcnt 0x0
	v_mul_hi_u32 v4, s13, v1
	s_delay_alu instid0(VALU_DEP_1) | instskip(NEXT) | instid1(VALU_DEP_1)
	v_add_nc_u32_e32 v4, v1, v4
	v_lshrrev_b32_e32 v4, s14, v4
	s_delay_alu instid0(VALU_DEP_1) | instskip(NEXT) | instid1(VALU_DEP_1)
	v_mul_lo_u32 v5, v4, s12
	v_sub_nc_u32_e32 v1, v1, v5
	s_delay_alu instid0(VALU_DEP_1)
	v_mad_u32 v3, v1, s11, v3
	v_mad_u32 v2, v1, s10, v2
	v_mov_b32_e32 v1, v4
	s_cbranch_scc1 .LBB17_26
.LBB17_27:
	s_and_not1_b32 vcc_lo, exec_lo, s8
	s_cbranch_vccnz .LBB17_30
; %bb.28:
	s_clause 0x1
	s_load_b96 s[4:6], s[2:3], 0x4
	s_load_b64 s[0:1], s[2:3], 0xc4
	s_cmp_lt_u32 s28, 2
	s_wait_kmcnt 0x0
	v_mul_hi_u32 v1, s5, v0
	s_delay_alu instid0(VALU_DEP_1) | instskip(NEXT) | instid1(VALU_DEP_1)
	v_add_nc_u32_e32 v1, v0, v1
	v_lshrrev_b32_e32 v1, s6, v1
	s_delay_alu instid0(VALU_DEP_1) | instskip(NEXT) | instid1(VALU_DEP_1)
	v_mul_lo_u32 v2, v1, s4
	v_sub_nc_u32_e32 v2, v0, v2
	s_delay_alu instid0(VALU_DEP_1)
	v_mul_lo_u32 v3, v2, s1
	v_mul_lo_u32 v2, v2, s0
	s_cbranch_scc1 .LBB17_30
; %bb.29:
	s_clause 0x1
	s_load_b96 s[4:6], s[2:3], 0x10
	s_load_b64 s[0:1], s[2:3], 0xcc
	s_wait_kmcnt 0x0
	v_mul_hi_u32 v4, s5, v1
	s_delay_alu instid0(VALU_DEP_1) | instskip(NEXT) | instid1(VALU_DEP_1)
	v_add_nc_u32_e32 v4, v1, v4
	v_lshrrev_b32_e32 v4, s6, v4
	s_delay_alu instid0(VALU_DEP_1) | instskip(NEXT) | instid1(VALU_DEP_1)
	v_mul_lo_u32 v4, v4, s4
	v_sub_nc_u32_e32 v1, v1, v4
	s_delay_alu instid0(VALU_DEP_1)
	v_mad_u32 v2, v1, s0, v2
	v_mad_u32 v3, v1, s1, v3
.LBB17_30:
	v_cmp_ne_u32_e32 vcc_lo, 1, v6
	v_add_nc_u32_e32 v1, 0x80, v0
	s_cbranch_vccnz .LBB17_36
; %bb.31:
	s_cmp_lg_u32 s28, 0
	s_mov_b32 s8, 0
	s_cbranch_scc0 .LBB17_37
; %bb.32:
	s_min_u32 s1, s29, 15
	s_delay_alu instid0(SALU_CYCLE_1)
	s_add_co_i32 s1, s1, 1
	s_cmp_eq_u32 s29, 2
	s_cbranch_scc1 .LBB17_38
; %bb.33:
	v_dual_mov_b32 v4, 0 :: v_dual_mov_b32 v5, 0
	v_mov_b32_e32 v7, v1
	s_and_b32 s0, s1, 28
	s_add_nc_u64 s[4:5], s[2:3], 0xc4
	s_mov_b32 s9, 0
	s_mov_b64 s[6:7], s[2:3]
.LBB17_34:                              ; =>This Inner Loop Header: Depth=1
	s_clause 0x1
	s_load_b256 s[12:19], s[6:7], 0x4
	s_load_b128 s[36:39], s[6:7], 0x24
	s_load_b256 s[20:27], s[4:5], 0x0
	s_add_co_i32 s9, s9, 4
	s_wait_xcnt 0x0
	s_add_nc_u64 s[6:7], s[6:7], 48
	s_cmp_lg_u32 s0, s9
	s_add_nc_u64 s[4:5], s[4:5], 32
	s_wait_kmcnt 0x0
	v_mul_hi_u32 v9, s13, v7
	s_delay_alu instid0(VALU_DEP_1) | instskip(NEXT) | instid1(VALU_DEP_1)
	v_add_nc_u32_e32 v9, v7, v9
	v_lshrrev_b32_e32 v9, s14, v9
	s_delay_alu instid0(VALU_DEP_1) | instskip(NEXT) | instid1(VALU_DEP_1)
	v_mul_hi_u32 v10, s16, v9
	v_add_nc_u32_e32 v10, v9, v10
	s_delay_alu instid0(VALU_DEP_1) | instskip(NEXT) | instid1(VALU_DEP_1)
	v_lshrrev_b32_e32 v10, s17, v10
	v_mul_hi_u32 v11, s19, v10
	s_delay_alu instid0(VALU_DEP_1) | instskip(SKIP_1) | instid1(VALU_DEP_1)
	v_add_nc_u32_e32 v11, v10, v11
	v_mul_lo_u32 v12, v9, s12
	v_sub_nc_u32_e32 v7, v7, v12
	v_mul_lo_u32 v12, v10, s15
	s_delay_alu instid0(VALU_DEP_4) | instskip(NEXT) | instid1(VALU_DEP_3)
	v_lshrrev_b32_e32 v11, s36, v11
	v_mad_u32 v5, v7, s21, v5
	v_mad_u32 v4, v7, s20, v4
	s_delay_alu instid0(VALU_DEP_4) | instskip(NEXT) | instid1(VALU_DEP_4)
	v_sub_nc_u32_e32 v7, v9, v12
	v_mul_hi_u32 v13, s38, v11
	v_mul_lo_u32 v9, v11, s18
	s_delay_alu instid0(VALU_DEP_3) | instskip(SKIP_1) | instid1(VALU_DEP_4)
	v_mad_u32 v5, v7, s23, v5
	v_mad_u32 v4, v7, s22, v4
	v_add_nc_u32_e32 v12, v11, v13
	s_delay_alu instid0(VALU_DEP_1) | instskip(NEXT) | instid1(VALU_DEP_1)
	v_dual_sub_nc_u32 v9, v10, v9 :: v_dual_lshrrev_b32 v7, s39, v12
	v_mad_u32 v5, v9, s25, v5
	s_delay_alu instid0(VALU_DEP_4) | instskip(NEXT) | instid1(VALU_DEP_3)
	v_mad_u32 v4, v9, s24, v4
	v_mul_lo_u32 v10, v7, s37
	s_delay_alu instid0(VALU_DEP_1) | instskip(NEXT) | instid1(VALU_DEP_1)
	v_sub_nc_u32_e32 v9, v11, v10
	v_mad_u32 v5, v9, s27, v5
	s_delay_alu instid0(VALU_DEP_4)
	v_mad_u32 v4, v9, s26, v4
	s_cbranch_scc1 .LBB17_34
; %bb.35:
	s_and_b32 s6, s1, 3
	s_mov_b32 s1, 0
	s_cmp_eq_u32 s6, 0
	s_cbranch_scc0 .LBB17_39
	s_branch .LBB17_41
.LBB17_36:
	s_mov_b32 s8, -1
                                        ; implicit-def: $vgpr5
	s_branch .LBB17_41
.LBB17_37:
	v_dual_mov_b32 v5, 0 :: v_dual_mov_b32 v4, 0
	s_branch .LBB17_41
.LBB17_38:
	v_mov_b64_e32 v[4:5], 0
	v_mov_b32_e32 v7, v1
	s_mov_b32 s0, 0
	s_and_b32 s6, s1, 3
	s_mov_b32 s1, 0
	s_cmp_eq_u32 s6, 0
	s_cbranch_scc1 .LBB17_41
.LBB17_39:
	s_lshl_b32 s4, s0, 3
	s_mov_b32 s5, s1
	s_mul_u64 s[10:11], s[0:1], 12
	s_add_nc_u64 s[4:5], s[2:3], s[4:5]
	s_delay_alu instid0(SALU_CYCLE_1)
	s_add_nc_u64 s[0:1], s[4:5], 0xc4
	s_add_nc_u64 s[4:5], s[2:3], s[10:11]
.LBB17_40:                              ; =>This Inner Loop Header: Depth=1
	s_load_b96 s[12:14], s[4:5], 0x4
	s_load_b64 s[10:11], s[0:1], 0x0
	s_add_co_i32 s6, s6, -1
	s_wait_xcnt 0x0
	s_add_nc_u64 s[4:5], s[4:5], 12
	s_cmp_lg_u32 s6, 0
	s_add_nc_u64 s[0:1], s[0:1], 8
	s_wait_kmcnt 0x0
	v_mul_hi_u32 v9, s13, v7
	s_delay_alu instid0(VALU_DEP_1) | instskip(NEXT) | instid1(VALU_DEP_1)
	v_add_nc_u32_e32 v9, v7, v9
	v_lshrrev_b32_e32 v9, s14, v9
	s_delay_alu instid0(VALU_DEP_1) | instskip(NEXT) | instid1(VALU_DEP_1)
	v_mul_lo_u32 v10, v9, s12
	v_sub_nc_u32_e32 v7, v7, v10
	s_delay_alu instid0(VALU_DEP_1)
	v_mad_u32 v5, v7, s11, v5
	v_mad_u32 v4, v7, s10, v4
	v_mov_b32_e32 v7, v9
	s_cbranch_scc1 .LBB17_40
.LBB17_41:
	s_and_not1_b32 vcc_lo, exec_lo, s8
	s_cbranch_vccnz .LBB17_44
; %bb.42:
	s_clause 0x1
	s_load_b96 s[4:6], s[2:3], 0x4
	s_load_b64 s[0:1], s[2:3], 0xc4
	s_cmp_lt_u32 s28, 2
	s_wait_kmcnt 0x0
	v_mul_hi_u32 v4, s5, v1
	s_delay_alu instid0(VALU_DEP_1) | instskip(NEXT) | instid1(VALU_DEP_1)
	v_add_nc_u32_e32 v4, v1, v4
	v_lshrrev_b32_e32 v7, s6, v4
	s_delay_alu instid0(VALU_DEP_1) | instskip(NEXT) | instid1(VALU_DEP_1)
	v_mul_lo_u32 v4, v7, s4
	v_sub_nc_u32_e32 v1, v1, v4
	s_delay_alu instid0(VALU_DEP_1)
	v_mul_lo_u32 v5, v1, s1
	v_mul_lo_u32 v4, v1, s0
	s_cbranch_scc1 .LBB17_44
; %bb.43:
	s_clause 0x1
	s_load_b96 s[4:6], s[2:3], 0x10
	s_load_b64 s[0:1], s[2:3], 0xcc
	s_wait_kmcnt 0x0
	v_mul_hi_u32 v1, s5, v7
	s_delay_alu instid0(VALU_DEP_1) | instskip(NEXT) | instid1(VALU_DEP_1)
	v_add_nc_u32_e32 v1, v7, v1
	v_lshrrev_b32_e32 v1, s6, v1
	s_delay_alu instid0(VALU_DEP_1) | instskip(NEXT) | instid1(VALU_DEP_1)
	v_mul_lo_u32 v1, v1, s4
	v_sub_nc_u32_e32 v1, v7, v1
	s_delay_alu instid0(VALU_DEP_1)
	v_mad_u32 v4, v1, s0, v4
	v_mad_u32 v5, v1, s1, v5
.LBB17_44:
	v_cmp_ne_u32_e32 vcc_lo, 1, v6
	v_add_nc_u32_e32 v7, 0x100, v0
	s_cbranch_vccnz .LBB17_50
; %bb.45:
	s_cmp_lg_u32 s28, 0
	s_mov_b32 s8, 0
	s_cbranch_scc0 .LBB17_51
; %bb.46:
	s_min_u32 s1, s29, 15
	s_delay_alu instid0(SALU_CYCLE_1)
	s_add_co_i32 s1, s1, 1
	s_cmp_eq_u32 s29, 2
	s_cbranch_scc1 .LBB17_52
; %bb.47:
	v_dual_mov_b32 v0, 0 :: v_dual_mov_b32 v1, 0
	v_mov_b32_e32 v9, v7
	s_and_b32 s0, s1, 28
	s_add_nc_u64 s[4:5], s[2:3], 0xc4
	s_mov_b32 s9, 0
	s_mov_b64 s[6:7], s[2:3]
.LBB17_48:                              ; =>This Inner Loop Header: Depth=1
	s_clause 0x1
	s_load_b256 s[12:19], s[6:7], 0x4
	s_load_b128 s[36:39], s[6:7], 0x24
	s_load_b256 s[20:27], s[4:5], 0x0
	s_add_co_i32 s9, s9, 4
	s_wait_xcnt 0x0
	s_add_nc_u64 s[6:7], s[6:7], 48
	s_cmp_lg_u32 s0, s9
	s_add_nc_u64 s[4:5], s[4:5], 32
	s_wait_kmcnt 0x0
	v_mul_hi_u32 v10, s13, v9
	s_delay_alu instid0(VALU_DEP_1) | instskip(NEXT) | instid1(VALU_DEP_1)
	v_add_nc_u32_e32 v10, v9, v10
	v_lshrrev_b32_e32 v10, s14, v10
	s_delay_alu instid0(VALU_DEP_1) | instskip(NEXT) | instid1(VALU_DEP_1)
	v_mul_hi_u32 v11, s16, v10
	v_add_nc_u32_e32 v11, v10, v11
	s_delay_alu instid0(VALU_DEP_1) | instskip(NEXT) | instid1(VALU_DEP_1)
	v_lshrrev_b32_e32 v11, s17, v11
	v_mul_hi_u32 v12, s19, v11
	s_delay_alu instid0(VALU_DEP_1) | instskip(SKIP_1) | instid1(VALU_DEP_1)
	v_add_nc_u32_e32 v12, v11, v12
	v_mul_lo_u32 v13, v10, s12
	v_sub_nc_u32_e32 v9, v9, v13
	v_mul_lo_u32 v13, v11, s15
	s_delay_alu instid0(VALU_DEP_4) | instskip(NEXT) | instid1(VALU_DEP_3)
	v_lshrrev_b32_e32 v12, s36, v12
	v_mad_u32 v1, v9, s21, v1
	v_mad_u32 v0, v9, s20, v0
	s_delay_alu instid0(VALU_DEP_4) | instskip(NEXT) | instid1(VALU_DEP_4)
	v_sub_nc_u32_e32 v9, v10, v13
	v_mul_hi_u32 v14, s38, v12
	v_mul_lo_u32 v10, v12, s18
	s_delay_alu instid0(VALU_DEP_3) | instskip(SKIP_1) | instid1(VALU_DEP_4)
	v_mad_u32 v1, v9, s23, v1
	v_mad_u32 v0, v9, s22, v0
	v_add_nc_u32_e32 v13, v12, v14
	s_delay_alu instid0(VALU_DEP_1) | instskip(NEXT) | instid1(VALU_DEP_1)
	v_dual_sub_nc_u32 v10, v11, v10 :: v_dual_lshrrev_b32 v9, s39, v13
	v_mad_u32 v1, v10, s25, v1
	s_delay_alu instid0(VALU_DEP_4) | instskip(NEXT) | instid1(VALU_DEP_3)
	v_mad_u32 v0, v10, s24, v0
	v_mul_lo_u32 v11, v9, s37
	s_delay_alu instid0(VALU_DEP_1) | instskip(NEXT) | instid1(VALU_DEP_1)
	v_sub_nc_u32_e32 v10, v12, v11
	v_mad_u32 v1, v10, s27, v1
	s_delay_alu instid0(VALU_DEP_4)
	v_mad_u32 v0, v10, s26, v0
	s_cbranch_scc1 .LBB17_48
; %bb.49:
	s_and_b32 s6, s1, 3
	s_mov_b32 s1, 0
	s_cmp_eq_u32 s6, 0
	s_cbranch_scc0 .LBB17_53
	s_branch .LBB17_55
.LBB17_50:
	s_mov_b32 s8, -1
                                        ; implicit-def: $vgpr1
	s_branch .LBB17_55
.LBB17_51:
	v_dual_mov_b32 v1, 0 :: v_dual_mov_b32 v0, 0
	s_branch .LBB17_55
.LBB17_52:
	v_mov_b64_e32 v[0:1], 0
	v_mov_b32_e32 v9, v7
	s_mov_b32 s0, 0
	s_and_b32 s6, s1, 3
	s_mov_b32 s1, 0
	s_cmp_eq_u32 s6, 0
	s_cbranch_scc1 .LBB17_55
.LBB17_53:
	s_lshl_b32 s4, s0, 3
	s_mov_b32 s5, s1
	s_mul_u64 s[10:11], s[0:1], 12
	s_add_nc_u64 s[4:5], s[2:3], s[4:5]
	s_delay_alu instid0(SALU_CYCLE_1)
	s_add_nc_u64 s[0:1], s[4:5], 0xc4
	s_add_nc_u64 s[4:5], s[2:3], s[10:11]
.LBB17_54:                              ; =>This Inner Loop Header: Depth=1
	s_load_b96 s[12:14], s[4:5], 0x4
	s_load_b64 s[10:11], s[0:1], 0x0
	s_add_co_i32 s6, s6, -1
	s_wait_xcnt 0x0
	s_add_nc_u64 s[4:5], s[4:5], 12
	s_cmp_lg_u32 s6, 0
	s_add_nc_u64 s[0:1], s[0:1], 8
	s_wait_kmcnt 0x0
	v_mul_hi_u32 v10, s13, v9
	s_delay_alu instid0(VALU_DEP_1) | instskip(NEXT) | instid1(VALU_DEP_1)
	v_add_nc_u32_e32 v10, v9, v10
	v_lshrrev_b32_e32 v10, s14, v10
	s_delay_alu instid0(VALU_DEP_1) | instskip(NEXT) | instid1(VALU_DEP_1)
	v_mul_lo_u32 v11, v10, s12
	v_sub_nc_u32_e32 v9, v9, v11
	s_delay_alu instid0(VALU_DEP_1)
	v_mad_u32 v1, v9, s11, v1
	v_mad_u32 v0, v9, s10, v0
	v_mov_b32_e32 v9, v10
	s_cbranch_scc1 .LBB17_54
.LBB17_55:
	s_and_not1_b32 vcc_lo, exec_lo, s8
	s_cbranch_vccnz .LBB17_58
; %bb.56:
	s_clause 0x1
	s_load_b96 s[4:6], s[2:3], 0x4
	s_load_b64 s[0:1], s[2:3], 0xc4
	s_cmp_lt_u32 s28, 2
	s_wait_kmcnt 0x0
	v_mul_hi_u32 v0, s5, v7
	s_delay_alu instid0(VALU_DEP_1) | instskip(NEXT) | instid1(VALU_DEP_1)
	v_add_nc_u32_e32 v0, v7, v0
	v_lshrrev_b32_e32 v9, s6, v0
	s_delay_alu instid0(VALU_DEP_1) | instskip(NEXT) | instid1(VALU_DEP_1)
	v_mul_lo_u32 v0, v9, s4
	v_sub_nc_u32_e32 v0, v7, v0
	s_delay_alu instid0(VALU_DEP_1)
	v_mul_lo_u32 v1, v0, s1
	v_mul_lo_u32 v0, v0, s0
	s_cbranch_scc1 .LBB17_58
; %bb.57:
	s_clause 0x1
	s_load_b96 s[4:6], s[2:3], 0x10
	s_load_b64 s[0:1], s[2:3], 0xcc
	s_wait_kmcnt 0x0
	v_mul_hi_u32 v7, s5, v9
	s_delay_alu instid0(VALU_DEP_1) | instskip(NEXT) | instid1(VALU_DEP_1)
	v_add_nc_u32_e32 v7, v9, v7
	v_lshrrev_b32_e32 v7, s6, v7
	s_delay_alu instid0(VALU_DEP_1) | instskip(NEXT) | instid1(VALU_DEP_1)
	v_mul_lo_u32 v7, v7, s4
	v_sub_nc_u32_e32 v7, v9, v7
	s_delay_alu instid0(VALU_DEP_1)
	v_mad_u32 v0, v7, s0, v0
	v_mad_u32 v1, v7, s1, v1
.LBB17_58:
	v_cmp_ne_u32_e32 vcc_lo, 1, v6
	s_cbranch_vccnz .LBB17_64
; %bb.59:
	s_cmp_lg_u32 s28, 0
	s_mov_b32 s8, 0
	s_cbranch_scc0 .LBB17_65
; %bb.60:
	s_min_u32 s1, s29, 15
	s_delay_alu instid0(SALU_CYCLE_1)
	s_add_co_i32 s1, s1, 1
	s_cmp_eq_u32 s29, 2
	s_cbranch_scc1 .LBB17_66
; %bb.61:
	v_dual_mov_b32 v6, 0 :: v_dual_mov_b32 v7, 0
	v_mov_b32_e32 v9, v8
	s_and_b32 s0, s1, 28
	s_add_nc_u64 s[4:5], s[2:3], 0xc4
	s_mov_b32 s9, 0
	s_mov_b64 s[6:7], s[2:3]
.LBB17_62:                              ; =>This Inner Loop Header: Depth=1
	s_clause 0x1
	s_load_b256 s[12:19], s[6:7], 0x4
	s_load_b128 s[36:39], s[6:7], 0x24
	s_load_b256 s[20:27], s[4:5], 0x0
	s_add_co_i32 s9, s9, 4
	s_wait_xcnt 0x0
	s_add_nc_u64 s[6:7], s[6:7], 48
	s_cmp_lg_u32 s0, s9
	s_add_nc_u64 s[4:5], s[4:5], 32
	s_wait_kmcnt 0x0
	v_mul_hi_u32 v10, s13, v9
	s_delay_alu instid0(VALU_DEP_1) | instskip(NEXT) | instid1(VALU_DEP_1)
	v_add_nc_u32_e32 v10, v9, v10
	v_lshrrev_b32_e32 v10, s14, v10
	s_delay_alu instid0(VALU_DEP_1) | instskip(NEXT) | instid1(VALU_DEP_1)
	v_mul_hi_u32 v11, s16, v10
	v_add_nc_u32_e32 v11, v10, v11
	s_delay_alu instid0(VALU_DEP_1) | instskip(NEXT) | instid1(VALU_DEP_1)
	v_lshrrev_b32_e32 v11, s17, v11
	v_mul_hi_u32 v12, s19, v11
	s_delay_alu instid0(VALU_DEP_1) | instskip(SKIP_1) | instid1(VALU_DEP_1)
	v_add_nc_u32_e32 v12, v11, v12
	v_mul_lo_u32 v13, v10, s12
	v_sub_nc_u32_e32 v9, v9, v13
	v_mul_lo_u32 v13, v11, s15
	s_delay_alu instid0(VALU_DEP_4) | instskip(NEXT) | instid1(VALU_DEP_3)
	v_lshrrev_b32_e32 v12, s36, v12
	v_mad_u32 v7, v9, s21, v7
	v_mad_u32 v6, v9, s20, v6
	s_delay_alu instid0(VALU_DEP_4) | instskip(NEXT) | instid1(VALU_DEP_4)
	v_sub_nc_u32_e32 v9, v10, v13
	v_mul_hi_u32 v14, s38, v12
	v_mul_lo_u32 v10, v12, s18
	s_delay_alu instid0(VALU_DEP_3) | instskip(SKIP_1) | instid1(VALU_DEP_4)
	v_mad_u32 v7, v9, s23, v7
	v_mad_u32 v6, v9, s22, v6
	v_add_nc_u32_e32 v13, v12, v14
	s_delay_alu instid0(VALU_DEP_1) | instskip(NEXT) | instid1(VALU_DEP_1)
	v_dual_sub_nc_u32 v10, v11, v10 :: v_dual_lshrrev_b32 v9, s39, v13
	v_mad_u32 v7, v10, s25, v7
	s_delay_alu instid0(VALU_DEP_4) | instskip(NEXT) | instid1(VALU_DEP_3)
	v_mad_u32 v6, v10, s24, v6
	v_mul_lo_u32 v11, v9, s37
	s_delay_alu instid0(VALU_DEP_1) | instskip(NEXT) | instid1(VALU_DEP_1)
	v_sub_nc_u32_e32 v10, v12, v11
	v_mad_u32 v7, v10, s27, v7
	s_delay_alu instid0(VALU_DEP_4)
	v_mad_u32 v6, v10, s26, v6
	s_cbranch_scc1 .LBB17_62
; %bb.63:
	s_and_b32 s6, s1, 3
	s_mov_b32 s1, 0
	s_cmp_eq_u32 s6, 0
	s_cbranch_scc0 .LBB17_67
	s_branch .LBB17_69
.LBB17_64:
	s_mov_b32 s8, -1
                                        ; implicit-def: $vgpr7
	s_branch .LBB17_69
.LBB17_65:
	v_dual_mov_b32 v7, 0 :: v_dual_mov_b32 v6, 0
	s_branch .LBB17_69
.LBB17_66:
	v_mov_b64_e32 v[6:7], 0
	v_mov_b32_e32 v9, v8
	s_mov_b32 s0, 0
	s_and_b32 s6, s1, 3
	s_mov_b32 s1, 0
	s_cmp_eq_u32 s6, 0
	s_cbranch_scc1 .LBB17_69
.LBB17_67:
	s_lshl_b32 s4, s0, 3
	s_mov_b32 s5, s1
	s_mul_u64 s[10:11], s[0:1], 12
	s_add_nc_u64 s[4:5], s[2:3], s[4:5]
	s_delay_alu instid0(SALU_CYCLE_1)
	s_add_nc_u64 s[0:1], s[4:5], 0xc4
	s_add_nc_u64 s[4:5], s[2:3], s[10:11]
.LBB17_68:                              ; =>This Inner Loop Header: Depth=1
	s_load_b96 s[12:14], s[4:5], 0x4
	s_load_b64 s[10:11], s[0:1], 0x0
	s_add_co_i32 s6, s6, -1
	s_wait_xcnt 0x0
	s_add_nc_u64 s[4:5], s[4:5], 12
	s_cmp_lg_u32 s6, 0
	s_add_nc_u64 s[0:1], s[0:1], 8
	s_wait_kmcnt 0x0
	v_mul_hi_u32 v10, s13, v9
	s_delay_alu instid0(VALU_DEP_1) | instskip(NEXT) | instid1(VALU_DEP_1)
	v_add_nc_u32_e32 v10, v9, v10
	v_lshrrev_b32_e32 v10, s14, v10
	s_delay_alu instid0(VALU_DEP_1) | instskip(NEXT) | instid1(VALU_DEP_1)
	v_mul_lo_u32 v11, v10, s12
	v_sub_nc_u32_e32 v9, v9, v11
	s_delay_alu instid0(VALU_DEP_1)
	v_mad_u32 v7, v9, s11, v7
	v_mad_u32 v6, v9, s10, v6
	v_mov_b32_e32 v9, v10
	s_cbranch_scc1 .LBB17_68
.LBB17_69:
	s_and_not1_b32 vcc_lo, exec_lo, s8
	s_cbranch_vccnz .LBB17_72
; %bb.70:
	s_clause 0x1
	s_load_b96 s[4:6], s[2:3], 0x4
	s_load_b64 s[0:1], s[2:3], 0xc4
	s_cmp_lt_u32 s28, 2
	s_wait_kmcnt 0x0
	v_mul_hi_u32 v6, s5, v8
	s_delay_alu instid0(VALU_DEP_1) | instskip(NEXT) | instid1(VALU_DEP_1)
	v_add_nc_u32_e32 v6, v8, v6
	v_lshrrev_b32_e32 v9, s6, v6
	s_delay_alu instid0(VALU_DEP_1) | instskip(NEXT) | instid1(VALU_DEP_1)
	v_mul_lo_u32 v6, v9, s4
	v_sub_nc_u32_e32 v6, v8, v6
	s_delay_alu instid0(VALU_DEP_1)
	v_mul_lo_u32 v7, v6, s1
	v_mul_lo_u32 v6, v6, s0
	s_cbranch_scc1 .LBB17_72
; %bb.71:
	s_clause 0x1
	s_load_b96 s[4:6], s[2:3], 0x10
	s_load_b64 s[0:1], s[2:3], 0xcc
	s_wait_kmcnt 0x0
	v_mul_hi_u32 v8, s5, v9
	s_delay_alu instid0(VALU_DEP_1) | instskip(NEXT) | instid1(VALU_DEP_1)
	v_add_nc_u32_e32 v8, v9, v8
	v_lshrrev_b32_e32 v8, s6, v8
	s_delay_alu instid0(VALU_DEP_1) | instskip(NEXT) | instid1(VALU_DEP_1)
	v_mul_lo_u32 v8, v8, s4
	v_sub_nc_u32_e32 v8, v9, v8
	s_delay_alu instid0(VALU_DEP_1)
	v_mad_u32 v6, v8, s0, v6
	v_mad_u32 v7, v8, s1, v7
.LBB17_72:
	s_load_b128 s[4:7], s[2:3], 0x148
	s_mov_b32 s1, exec_lo
	s_wait_kmcnt 0x0
	global_load_b32 v8, v3, s[6:7]
                                        ; implicit-def: $vgpr3
	s_wait_loadcnt 0x0
	v_cmpx_ge_f32_e64 0x41000000, |v8|
	s_xor_b32 s1, exec_lo, s1
	s_cbranch_execz .LBB17_78
; %bb.73:
	v_fma_f32 v3, |v8|, 0.5, -2.0
	s_mov_b32 s0, 0x224cf950
	v_mul_f32_e64 v11, 0x3fb8aa3b, |v8|
	v_cmp_ngt_f32_e64 vcc_lo, 0xc2ce8ed0, |v8|
	s_delay_alu instid0(VALU_DEP_3) | instskip(SKIP_1) | instid1(VALU_DEP_4)
	v_fmaak_f32 v9, s0, v3, 0xa3c2be86
	v_cmp_nlt_f32_e64 s0, 0x42b17218, |v8|
	v_rndne_f32_e32 v12, v11
	v_fma_f32 v13, 0x3fb8aa3b, |v8|, -v11
	s_delay_alu instid0(VALU_DEP_4) | instskip(NEXT) | instid1(VALU_DEP_3)
	v_fmaak_f32 v10, v3, v9, 0xa24cf950
	v_sub_f32_e32 v11, v11, v12
	s_delay_alu instid0(VALU_DEP_3) | instskip(NEXT) | instid1(VALU_DEP_1)
	v_fma_f32 v13, 0x32a5705f, |v8|, v13
	v_dual_add_f32 v10, 0x25331f1f, v10 :: v_dual_add_f32 v11, v11, v13
	s_delay_alu instid0(VALU_DEP_1) | instskip(NEXT) | instid1(VALU_DEP_1)
	v_fma_f32 v9, v3, v10, -v9
	v_add_f32_e32 v9, 0xa69f5554, v9
	s_delay_alu instid0(VALU_DEP_1) | instskip(NEXT) | instid1(VALU_DEP_1)
	v_fma_f32 v10, v3, v9, -v10
	v_add_f32_e32 v10, 0x2808ebf8, v10
	;; [unrolled: 3-line block ×25, first 2 shown]
	s_delay_alu instid0(VALU_DEP_1) | instskip(SKIP_3) | instid1(VALU_DEP_3)
	v_fma_f32 v3, v3, v9, -v10
	v_exp_f32_e32 v9, v11
	v_nop
	v_cvt_i32_f32_e32 v11, v12
	v_add_f32_e32 v3, 0x3e81531c, v3
	s_delay_alu instid0(TRANS32_DEP_1) | instid1(VALU_DEP_2)
	v_ldexp_f32 v9, v9, v11
	s_delay_alu instid0(VALU_DEP_1) | instskip(SKIP_1) | instid1(VALU_DEP_2)
	v_dual_sub_f32 v3, v3, v10 :: v_dual_cndmask_b32 v10, 0, v9
	v_cmp_ngt_f32_e32 vcc_lo, 0, v8
	v_mul_f32_e32 v3, 0.5, v3
	s_delay_alu instid0(VALU_DEP_1) | instskip(NEXT) | instid1(VALU_DEP_4)
	v_mul_f32_e64 v9, |v8|, v3
	v_cndmask_b32_e64 v8, 0x7f800000, v10, s0
                                        ; implicit-def: $vgpr3
	s_and_saveexec_b32 s0, vcc_lo
	s_delay_alu instid0(SALU_CYCLE_1)
	s_xor_b32 s0, exec_lo, s0
; %bb.74:
	s_delay_alu instid0(VALU_DEP_1)
	v_mul_f32_e32 v3, v8, v9
                                        ; implicit-def: $vgpr8
                                        ; implicit-def: $vgpr9
; %bb.75:
	s_and_not1_saveexec_b32 s0, s0
; %bb.76:
	v_mul_f32_e64 v3, v9, -v8
; %bb.77:
	s_or_b32 exec_lo, exec_lo, s0
                                        ; implicit-def: $vgpr8
.LBB17_78:
	s_and_not1_saveexec_b32 s1, s1
	s_cbranch_execz .LBB17_84
; %bb.79:
	v_and_b32_e32 v3, 0x7fffffff, v8
	s_mov_b32 s0, 0x230aab6e
	s_delay_alu instid0(VALU_DEP_1) | instskip(SKIP_1) | instid1(VALU_DEP_2)
	v_div_scale_f32 v9, null, v3, v3, 0x42000000
	v_div_scale_f32 v3, vcc_lo, 0x42000000, v3, 0x42000000
	v_rcp_f32_e32 v10, v9
	v_nop
	s_delay_alu instid0(TRANS32_DEP_1) | instskip(NEXT) | instid1(VALU_DEP_1)
	v_fma_f32 v11, -v9, v10, 1.0
	v_fmac_f32_e32 v10, v11, v10
	s_delay_alu instid0(VALU_DEP_1) | instskip(NEXT) | instid1(VALU_DEP_1)
	v_mul_f32_e32 v11, v3, v10
	v_fma_f32 v12, -v9, v11, v3
	s_delay_alu instid0(VALU_DEP_1) | instskip(NEXT) | instid1(VALU_DEP_1)
	v_fmac_f32_e32 v11, v12, v10
	v_fma_f32 v3, -v9, v11, v3
	s_delay_alu instid0(VALU_DEP_1) | instskip(SKIP_2) | instid1(VALU_DEP_3)
	v_div_fmas_f32 v3, v3, v10, v11
	v_mul_f32_e64 v11, 0x3fb8aa3b, |v8|
	v_cmp_ngt_f32_e64 vcc_lo, 0xc2ce8ed0, |v8|
	v_div_fixup_f32 v3, v3, |v8|, 0x42000000
	s_delay_alu instid0(VALU_DEP_3) | instskip(SKIP_1) | instid1(VALU_DEP_2)
	v_rndne_f32_e32 v12, v11
	v_fma_f32 v13, 0x3fb8aa3b, |v8|, -v11
	v_dual_add_f32 v3, -2.0, v3 :: v_dual_sub_f32 v11, v11, v12
	s_delay_alu instid0(VALU_DEP_2) | instskip(SKIP_1) | instid1(VALU_DEP_3)
	v_fma_f32 v13, 0x32a5705f, |v8|, v13
	v_cvt_i32_f32_e32 v12, v12
	v_fmaak_f32 v9, s0, v3, 0x22a2dc57
	v_cmp_nlt_f32_e64 s0, 0x42b17218, |v8|
	s_delay_alu instid0(VALU_DEP_4) | instskip(NEXT) | instid1(VALU_DEP_3)
	v_add_f32_e32 v11, v11, v13
	v_fmaak_f32 v10, v3, v9, 0xa30aab6e
	s_delay_alu instid0(VALU_DEP_2) | instskip(NEXT) | instid1(VALU_DEP_1)
	v_exp_f32_e32 v11, v11
	v_add_f32_e32 v10, 0xa456751e, v10
	s_delay_alu instid0(TRANS32_DEP_1) | instskip(NEXT) | instid1(VALU_DEP_2)
	v_ldexp_f32 v11, v11, v12
	v_fma_f32 v9, v3, v10, -v9
	s_delay_alu instid0(VALU_DEP_1) | instskip(NEXT) | instid1(VALU_DEP_1)
	v_add_f32_e32 v9, 0xa4140365, v9
	v_fma_f32 v10, v3, v9, -v10
	s_delay_alu instid0(VALU_DEP_1) | instskip(NEXT) | instid1(VALU_DEP_1)
	v_add_f32_e32 v10, 0x25aac8b0, v10
	;; [unrolled: 3-line block ×21, first 2 shown]
	v_dual_fma_f32 v3, v3, v9, -v10 :: v_dual_cndmask_b32 v9, 0, v11, vcc_lo
	v_mul_f32_e64 v11, 0x4f800000, |v8|
	s_delay_alu instid0(VALU_DEP_2) | instskip(NEXT) | instid1(VALU_DEP_3)
	v_add_f32_e32 v3, 0x3f4750c6, v3
	v_cndmask_b32_e64 v9, 0x7f800000, v9, s0
	s_mov_b32 s0, exec_lo
	s_delay_alu instid0(VALU_DEP_2)
	v_sub_f32_e32 v10, v3, v10
                                        ; implicit-def: $vgpr3
	v_cmpx_ngt_f32_e32 0, v8
	s_xor_b32 s2, exec_lo, s0
	s_cbranch_execz .LBB17_81
; %bb.80:
	v_cmp_gt_f32_e64 vcc_lo, 0xf800000, |v8|
	v_mul_f32_e32 v10, 0.5, v10
	s_delay_alu instid0(VALU_DEP_2) | instskip(NEXT) | instid1(VALU_DEP_2)
	v_cndmask_b32_e64 v3, |v8|, v11, vcc_lo
	v_mul_f32_e32 v9, v9, v10
	s_delay_alu instid0(VALU_DEP_2) | instskip(SKIP_1) | instid1(TRANS32_DEP_1)
	v_sqrt_f32_e32 v8, v3
	v_nop
	v_dual_add_nc_u32 v11, -1, v8 :: v_dual_add_nc_u32 v12, 1, v8
	s_delay_alu instid0(VALU_DEP_1) | instskip(NEXT) | instid1(VALU_DEP_1)
	v_dual_fma_f32 v13, -v11, v8, v3 :: v_dual_fma_f32 v14, -v12, v8, v3
	v_cmp_ge_f32_e64 s0, 0, v13
	s_delay_alu instid0(VALU_DEP_1) | instskip(NEXT) | instid1(VALU_DEP_3)
	v_cndmask_b32_e64 v8, v8, v11, s0
	v_cmp_lt_f32_e64 s0, 0, v14
	s_delay_alu instid0(VALU_DEP_1) | instskip(NEXT) | instid1(VALU_DEP_1)
	v_cndmask_b32_e64 v8, v8, v12, s0
	v_mul_f32_e32 v11, 0x37800000, v8
	s_delay_alu instid0(VALU_DEP_1) | instskip(SKIP_1) | instid1(VALU_DEP_2)
	v_cndmask_b32_e32 v8, v8, v11, vcc_lo
	v_cmp_class_f32_e64 vcc_lo, v3, 0x260
	v_cndmask_b32_e32 v3, v8, v3, vcc_lo
	s_delay_alu instid0(VALU_DEP_1) | instskip(NEXT) | instid1(VALU_DEP_1)
	v_div_scale_f32 v8, null, v3, v3, v9
	v_rcp_f32_e32 v10, v8
	v_nop
	s_delay_alu instid0(TRANS32_DEP_1) | instskip(NEXT) | instid1(VALU_DEP_1)
	v_fma_f32 v11, -v8, v10, 1.0
	v_fmac_f32_e32 v10, v11, v10
	v_div_scale_f32 v11, vcc_lo, v9, v3, v9
	s_delay_alu instid0(VALU_DEP_1) | instskip(NEXT) | instid1(VALU_DEP_1)
	v_mul_f32_e32 v12, v11, v10
	v_fma_f32 v13, -v8, v12, v11
	s_delay_alu instid0(VALU_DEP_1) | instskip(NEXT) | instid1(VALU_DEP_1)
	v_fmac_f32_e32 v12, v13, v10
	v_fma_f32 v8, -v8, v12, v11
                                        ; implicit-def: $vgpr11
	s_delay_alu instid0(VALU_DEP_1) | instskip(NEXT) | instid1(VALU_DEP_1)
	v_div_fmas_f32 v8, v8, v10, v12
                                        ; implicit-def: $vgpr10
	v_div_fixup_f32 v3, v8, v3, v9
                                        ; implicit-def: $vgpr8
                                        ; implicit-def: $vgpr9
.LBB17_81:
	s_and_not1_saveexec_b32 s2, s2
	s_cbranch_execz .LBB17_83
; %bb.82:
	v_cmp_gt_f32_e64 vcc_lo, 0xf800000, |v8|
	v_mul_f32_e32 v10, -0.5, v10
	s_delay_alu instid0(VALU_DEP_2) | instskip(NEXT) | instid1(VALU_DEP_2)
	v_cndmask_b32_e64 v3, |v8|, v11, vcc_lo
	v_mul_f32_e32 v9, v9, v10
	s_delay_alu instid0(VALU_DEP_2) | instskip(SKIP_1) | instid1(TRANS32_DEP_1)
	v_sqrt_f32_e32 v8, v3
	v_nop
	v_dual_add_nc_u32 v11, -1, v8 :: v_dual_add_nc_u32 v12, 1, v8
	s_delay_alu instid0(VALU_DEP_1) | instskip(NEXT) | instid1(VALU_DEP_1)
	v_dual_fma_f32 v13, -v11, v8, v3 :: v_dual_fma_f32 v14, -v12, v8, v3
	v_cmp_ge_f32_e64 s0, 0, v13
	s_delay_alu instid0(VALU_DEP_1) | instskip(NEXT) | instid1(VALU_DEP_3)
	v_cndmask_b32_e64 v8, v8, v11, s0
	v_cmp_lt_f32_e64 s0, 0, v14
	s_delay_alu instid0(VALU_DEP_1) | instskip(NEXT) | instid1(VALU_DEP_1)
	v_cndmask_b32_e64 v8, v8, v12, s0
	v_mul_f32_e32 v11, 0x37800000, v8
	s_delay_alu instid0(VALU_DEP_1) | instskip(SKIP_1) | instid1(VALU_DEP_2)
	v_cndmask_b32_e32 v8, v8, v11, vcc_lo
	v_cmp_class_f32_e64 vcc_lo, v3, 0x260
	v_cndmask_b32_e32 v3, v8, v3, vcc_lo
	s_delay_alu instid0(VALU_DEP_1) | instskip(NEXT) | instid1(VALU_DEP_1)
	v_div_scale_f32 v8, null, v3, v3, v9
	v_rcp_f32_e32 v10, v8
	v_nop
	s_delay_alu instid0(TRANS32_DEP_1) | instskip(NEXT) | instid1(VALU_DEP_1)
	v_fma_f32 v11, -v8, v10, 1.0
	v_fmac_f32_e32 v10, v11, v10
	v_div_scale_f32 v11, vcc_lo, v9, v3, v9
	s_delay_alu instid0(VALU_DEP_1) | instskip(NEXT) | instid1(VALU_DEP_1)
	v_mul_f32_e32 v12, v11, v10
	v_fma_f32 v13, -v8, v12, v11
	s_delay_alu instid0(VALU_DEP_1) | instskip(NEXT) | instid1(VALU_DEP_1)
	v_fmac_f32_e32 v12, v13, v10
	v_fma_f32 v8, -v8, v12, v11
	s_delay_alu instid0(VALU_DEP_1) | instskip(NEXT) | instid1(VALU_DEP_1)
	v_div_fmas_f32 v8, v8, v10, v12
	v_div_fixup_f32 v3, v8, v3, v9
.LBB17_83:
	s_or_b32 exec_lo, exec_lo, s2
.LBB17_84:
	s_delay_alu instid0(SALU_CYCLE_1)
	s_or_b32 exec_lo, exec_lo, s1
	global_load_b32 v8, v5, s[6:7]
	s_mov_b32 s1, exec_lo
                                        ; implicit-def: $vgpr5
	s_wait_loadcnt 0x0
	v_cmpx_ge_f32_e64 0x41000000, |v8|
	s_xor_b32 s1, exec_lo, s1
	s_cbranch_execz .LBB17_90
; %bb.85:
	v_fma_f32 v5, |v8|, 0.5, -2.0
	s_mov_b32 s0, 0x224cf950
	v_mul_f32_e64 v11, 0x3fb8aa3b, |v8|
	v_cmp_ngt_f32_e64 vcc_lo, 0xc2ce8ed0, |v8|
	s_delay_alu instid0(VALU_DEP_3) | instskip(SKIP_1) | instid1(VALU_DEP_4)
	v_fmaak_f32 v9, s0, v5, 0xa3c2be86
	v_cmp_nlt_f32_e64 s0, 0x42b17218, |v8|
	v_rndne_f32_e32 v12, v11
	v_fma_f32 v13, 0x3fb8aa3b, |v8|, -v11
	s_delay_alu instid0(VALU_DEP_2) | instskip(NEXT) | instid1(VALU_DEP_2)
	v_dual_fmaak_f32 v10, v5, v9, 0xa24cf950 :: v_dual_sub_f32 v11, v11, v12
	v_fma_f32 v13, 0x32a5705f, |v8|, v13
	s_delay_alu instid0(VALU_DEP_1) | instskip(NEXT) | instid1(VALU_DEP_1)
	v_dual_add_f32 v10, 0x25331f1f, v10 :: v_dual_add_f32 v11, v11, v13
	v_fma_f32 v9, v5, v10, -v9
	s_delay_alu instid0(VALU_DEP_1) | instskip(NEXT) | instid1(VALU_DEP_1)
	v_add_f32_e32 v9, 0xa69f5554, v9
	v_fma_f32 v10, v5, v9, -v10
	s_delay_alu instid0(VALU_DEP_1) | instskip(NEXT) | instid1(VALU_DEP_1)
	v_add_f32_e32 v10, 0x2808ebf8, v10
	;; [unrolled: 3-line block ×25, first 2 shown]
	v_fma_f32 v5, v5, v9, -v10
	v_exp_f32_e32 v9, v11
	v_nop
	v_cvt_i32_f32_e32 v11, v12
	s_delay_alu instid0(VALU_DEP_3)
	v_add_f32_e32 v5, 0x3e81531c, v5
	s_delay_alu instid0(TRANS32_DEP_1) | instid1(VALU_DEP_2)
	v_ldexp_f32 v9, v9, v11
	s_delay_alu instid0(VALU_DEP_1) | instskip(SKIP_1) | instid1(VALU_DEP_2)
	v_dual_sub_f32 v5, v5, v10 :: v_dual_cndmask_b32 v10, 0, v9
	v_cmp_ngt_f32_e32 vcc_lo, 0, v8
	v_mul_f32_e32 v5, 0.5, v5
	s_delay_alu instid0(VALU_DEP_1) | instskip(NEXT) | instid1(VALU_DEP_4)
	v_mul_f32_e64 v9, |v8|, v5
	v_cndmask_b32_e64 v8, 0x7f800000, v10, s0
                                        ; implicit-def: $vgpr5
	s_and_saveexec_b32 s0, vcc_lo
	s_delay_alu instid0(SALU_CYCLE_1)
	s_xor_b32 s0, exec_lo, s0
; %bb.86:
	s_delay_alu instid0(VALU_DEP_1)
	v_mul_f32_e32 v5, v8, v9
                                        ; implicit-def: $vgpr8
                                        ; implicit-def: $vgpr9
; %bb.87:
	s_and_not1_saveexec_b32 s0, s0
; %bb.88:
	v_mul_f32_e64 v5, v9, -v8
; %bb.89:
	s_or_b32 exec_lo, exec_lo, s0
                                        ; implicit-def: $vgpr8
.LBB17_90:
	s_and_not1_saveexec_b32 s1, s1
	s_cbranch_execz .LBB17_96
; %bb.91:
	v_and_b32_e32 v5, 0x7fffffff, v8
	s_mov_b32 s0, 0x230aab6e
	s_delay_alu instid0(VALU_DEP_1) | instskip(SKIP_1) | instid1(VALU_DEP_2)
	v_div_scale_f32 v9, null, v5, v5, 0x42000000
	v_div_scale_f32 v5, vcc_lo, 0x42000000, v5, 0x42000000
	v_rcp_f32_e32 v10, v9
	v_nop
	s_delay_alu instid0(TRANS32_DEP_1) | instskip(NEXT) | instid1(VALU_DEP_1)
	v_fma_f32 v11, -v9, v10, 1.0
	v_fmac_f32_e32 v10, v11, v10
	s_delay_alu instid0(VALU_DEP_1) | instskip(NEXT) | instid1(VALU_DEP_1)
	v_mul_f32_e32 v11, v5, v10
	v_fma_f32 v12, -v9, v11, v5
	s_delay_alu instid0(VALU_DEP_1) | instskip(NEXT) | instid1(VALU_DEP_1)
	v_fmac_f32_e32 v11, v12, v10
	v_fma_f32 v5, -v9, v11, v5
	s_delay_alu instid0(VALU_DEP_1) | instskip(SKIP_2) | instid1(VALU_DEP_3)
	v_div_fmas_f32 v5, v5, v10, v11
	v_mul_f32_e64 v11, 0x3fb8aa3b, |v8|
	v_cmp_ngt_f32_e64 vcc_lo, 0xc2ce8ed0, |v8|
	v_div_fixup_f32 v5, v5, |v8|, 0x42000000
	s_delay_alu instid0(VALU_DEP_3) | instskip(SKIP_1) | instid1(VALU_DEP_2)
	v_rndne_f32_e32 v12, v11
	v_fma_f32 v13, 0x3fb8aa3b, |v8|, -v11
	v_dual_add_f32 v5, -2.0, v5 :: v_dual_sub_f32 v11, v11, v12
	s_delay_alu instid0(VALU_DEP_2) | instskip(SKIP_1) | instid1(VALU_DEP_3)
	v_fma_f32 v13, 0x32a5705f, |v8|, v13
	v_cvt_i32_f32_e32 v12, v12
	v_fmaak_f32 v9, s0, v5, 0x22a2dc57
	v_cmp_nlt_f32_e64 s0, 0x42b17218, |v8|
	s_delay_alu instid0(VALU_DEP_4) | instskip(NEXT) | instid1(VALU_DEP_3)
	v_add_f32_e32 v11, v11, v13
	v_fmaak_f32 v10, v5, v9, 0xa30aab6e
	s_delay_alu instid0(VALU_DEP_2) | instskip(NEXT) | instid1(VALU_DEP_1)
	v_exp_f32_e32 v11, v11
	v_add_f32_e32 v10, 0xa456751e, v10
	s_delay_alu instid0(TRANS32_DEP_1) | instskip(NEXT) | instid1(VALU_DEP_2)
	v_ldexp_f32 v11, v11, v12
	v_fma_f32 v9, v5, v10, -v9
	s_delay_alu instid0(VALU_DEP_1) | instskip(NEXT) | instid1(VALU_DEP_1)
	v_add_f32_e32 v9, 0xa4140365, v9
	v_fma_f32 v10, v5, v9, -v10
	s_delay_alu instid0(VALU_DEP_1) | instskip(NEXT) | instid1(VALU_DEP_1)
	v_add_f32_e32 v10, 0x25aac8b0, v10
	;; [unrolled: 3-line block ×21, first 2 shown]
	v_dual_fma_f32 v5, v5, v9, -v10 :: v_dual_cndmask_b32 v9, 0, v11, vcc_lo
	v_mul_f32_e64 v11, 0x4f800000, |v8|
	s_delay_alu instid0(VALU_DEP_2) | instskip(NEXT) | instid1(VALU_DEP_3)
	v_add_f32_e32 v5, 0x3f4750c6, v5
	v_cndmask_b32_e64 v9, 0x7f800000, v9, s0
	s_mov_b32 s0, exec_lo
	s_delay_alu instid0(VALU_DEP_2)
	v_sub_f32_e32 v10, v5, v10
                                        ; implicit-def: $vgpr5
	v_cmpx_ngt_f32_e32 0, v8
	s_xor_b32 s2, exec_lo, s0
	s_cbranch_execz .LBB17_93
; %bb.92:
	v_cmp_gt_f32_e64 vcc_lo, 0xf800000, |v8|
	v_mul_f32_e32 v10, 0.5, v10
	s_delay_alu instid0(VALU_DEP_2) | instskip(NEXT) | instid1(VALU_DEP_2)
	v_cndmask_b32_e64 v5, |v8|, v11, vcc_lo
	v_mul_f32_e32 v9, v9, v10
	s_delay_alu instid0(VALU_DEP_2) | instskip(SKIP_1) | instid1(TRANS32_DEP_1)
	v_sqrt_f32_e32 v8, v5
	v_nop
	v_dual_add_nc_u32 v11, -1, v8 :: v_dual_add_nc_u32 v12, 1, v8
	s_delay_alu instid0(VALU_DEP_1) | instskip(NEXT) | instid1(VALU_DEP_1)
	v_dual_fma_f32 v13, -v11, v8, v5 :: v_dual_fma_f32 v14, -v12, v8, v5
	v_cmp_ge_f32_e64 s0, 0, v13
	s_delay_alu instid0(VALU_DEP_1) | instskip(NEXT) | instid1(VALU_DEP_3)
	v_cndmask_b32_e64 v8, v8, v11, s0
	v_cmp_lt_f32_e64 s0, 0, v14
	s_delay_alu instid0(VALU_DEP_1) | instskip(NEXT) | instid1(VALU_DEP_1)
	v_cndmask_b32_e64 v8, v8, v12, s0
	v_mul_f32_e32 v11, 0x37800000, v8
	s_delay_alu instid0(VALU_DEP_1) | instskip(SKIP_1) | instid1(VALU_DEP_2)
	v_cndmask_b32_e32 v8, v8, v11, vcc_lo
	v_cmp_class_f32_e64 vcc_lo, v5, 0x260
	v_cndmask_b32_e32 v5, v8, v5, vcc_lo
	s_delay_alu instid0(VALU_DEP_1) | instskip(NEXT) | instid1(VALU_DEP_1)
	v_div_scale_f32 v8, null, v5, v5, v9
	v_rcp_f32_e32 v10, v8
	v_nop
	s_delay_alu instid0(TRANS32_DEP_1) | instskip(NEXT) | instid1(VALU_DEP_1)
	v_fma_f32 v11, -v8, v10, 1.0
	v_fmac_f32_e32 v10, v11, v10
	v_div_scale_f32 v11, vcc_lo, v9, v5, v9
	s_delay_alu instid0(VALU_DEP_1) | instskip(NEXT) | instid1(VALU_DEP_1)
	v_mul_f32_e32 v12, v11, v10
	v_fma_f32 v13, -v8, v12, v11
	s_delay_alu instid0(VALU_DEP_1) | instskip(NEXT) | instid1(VALU_DEP_1)
	v_fmac_f32_e32 v12, v13, v10
	v_fma_f32 v8, -v8, v12, v11
                                        ; implicit-def: $vgpr11
	s_delay_alu instid0(VALU_DEP_1) | instskip(NEXT) | instid1(VALU_DEP_1)
	v_div_fmas_f32 v8, v8, v10, v12
                                        ; implicit-def: $vgpr10
	v_div_fixup_f32 v5, v8, v5, v9
                                        ; implicit-def: $vgpr8
                                        ; implicit-def: $vgpr9
.LBB17_93:
	s_and_not1_saveexec_b32 s2, s2
	s_cbranch_execz .LBB17_95
; %bb.94:
	v_cmp_gt_f32_e64 vcc_lo, 0xf800000, |v8|
	v_mul_f32_e32 v10, -0.5, v10
	s_delay_alu instid0(VALU_DEP_2) | instskip(NEXT) | instid1(VALU_DEP_2)
	v_cndmask_b32_e64 v5, |v8|, v11, vcc_lo
	v_mul_f32_e32 v9, v9, v10
	s_delay_alu instid0(VALU_DEP_2) | instskip(SKIP_1) | instid1(TRANS32_DEP_1)
	v_sqrt_f32_e32 v8, v5
	v_nop
	v_dual_add_nc_u32 v11, -1, v8 :: v_dual_add_nc_u32 v12, 1, v8
	s_delay_alu instid0(VALU_DEP_1) | instskip(NEXT) | instid1(VALU_DEP_1)
	v_dual_fma_f32 v13, -v11, v8, v5 :: v_dual_fma_f32 v14, -v12, v8, v5
	v_cmp_ge_f32_e64 s0, 0, v13
	s_delay_alu instid0(VALU_DEP_1) | instskip(NEXT) | instid1(VALU_DEP_3)
	v_cndmask_b32_e64 v8, v8, v11, s0
	v_cmp_lt_f32_e64 s0, 0, v14
	s_delay_alu instid0(VALU_DEP_1) | instskip(NEXT) | instid1(VALU_DEP_1)
	v_cndmask_b32_e64 v8, v8, v12, s0
	v_mul_f32_e32 v11, 0x37800000, v8
	s_delay_alu instid0(VALU_DEP_1) | instskip(SKIP_1) | instid1(VALU_DEP_2)
	v_cndmask_b32_e32 v8, v8, v11, vcc_lo
	v_cmp_class_f32_e64 vcc_lo, v5, 0x260
	v_cndmask_b32_e32 v5, v8, v5, vcc_lo
	s_delay_alu instid0(VALU_DEP_1) | instskip(NEXT) | instid1(VALU_DEP_1)
	v_div_scale_f32 v8, null, v5, v5, v9
	v_rcp_f32_e32 v10, v8
	v_nop
	s_delay_alu instid0(TRANS32_DEP_1) | instskip(NEXT) | instid1(VALU_DEP_1)
	v_fma_f32 v11, -v8, v10, 1.0
	v_fmac_f32_e32 v10, v11, v10
	v_div_scale_f32 v11, vcc_lo, v9, v5, v9
	s_delay_alu instid0(VALU_DEP_1) | instskip(NEXT) | instid1(VALU_DEP_1)
	v_mul_f32_e32 v12, v11, v10
	v_fma_f32 v13, -v8, v12, v11
	s_delay_alu instid0(VALU_DEP_1) | instskip(NEXT) | instid1(VALU_DEP_1)
	v_fmac_f32_e32 v12, v13, v10
	v_fma_f32 v8, -v8, v12, v11
	s_delay_alu instid0(VALU_DEP_1) | instskip(NEXT) | instid1(VALU_DEP_1)
	v_div_fmas_f32 v8, v8, v10, v12
	v_div_fixup_f32 v5, v8, v5, v9
.LBB17_95:
	s_or_b32 exec_lo, exec_lo, s2
.LBB17_96:
	s_delay_alu instid0(SALU_CYCLE_1)
	s_or_b32 exec_lo, exec_lo, s1
	global_load_b32 v8, v1, s[6:7]
	s_mov_b32 s1, exec_lo
                                        ; implicit-def: $vgpr1
	s_wait_loadcnt 0x0
	v_cmpx_ge_f32_e64 0x41000000, |v8|
	s_xor_b32 s1, exec_lo, s1
	s_cbranch_execz .LBB17_102
; %bb.97:
	v_fma_f32 v1, |v8|, 0.5, -2.0
	s_mov_b32 s0, 0x224cf950
	v_mul_f32_e64 v11, 0x3fb8aa3b, |v8|
	v_cmp_ngt_f32_e64 vcc_lo, 0xc2ce8ed0, |v8|
	s_delay_alu instid0(VALU_DEP_3) | instskip(SKIP_1) | instid1(VALU_DEP_4)
	v_fmaak_f32 v9, s0, v1, 0xa3c2be86
	v_cmp_nlt_f32_e64 s0, 0x42b17218, |v8|
	v_rndne_f32_e32 v12, v11
	v_fma_f32 v13, 0x3fb8aa3b, |v8|, -v11
	s_delay_alu instid0(VALU_DEP_2) | instskip(NEXT) | instid1(VALU_DEP_2)
	v_dual_fmaak_f32 v10, v1, v9, 0xa24cf950 :: v_dual_sub_f32 v11, v11, v12
	v_fma_f32 v13, 0x32a5705f, |v8|, v13
	s_delay_alu instid0(VALU_DEP_1) | instskip(NEXT) | instid1(VALU_DEP_1)
	v_dual_add_f32 v10, 0x25331f1f, v10 :: v_dual_add_f32 v11, v11, v13
	v_fma_f32 v9, v1, v10, -v9
	s_delay_alu instid0(VALU_DEP_1) | instskip(NEXT) | instid1(VALU_DEP_1)
	v_add_f32_e32 v9, 0xa69f5554, v9
	v_fma_f32 v10, v1, v9, -v10
	s_delay_alu instid0(VALU_DEP_1) | instskip(NEXT) | instid1(VALU_DEP_1)
	v_add_f32_e32 v10, 0x2808ebf8, v10
	;; [unrolled: 3-line block ×25, first 2 shown]
	v_fma_f32 v1, v1, v9, -v10
	v_exp_f32_e32 v9, v11
	v_nop
	v_cvt_i32_f32_e32 v11, v12
	s_delay_alu instid0(VALU_DEP_3)
	v_add_f32_e32 v1, 0x3e81531c, v1
	s_delay_alu instid0(TRANS32_DEP_1) | instid1(VALU_DEP_2)
	v_ldexp_f32 v9, v9, v11
	s_delay_alu instid0(VALU_DEP_1) | instskip(SKIP_1) | instid1(VALU_DEP_2)
	v_dual_sub_f32 v1, v1, v10 :: v_dual_cndmask_b32 v10, 0, v9
	v_cmp_ngt_f32_e32 vcc_lo, 0, v8
	v_mul_f32_e32 v1, 0.5, v1
	s_delay_alu instid0(VALU_DEP_1) | instskip(NEXT) | instid1(VALU_DEP_4)
	v_mul_f32_e64 v9, |v8|, v1
	v_cndmask_b32_e64 v8, 0x7f800000, v10, s0
                                        ; implicit-def: $vgpr1
	s_and_saveexec_b32 s0, vcc_lo
	s_delay_alu instid0(SALU_CYCLE_1)
	s_xor_b32 s0, exec_lo, s0
; %bb.98:
	s_delay_alu instid0(VALU_DEP_1)
	v_mul_f32_e32 v1, v8, v9
                                        ; implicit-def: $vgpr8
                                        ; implicit-def: $vgpr9
; %bb.99:
	s_and_not1_saveexec_b32 s0, s0
; %bb.100:
	v_mul_f32_e64 v1, v9, -v8
; %bb.101:
	s_or_b32 exec_lo, exec_lo, s0
                                        ; implicit-def: $vgpr8
.LBB17_102:
	s_and_not1_saveexec_b32 s1, s1
	s_cbranch_execz .LBB17_108
; %bb.103:
	v_and_b32_e32 v1, 0x7fffffff, v8
	s_mov_b32 s0, 0x230aab6e
	s_delay_alu instid0(VALU_DEP_1) | instskip(SKIP_1) | instid1(VALU_DEP_2)
	v_div_scale_f32 v9, null, v1, v1, 0x42000000
	v_div_scale_f32 v1, vcc_lo, 0x42000000, v1, 0x42000000
	v_rcp_f32_e32 v10, v9
	v_nop
	s_delay_alu instid0(TRANS32_DEP_1) | instskip(NEXT) | instid1(VALU_DEP_1)
	v_fma_f32 v11, -v9, v10, 1.0
	v_fmac_f32_e32 v10, v11, v10
	s_delay_alu instid0(VALU_DEP_1) | instskip(NEXT) | instid1(VALU_DEP_1)
	v_mul_f32_e32 v11, v1, v10
	v_fma_f32 v12, -v9, v11, v1
	s_delay_alu instid0(VALU_DEP_1) | instskip(NEXT) | instid1(VALU_DEP_1)
	v_fmac_f32_e32 v11, v12, v10
	v_fma_f32 v1, -v9, v11, v1
	s_delay_alu instid0(VALU_DEP_1) | instskip(SKIP_2) | instid1(VALU_DEP_3)
	v_div_fmas_f32 v1, v1, v10, v11
	v_mul_f32_e64 v11, 0x3fb8aa3b, |v8|
	v_cmp_ngt_f32_e64 vcc_lo, 0xc2ce8ed0, |v8|
	v_div_fixup_f32 v1, v1, |v8|, 0x42000000
	s_delay_alu instid0(VALU_DEP_3) | instskip(SKIP_1) | instid1(VALU_DEP_2)
	v_rndne_f32_e32 v12, v11
	v_fma_f32 v13, 0x3fb8aa3b, |v8|, -v11
	v_dual_add_f32 v1, -2.0, v1 :: v_dual_sub_f32 v11, v11, v12
	s_delay_alu instid0(VALU_DEP_2) | instskip(SKIP_1) | instid1(VALU_DEP_3)
	v_fma_f32 v13, 0x32a5705f, |v8|, v13
	v_cvt_i32_f32_e32 v12, v12
	v_fmaak_f32 v9, s0, v1, 0x22a2dc57
	v_cmp_nlt_f32_e64 s0, 0x42b17218, |v8|
	s_delay_alu instid0(VALU_DEP_4) | instskip(NEXT) | instid1(VALU_DEP_3)
	v_add_f32_e32 v11, v11, v13
	v_fmaak_f32 v10, v1, v9, 0xa30aab6e
	s_delay_alu instid0(VALU_DEP_2) | instskip(NEXT) | instid1(VALU_DEP_1)
	v_exp_f32_e32 v11, v11
	v_add_f32_e32 v10, 0xa456751e, v10
	s_delay_alu instid0(TRANS32_DEP_1) | instskip(NEXT) | instid1(VALU_DEP_2)
	v_ldexp_f32 v11, v11, v12
	v_fma_f32 v9, v1, v10, -v9
	s_delay_alu instid0(VALU_DEP_1) | instskip(NEXT) | instid1(VALU_DEP_1)
	v_add_f32_e32 v9, 0xa4140365, v9
	v_fma_f32 v10, v1, v9, -v10
	s_delay_alu instid0(VALU_DEP_1) | instskip(NEXT) | instid1(VALU_DEP_1)
	v_add_f32_e32 v10, 0x25aac8b0, v10
	;; [unrolled: 3-line block ×21, first 2 shown]
	v_dual_fma_f32 v1, v1, v9, -v10 :: v_dual_cndmask_b32 v9, 0, v11, vcc_lo
	v_mul_f32_e64 v11, 0x4f800000, |v8|
	s_delay_alu instid0(VALU_DEP_2) | instskip(NEXT) | instid1(VALU_DEP_3)
	v_add_f32_e32 v1, 0x3f4750c6, v1
	v_cndmask_b32_e64 v9, 0x7f800000, v9, s0
	s_mov_b32 s0, exec_lo
	s_delay_alu instid0(VALU_DEP_2)
	v_sub_f32_e32 v10, v1, v10
                                        ; implicit-def: $vgpr1
	v_cmpx_ngt_f32_e32 0, v8
	s_xor_b32 s2, exec_lo, s0
	s_cbranch_execz .LBB17_105
; %bb.104:
	v_cmp_gt_f32_e64 vcc_lo, 0xf800000, |v8|
	v_mul_f32_e32 v10, 0.5, v10
	s_delay_alu instid0(VALU_DEP_2) | instskip(NEXT) | instid1(VALU_DEP_2)
	v_cndmask_b32_e64 v1, |v8|, v11, vcc_lo
	v_mul_f32_e32 v9, v9, v10
	s_delay_alu instid0(VALU_DEP_2) | instskip(SKIP_1) | instid1(TRANS32_DEP_1)
	v_sqrt_f32_e32 v8, v1
	v_nop
	v_dual_add_nc_u32 v11, -1, v8 :: v_dual_add_nc_u32 v12, 1, v8
	s_delay_alu instid0(VALU_DEP_1) | instskip(NEXT) | instid1(VALU_DEP_1)
	v_dual_fma_f32 v13, -v11, v8, v1 :: v_dual_fma_f32 v14, -v12, v8, v1
	v_cmp_ge_f32_e64 s0, 0, v13
	s_delay_alu instid0(VALU_DEP_1) | instskip(NEXT) | instid1(VALU_DEP_3)
	v_cndmask_b32_e64 v8, v8, v11, s0
	v_cmp_lt_f32_e64 s0, 0, v14
	s_delay_alu instid0(VALU_DEP_1) | instskip(NEXT) | instid1(VALU_DEP_1)
	v_cndmask_b32_e64 v8, v8, v12, s0
	v_mul_f32_e32 v11, 0x37800000, v8
	s_delay_alu instid0(VALU_DEP_1) | instskip(SKIP_1) | instid1(VALU_DEP_2)
	v_cndmask_b32_e32 v8, v8, v11, vcc_lo
	v_cmp_class_f32_e64 vcc_lo, v1, 0x260
	v_cndmask_b32_e32 v1, v8, v1, vcc_lo
	s_delay_alu instid0(VALU_DEP_1) | instskip(NEXT) | instid1(VALU_DEP_1)
	v_div_scale_f32 v8, null, v1, v1, v9
	v_rcp_f32_e32 v10, v8
	v_nop
	s_delay_alu instid0(TRANS32_DEP_1) | instskip(NEXT) | instid1(VALU_DEP_1)
	v_fma_f32 v11, -v8, v10, 1.0
	v_fmac_f32_e32 v10, v11, v10
	v_div_scale_f32 v11, vcc_lo, v9, v1, v9
	s_delay_alu instid0(VALU_DEP_1) | instskip(NEXT) | instid1(VALU_DEP_1)
	v_mul_f32_e32 v12, v11, v10
	v_fma_f32 v13, -v8, v12, v11
	s_delay_alu instid0(VALU_DEP_1) | instskip(NEXT) | instid1(VALU_DEP_1)
	v_fmac_f32_e32 v12, v13, v10
	v_fma_f32 v8, -v8, v12, v11
                                        ; implicit-def: $vgpr11
	s_delay_alu instid0(VALU_DEP_1) | instskip(NEXT) | instid1(VALU_DEP_1)
	v_div_fmas_f32 v8, v8, v10, v12
                                        ; implicit-def: $vgpr10
	v_div_fixup_f32 v1, v8, v1, v9
                                        ; implicit-def: $vgpr8
                                        ; implicit-def: $vgpr9
.LBB17_105:
	s_and_not1_saveexec_b32 s2, s2
	s_cbranch_execz .LBB17_107
; %bb.106:
	v_cmp_gt_f32_e64 vcc_lo, 0xf800000, |v8|
	v_mul_f32_e32 v10, -0.5, v10
	s_delay_alu instid0(VALU_DEP_2) | instskip(NEXT) | instid1(VALU_DEP_2)
	v_cndmask_b32_e64 v1, |v8|, v11, vcc_lo
	v_mul_f32_e32 v9, v9, v10
	s_delay_alu instid0(VALU_DEP_2) | instskip(SKIP_1) | instid1(TRANS32_DEP_1)
	v_sqrt_f32_e32 v8, v1
	v_nop
	v_dual_add_nc_u32 v11, -1, v8 :: v_dual_add_nc_u32 v12, 1, v8
	s_delay_alu instid0(VALU_DEP_1) | instskip(NEXT) | instid1(VALU_DEP_1)
	v_dual_fma_f32 v13, -v11, v8, v1 :: v_dual_fma_f32 v14, -v12, v8, v1
	v_cmp_ge_f32_e64 s0, 0, v13
	s_delay_alu instid0(VALU_DEP_1) | instskip(NEXT) | instid1(VALU_DEP_3)
	v_cndmask_b32_e64 v8, v8, v11, s0
	v_cmp_lt_f32_e64 s0, 0, v14
	s_delay_alu instid0(VALU_DEP_1) | instskip(NEXT) | instid1(VALU_DEP_1)
	v_cndmask_b32_e64 v8, v8, v12, s0
	v_mul_f32_e32 v11, 0x37800000, v8
	s_delay_alu instid0(VALU_DEP_1) | instskip(SKIP_1) | instid1(VALU_DEP_2)
	v_cndmask_b32_e32 v8, v8, v11, vcc_lo
	v_cmp_class_f32_e64 vcc_lo, v1, 0x260
	v_cndmask_b32_e32 v1, v8, v1, vcc_lo
	s_delay_alu instid0(VALU_DEP_1) | instskip(NEXT) | instid1(VALU_DEP_1)
	v_div_scale_f32 v8, null, v1, v1, v9
	v_rcp_f32_e32 v10, v8
	v_nop
	s_delay_alu instid0(TRANS32_DEP_1) | instskip(NEXT) | instid1(VALU_DEP_1)
	v_fma_f32 v11, -v8, v10, 1.0
	v_fmac_f32_e32 v10, v11, v10
	v_div_scale_f32 v11, vcc_lo, v9, v1, v9
	s_delay_alu instid0(VALU_DEP_1) | instskip(NEXT) | instid1(VALU_DEP_1)
	v_mul_f32_e32 v12, v11, v10
	v_fma_f32 v13, -v8, v12, v11
	s_delay_alu instid0(VALU_DEP_1) | instskip(NEXT) | instid1(VALU_DEP_1)
	v_fmac_f32_e32 v12, v13, v10
	v_fma_f32 v8, -v8, v12, v11
	s_delay_alu instid0(VALU_DEP_1) | instskip(NEXT) | instid1(VALU_DEP_1)
	v_div_fmas_f32 v8, v8, v10, v12
	v_div_fixup_f32 v1, v8, v1, v9
.LBB17_107:
	s_or_b32 exec_lo, exec_lo, s2
.LBB17_108:
	s_delay_alu instid0(SALU_CYCLE_1)
	s_or_b32 exec_lo, exec_lo, s1
	global_load_b32 v7, v7, s[6:7]
	s_mov_b32 s1, exec_lo
                                        ; implicit-def: $vgpr8
	s_wait_loadcnt 0x0
	v_cmpx_ge_f32_e64 0x41000000, |v7|
	s_xor_b32 s1, exec_lo, s1
	s_cbranch_execz .LBB17_114
; %bb.109:
	v_fma_f32 v8, |v7|, 0.5, -2.0
	s_mov_b32 s0, 0x224cf950
	v_mul_f32_e64 v11, 0x3fb8aa3b, |v7|
	v_cmp_ngt_f32_e64 vcc_lo, 0xc2ce8ed0, |v7|
	s_delay_alu instid0(VALU_DEP_3) | instskip(SKIP_1) | instid1(VALU_DEP_4)
	v_fmaak_f32 v9, s0, v8, 0xa3c2be86
	v_cmp_nlt_f32_e64 s0, 0x42b17218, |v7|
	v_rndne_f32_e32 v12, v11
	v_fma_f32 v13, 0x3fb8aa3b, |v7|, -v11
	s_delay_alu instid0(VALU_DEP_2) | instskip(NEXT) | instid1(VALU_DEP_2)
	v_dual_fmaak_f32 v10, v8, v9, 0xa24cf950 :: v_dual_sub_f32 v11, v11, v12
	v_fma_f32 v13, 0x32a5705f, |v7|, v13
	s_delay_alu instid0(VALU_DEP_1) | instskip(NEXT) | instid1(VALU_DEP_1)
	v_dual_add_f32 v10, 0x25331f1f, v10 :: v_dual_add_f32 v11, v11, v13
	v_fma_f32 v9, v8, v10, -v9
	s_delay_alu instid0(VALU_DEP_1) | instskip(NEXT) | instid1(VALU_DEP_1)
	v_add_f32_e32 v9, 0xa69f5554, v9
	v_fma_f32 v10, v8, v9, -v10
	s_delay_alu instid0(VALU_DEP_1) | instskip(NEXT) | instid1(VALU_DEP_1)
	v_add_f32_e32 v10, 0x2808ebf8, v10
	;; [unrolled: 3-line block ×25, first 2 shown]
	v_fma_f32 v8, v8, v9, -v10
	v_exp_f32_e32 v9, v11
	v_nop
	v_cvt_i32_f32_e32 v11, v12
	s_delay_alu instid0(VALU_DEP_3)
	v_add_f32_e32 v8, 0x3e81531c, v8
	s_delay_alu instid0(TRANS32_DEP_1) | instid1(VALU_DEP_2)
	v_ldexp_f32 v9, v9, v11
	s_delay_alu instid0(VALU_DEP_1) | instskip(SKIP_1) | instid1(VALU_DEP_2)
	v_dual_sub_f32 v8, v8, v10 :: v_dual_cndmask_b32 v10, 0, v9, vcc_lo
	v_cmp_ngt_f32_e32 vcc_lo, 0, v7
	v_mul_f32_e32 v8, 0.5, v8
	s_delay_alu instid0(VALU_DEP_1) | instskip(NEXT) | instid1(VALU_DEP_4)
	v_mul_f32_e64 v9, |v7|, v8
	v_cndmask_b32_e64 v7, 0x7f800000, v10, s0
                                        ; implicit-def: $vgpr8
	s_and_saveexec_b32 s0, vcc_lo
	s_delay_alu instid0(SALU_CYCLE_1)
	s_xor_b32 s0, exec_lo, s0
; %bb.110:
	s_delay_alu instid0(VALU_DEP_1)
	v_mul_f32_e32 v8, v7, v9
                                        ; implicit-def: $vgpr7
                                        ; implicit-def: $vgpr9
; %bb.111:
	s_and_not1_saveexec_b32 s0, s0
; %bb.112:
	v_mul_f32_e64 v8, v9, -v7
; %bb.113:
	s_or_b32 exec_lo, exec_lo, s0
                                        ; implicit-def: $vgpr7
.LBB17_114:
	s_and_not1_saveexec_b32 s1, s1
	s_cbranch_execz .LBB17_120
; %bb.115:
	v_and_b32_e32 v8, 0x7fffffff, v7
	s_mov_b32 s0, 0x230aab6e
	s_delay_alu instid0(VALU_DEP_1) | instskip(SKIP_1) | instid1(VALU_DEP_2)
	v_div_scale_f32 v9, null, v8, v8, 0x42000000
	v_div_scale_f32 v8, vcc_lo, 0x42000000, v8, 0x42000000
	v_rcp_f32_e32 v10, v9
	v_nop
	s_delay_alu instid0(TRANS32_DEP_1) | instskip(NEXT) | instid1(VALU_DEP_1)
	v_fma_f32 v11, -v9, v10, 1.0
	v_fmac_f32_e32 v10, v11, v10
	s_delay_alu instid0(VALU_DEP_1) | instskip(NEXT) | instid1(VALU_DEP_1)
	v_mul_f32_e32 v11, v8, v10
	v_fma_f32 v12, -v9, v11, v8
	s_delay_alu instid0(VALU_DEP_1) | instskip(NEXT) | instid1(VALU_DEP_1)
	v_fmac_f32_e32 v11, v12, v10
	v_fma_f32 v8, -v9, v11, v8
	s_delay_alu instid0(VALU_DEP_1) | instskip(SKIP_2) | instid1(VALU_DEP_3)
	v_div_fmas_f32 v8, v8, v10, v11
	v_mul_f32_e64 v11, 0x3fb8aa3b, |v7|
	v_cmp_ngt_f32_e64 vcc_lo, 0xc2ce8ed0, |v7|
	v_div_fixup_f32 v8, v8, |v7|, 0x42000000
	s_delay_alu instid0(VALU_DEP_3) | instskip(SKIP_1) | instid1(VALU_DEP_3)
	v_rndne_f32_e32 v12, v11
	v_fma_f32 v13, 0x3fb8aa3b, |v7|, -v11
	v_add_f32_e32 v8, -2.0, v8
	s_delay_alu instid0(VALU_DEP_3) | instskip(NEXT) | instid1(VALU_DEP_3)
	v_sub_f32_e32 v11, v11, v12
	v_fma_f32 v13, 0x32a5705f, |v7|, v13
	v_cvt_i32_f32_e32 v12, v12
	s_delay_alu instid0(VALU_DEP_4) | instskip(SKIP_1) | instid1(VALU_DEP_4)
	v_fmaak_f32 v9, s0, v8, 0x22a2dc57
	v_cmp_nlt_f32_e64 s0, 0x42b17218, |v7|
	v_add_f32_e32 v11, v11, v13
	s_delay_alu instid0(VALU_DEP_1) | instskip(SKIP_1) | instid1(TRANS32_DEP_1)
	v_exp_f32_e32 v11, v11
	v_nop
	v_ldexp_f32 v11, v11, v12
	v_fmaak_f32 v10, v8, v9, 0xa30aab6e
	s_delay_alu instid0(VALU_DEP_1) | instskip(NEXT) | instid1(VALU_DEP_1)
	v_add_f32_e32 v10, 0xa456751e, v10
	v_fma_f32 v9, v8, v10, -v9
	s_delay_alu instid0(VALU_DEP_1) | instskip(NEXT) | instid1(VALU_DEP_1)
	v_add_f32_e32 v9, 0xa4140365, v9
	v_fma_f32 v10, v8, v9, -v10
	;; [unrolled: 3-line block ×21, first 2 shown]
	s_delay_alu instid0(VALU_DEP_1) | instskip(NEXT) | instid1(VALU_DEP_1)
	v_add_f32_e32 v9, 0xbc1fed03, v9
	v_dual_fma_f32 v8, v8, v9, -v10 :: v_dual_cndmask_b32 v9, 0, v11, vcc_lo
	v_mul_f32_e64 v11, 0x4f800000, |v7|
	s_delay_alu instid0(VALU_DEP_2) | instskip(NEXT) | instid1(VALU_DEP_3)
	v_add_f32_e32 v8, 0x3f4750c6, v8
	v_cndmask_b32_e64 v9, 0x7f800000, v9, s0
	s_mov_b32 s0, exec_lo
	s_delay_alu instid0(VALU_DEP_2)
	v_sub_f32_e32 v10, v8, v10
                                        ; implicit-def: $vgpr8
	v_cmpx_ngt_f32_e32 0, v7
	s_xor_b32 s2, exec_lo, s0
	s_cbranch_execz .LBB17_117
; %bb.116:
	v_cmp_gt_f32_e64 vcc_lo, 0xf800000, |v7|
	v_mul_f32_e32 v10, 0.5, v10
	s_delay_alu instid0(VALU_DEP_2) | instskip(NEXT) | instid1(VALU_DEP_2)
	v_cndmask_b32_e64 v7, |v7|, v11, vcc_lo
	v_mul_f32_e32 v9, v9, v10
	s_delay_alu instid0(VALU_DEP_2) | instskip(SKIP_1) | instid1(TRANS32_DEP_1)
	v_sqrt_f32_e32 v8, v7
	v_nop
	v_dual_add_nc_u32 v11, -1, v8 :: v_dual_add_nc_u32 v12, 1, v8
	s_delay_alu instid0(VALU_DEP_1) | instskip(NEXT) | instid1(VALU_DEP_1)
	v_dual_fma_f32 v13, -v11, v8, v7 :: v_dual_fma_f32 v14, -v12, v8, v7
	v_cmp_ge_f32_e64 s0, 0, v13
	s_delay_alu instid0(VALU_DEP_1) | instskip(NEXT) | instid1(VALU_DEP_3)
	v_cndmask_b32_e64 v8, v8, v11, s0
	v_cmp_lt_f32_e64 s0, 0, v14
	s_delay_alu instid0(VALU_DEP_1) | instskip(NEXT) | instid1(VALU_DEP_1)
	v_cndmask_b32_e64 v8, v8, v12, s0
	v_mul_f32_e32 v11, 0x37800000, v8
	s_delay_alu instid0(VALU_DEP_1) | instskip(SKIP_1) | instid1(VALU_DEP_2)
	v_cndmask_b32_e32 v8, v8, v11, vcc_lo
	v_cmp_class_f32_e64 vcc_lo, v7, 0x260
	v_cndmask_b32_e32 v7, v8, v7, vcc_lo
	s_delay_alu instid0(VALU_DEP_1) | instskip(NEXT) | instid1(VALU_DEP_1)
	v_div_scale_f32 v8, null, v7, v7, v9
	v_rcp_f32_e32 v10, v8
	v_nop
	s_delay_alu instid0(TRANS32_DEP_1) | instskip(NEXT) | instid1(VALU_DEP_1)
	v_fma_f32 v11, -v8, v10, 1.0
	v_fmac_f32_e32 v10, v11, v10
	v_div_scale_f32 v11, vcc_lo, v9, v7, v9
	s_delay_alu instid0(VALU_DEP_1) | instskip(NEXT) | instid1(VALU_DEP_1)
	v_mul_f32_e32 v12, v11, v10
	v_fma_f32 v13, -v8, v12, v11
	s_delay_alu instid0(VALU_DEP_1) | instskip(NEXT) | instid1(VALU_DEP_1)
	v_fmac_f32_e32 v12, v13, v10
	v_fma_f32 v8, -v8, v12, v11
                                        ; implicit-def: $vgpr11
	s_delay_alu instid0(VALU_DEP_1) | instskip(NEXT) | instid1(VALU_DEP_1)
	v_div_fmas_f32 v8, v8, v10, v12
                                        ; implicit-def: $vgpr10
	v_div_fixup_f32 v8, v8, v7, v9
                                        ; implicit-def: $vgpr7
                                        ; implicit-def: $vgpr9
.LBB17_117:
	s_and_not1_saveexec_b32 s2, s2
	s_cbranch_execz .LBB17_119
; %bb.118:
	v_cmp_gt_f32_e64 vcc_lo, 0xf800000, |v7|
	v_mul_f32_e32 v10, -0.5, v10
	s_delay_alu instid0(VALU_DEP_2) | instskip(NEXT) | instid1(VALU_DEP_2)
	v_cndmask_b32_e64 v7, |v7|, v11, vcc_lo
	v_mul_f32_e32 v9, v9, v10
	s_delay_alu instid0(VALU_DEP_2) | instskip(SKIP_1) | instid1(TRANS32_DEP_1)
	v_sqrt_f32_e32 v8, v7
	v_nop
	v_dual_add_nc_u32 v11, -1, v8 :: v_dual_add_nc_u32 v12, 1, v8
	s_delay_alu instid0(VALU_DEP_1) | instskip(NEXT) | instid1(VALU_DEP_1)
	v_dual_fma_f32 v13, -v11, v8, v7 :: v_dual_fma_f32 v14, -v12, v8, v7
	v_cmp_ge_f32_e64 s0, 0, v13
	s_delay_alu instid0(VALU_DEP_1) | instskip(NEXT) | instid1(VALU_DEP_3)
	v_cndmask_b32_e64 v8, v8, v11, s0
	v_cmp_lt_f32_e64 s0, 0, v14
	s_delay_alu instid0(VALU_DEP_1) | instskip(NEXT) | instid1(VALU_DEP_1)
	v_cndmask_b32_e64 v8, v8, v12, s0
	v_mul_f32_e32 v11, 0x37800000, v8
	s_delay_alu instid0(VALU_DEP_1) | instskip(SKIP_1) | instid1(VALU_DEP_2)
	v_cndmask_b32_e32 v8, v8, v11, vcc_lo
	v_cmp_class_f32_e64 vcc_lo, v7, 0x260
	v_cndmask_b32_e32 v7, v8, v7, vcc_lo
	s_delay_alu instid0(VALU_DEP_1) | instskip(NEXT) | instid1(VALU_DEP_1)
	v_div_scale_f32 v8, null, v7, v7, v9
	v_rcp_f32_e32 v10, v8
	v_nop
	s_delay_alu instid0(TRANS32_DEP_1) | instskip(NEXT) | instid1(VALU_DEP_1)
	v_fma_f32 v11, -v8, v10, 1.0
	v_fmac_f32_e32 v10, v11, v10
	v_div_scale_f32 v11, vcc_lo, v9, v7, v9
	s_delay_alu instid0(VALU_DEP_1) | instskip(NEXT) | instid1(VALU_DEP_1)
	v_mul_f32_e32 v12, v11, v10
	v_fma_f32 v13, -v8, v12, v11
	s_delay_alu instid0(VALU_DEP_1) | instskip(NEXT) | instid1(VALU_DEP_1)
	v_fmac_f32_e32 v12, v13, v10
	v_fma_f32 v8, -v8, v12, v11
	s_delay_alu instid0(VALU_DEP_1) | instskip(NEXT) | instid1(VALU_DEP_1)
	v_div_fmas_f32 v8, v8, v10, v12
	v_div_fixup_f32 v8, v8, v7, v9
.LBB17_119:
	s_or_b32 exec_lo, exec_lo, s2
.LBB17_120:
	s_delay_alu instid0(SALU_CYCLE_1)
	s_or_b32 exec_lo, exec_lo, s1
	s_clause 0x3
	global_store_b32 v2, v3, s[4:5]
	global_store_b32 v4, v5, s[4:5]
	;; [unrolled: 1-line block ×4, first 2 shown]
	s_endpgm
.LBB17_121:
	v_dual_mov_b32 v3, 0 :: v_dual_mov_b32 v2, 0
	s_branch .LBB17_127
.LBB17_122:
	v_dual_mov_b32 v3, 0 :: v_dual_mov_b32 v2, 0
	s_branch .LBB17_155
.LBB17_123:
	v_mov_b64_e32 v[2:3], 0
	v_mov_b32_e32 v1, v0
	s_mov_b32 s22, 0
.LBB17_124:
	s_and_b32 s0, s0, 3
	s_mov_b32 s23, 0
	s_cmp_eq_u32 s0, 0
	s_cbranch_scc1 .LBB17_127
; %bb.125:
	s_lshl_b32 s24, s22, 3
	s_mov_b32 s25, s23
	s_mul_u64 s[26:27], s[22:23], 12
	s_add_nc_u64 s[24:25], s[2:3], s[24:25]
	s_delay_alu instid0(SALU_CYCLE_1)
	s_add_nc_u64 s[22:23], s[24:25], 0xc4
	s_add_nc_u64 s[24:25], s[2:3], s[26:27]
.LBB17_126:                             ; =>This Inner Loop Header: Depth=1
	s_load_b96 s[40:42], s[24:25], 0x4
	s_load_b64 s[26:27], s[22:23], 0x0
	s_add_co_i32 s0, s0, -1
	s_wait_xcnt 0x0
	s_add_nc_u64 s[24:25], s[24:25], 12
	s_cmp_lg_u32 s0, 0
	s_add_nc_u64 s[22:23], s[22:23], 8
	s_wait_kmcnt 0x0
	v_mul_hi_u32 v4, s41, v1
	s_delay_alu instid0(VALU_DEP_1) | instskip(NEXT) | instid1(VALU_DEP_1)
	v_add_nc_u32_e32 v4, v1, v4
	v_lshrrev_b32_e32 v4, s42, v4
	s_delay_alu instid0(VALU_DEP_1) | instskip(NEXT) | instid1(VALU_DEP_1)
	v_mul_lo_u32 v5, v4, s40
	v_sub_nc_u32_e32 v1, v1, v5
	s_delay_alu instid0(VALU_DEP_1)
	v_mad_u32 v3, v1, s27, v3
	v_mad_u32 v2, v1, s26, v2
	v_mov_b32_e32 v1, v4
	s_cbranch_scc1 .LBB17_126
.LBB17_127:
	s_cbranch_execnz .LBB17_130
.LBB17_128:
	v_mov_b32_e32 v1, 0
	s_and_not1_b32 vcc_lo, exec_lo, s33
	s_delay_alu instid0(VALU_DEP_1) | instskip(NEXT) | instid1(VALU_DEP_1)
	v_mul_u64_e32 v[2:3], s[16:17], v[0:1]
	v_add_nc_u32_e32 v2, v0, v3
	s_delay_alu instid0(VALU_DEP_1) | instskip(NEXT) | instid1(VALU_DEP_1)
	v_lshrrev_b32_e32 v4, s10, v2
	v_mul_lo_u32 v2, v4, s8
	s_delay_alu instid0(VALU_DEP_1) | instskip(NEXT) | instid1(VALU_DEP_1)
	v_sub_nc_u32_e32 v2, v0, v2
	v_mul_lo_u32 v3, v2, s13
	v_mul_lo_u32 v2, v2, s12
	s_cbranch_vccnz .LBB17_130
; %bb.129:
	v_mov_b32_e32 v5, v1
	s_delay_alu instid0(VALU_DEP_1) | instskip(NEXT) | instid1(VALU_DEP_1)
	v_mul_u64_e32 v[6:7], s[18:19], v[4:5]
	v_add_nc_u32_e32 v1, v4, v7
	s_delay_alu instid0(VALU_DEP_1) | instskip(NEXT) | instid1(VALU_DEP_1)
	v_lshrrev_b32_e32 v1, s1, v1
	v_mul_lo_u32 v1, v1, s11
	s_delay_alu instid0(VALU_DEP_1) | instskip(NEXT) | instid1(VALU_DEP_1)
	v_sub_nc_u32_e32 v1, v4, v1
	v_mad_u32 v2, v1, s14, v2
	v_mad_u32 v3, v1, s15, v3
.LBB17_130:
	global_load_b32 v1, v3, s[6:7]
	s_mov_b32 s22, exec_lo
                                        ; implicit-def: $vgpr4
	s_wait_loadcnt 0x0
	v_mul_f32_e64 v3, 0x3fb8aa3b, |v1|
	v_cmpx_ge_f32_e64 0x41000000, |v1|
	s_xor_b32 s22, exec_lo, s22
	s_cbranch_execz .LBB17_136
; %bb.131:
	v_fma_f32 v4, |v1|, 0.5, -2.0
	s_mov_b32 s0, 0x224cf950
	v_rndne_f32_e32 v7, v3
	v_fma_f32 v8, 0x3fb8aa3b, |v1|, -v3
	v_cmp_ngt_f32_e64 vcc_lo, 0xc2ce8ed0, |v1|
	v_fmaak_f32 v5, s0, v4, 0xa3c2be86
	v_cmp_nlt_f32_e64 s0, 0x42b17218, |v1|
	v_sub_f32_e32 v3, v3, v7
	v_fma_f32 v8, 0x32a5705f, |v1|, v8
	s_delay_alu instid0(VALU_DEP_1) | instskip(NEXT) | instid1(VALU_DEP_1)
	v_dual_fmaak_f32 v6, v4, v5, 0xa24cf950 :: v_dual_add_f32 v3, v3, v8
	v_add_f32_e32 v6, 0x25331f1f, v6
	s_delay_alu instid0(VALU_DEP_2) | instskip(NEXT) | instid1(VALU_DEP_1)
	v_exp_f32_e32 v3, v3
	v_fma_f32 v5, v4, v6, -v5
	s_delay_alu instid0(VALU_DEP_1) | instskip(NEXT) | instid1(VALU_DEP_1)
	v_add_f32_e32 v5, 0xa69f5554, v5
	v_fma_f32 v6, v4, v5, -v6
	s_delay_alu instid0(VALU_DEP_1) | instskip(NEXT) | instid1(VALU_DEP_1)
	v_add_f32_e32 v6, 0x2808ebf8, v6
	;; [unrolled: 3-line block ×25, first 2 shown]
	v_fma_f32 v4, v4, v5, -v6
	v_cvt_i32_f32_e32 v5, v7
	s_delay_alu instid0(VALU_DEP_2) | instskip(NEXT) | instid1(VALU_DEP_2)
	v_add_f32_e32 v4, 0x3e81531c, v4
	v_ldexp_f32 v3, v3, v5
	s_delay_alu instid0(VALU_DEP_1) | instskip(SKIP_1) | instid1(VALU_DEP_2)
	v_dual_sub_f32 v4, v4, v6 :: v_dual_cndmask_b32 v5, 0, v3
	v_cmp_ngt_f32_e32 vcc_lo, 0, v1
	v_mul_f32_e32 v4, 0.5, v4
	s_delay_alu instid0(VALU_DEP_1) | instskip(NEXT) | instid1(VALU_DEP_4)
	v_mul_f32_e64 v3, |v1|, v4
	v_cndmask_b32_e64 v1, 0x7f800000, v5, s0
                                        ; implicit-def: $vgpr4
	s_and_saveexec_b32 s0, vcc_lo
	s_delay_alu instid0(SALU_CYCLE_1)
	s_xor_b32 s0, exec_lo, s0
; %bb.132:
	s_delay_alu instid0(VALU_DEP_1)
	v_mul_f32_e32 v4, v1, v3
                                        ; implicit-def: $vgpr1
                                        ; implicit-def: $vgpr3
; %bb.133:
	s_and_not1_saveexec_b32 s0, s0
; %bb.134:
	v_mul_f32_e64 v4, v3, -v1
; %bb.135:
	s_or_b32 exec_lo, exec_lo, s0
                                        ; implicit-def: $vgpr1
                                        ; implicit-def: $vgpr3
.LBB17_136:
	s_and_not1_saveexec_b32 s22, s22
	s_cbranch_execz .LBB17_142
; %bb.137:
	v_and_b32_e32 v4, 0x7fffffff, v1
	s_mov_b32 s0, 0x230aab6e
	s_delay_alu instid0(VALU_DEP_1) | instskip(SKIP_1) | instid1(VALU_DEP_2)
	v_div_scale_f32 v5, null, v4, v4, 0x42000000
	v_div_scale_f32 v4, vcc_lo, 0x42000000, v4, 0x42000000
	v_rcp_f32_e32 v6, v5
	v_nop
	s_delay_alu instid0(TRANS32_DEP_1) | instskip(NEXT) | instid1(VALU_DEP_1)
	v_fma_f32 v7, -v5, v6, 1.0
	v_fmac_f32_e32 v6, v7, v6
	s_delay_alu instid0(VALU_DEP_1) | instskip(NEXT) | instid1(VALU_DEP_1)
	v_mul_f32_e32 v7, v4, v6
	v_fma_f32 v8, -v5, v7, v4
	s_delay_alu instid0(VALU_DEP_1) | instskip(SKIP_1) | instid1(VALU_DEP_2)
	v_fmac_f32_e32 v7, v8, v6
	v_fma_f32 v8, 0x3fb8aa3b, |v1|, -v3
	v_fma_f32 v4, -v5, v7, v4
	s_delay_alu instid0(VALU_DEP_2) | instskip(NEXT) | instid1(VALU_DEP_2)
	v_fma_f32 v8, 0x32a5705f, |v1|, v8
	v_div_fmas_f32 v4, v4, v6, v7
	v_rndne_f32_e32 v7, v3
	v_cmp_ngt_f32_e64 vcc_lo, 0xc2ce8ed0, |v1|
	s_delay_alu instid0(VALU_DEP_3) | instskip(NEXT) | instid1(VALU_DEP_3)
	v_div_fixup_f32 v4, v4, |v1|, 0x42000000
	v_sub_f32_e32 v3, v3, v7
	v_cvt_i32_f32_e32 v7, v7
	s_delay_alu instid0(VALU_DEP_3) | instskip(NEXT) | instid1(VALU_DEP_3)
	v_add_f32_e32 v4, -2.0, v4
	v_add_f32_e32 v3, v3, v8
	s_delay_alu instid0(VALU_DEP_2) | instskip(SKIP_1) | instid1(VALU_DEP_3)
	v_fmaak_f32 v5, s0, v4, 0x22a2dc57
	v_cmp_nlt_f32_e64 s0, 0x42b17218, |v1|
	v_exp_f32_e32 v3, v3
	s_delay_alu instid0(VALU_DEP_2) | instskip(NEXT) | instid1(TRANS32_DEP_1)
	v_fmaak_f32 v6, v4, v5, 0xa30aab6e
	v_ldexp_f32 v3, v3, v7
	s_delay_alu instid0(VALU_DEP_1) | instskip(NEXT) | instid1(VALU_DEP_1)
	v_dual_add_f32 v6, 0xa456751e, v6 :: v_dual_cndmask_b32 v3, 0, v3
	v_fma_f32 v5, v4, v6, -v5
	s_delay_alu instid0(VALU_DEP_2) | instskip(NEXT) | instid1(VALU_DEP_2)
	v_cndmask_b32_e64 v3, 0x7f800000, v3, s0
	v_add_f32_e32 v5, 0xa4140365, v5
	s_mov_b32 s0, exec_lo
	s_delay_alu instid0(VALU_DEP_1) | instskip(NEXT) | instid1(VALU_DEP_1)
	v_fma_f32 v6, v4, v5, -v6
	v_add_f32_e32 v6, 0x25aac8b0, v6
	s_delay_alu instid0(VALU_DEP_1) | instskip(NEXT) | instid1(VALU_DEP_1)
	v_fma_f32 v5, v4, v6, -v5
	v_add_f32_e32 v5, 0x25beb473, v5
	;; [unrolled: 3-line block ×21, first 2 shown]
	s_delay_alu instid0(VALU_DEP_1)
	v_sub_f32_e32 v5, v4, v6
                                        ; implicit-def: $vgpr4
	v_cmpx_ngt_f32_e32 0, v1
	s_xor_b32 s23, exec_lo, s0
	s_cbranch_execz .LBB17_139
; %bb.138:
	v_mul_f32_e64 v4, 0x4f800000, |v1|
	v_cmp_gt_f32_e64 vcc_lo, 0xf800000, |v1|
	v_mul_f32_e32 v5, 0.5, v5
	s_delay_alu instid0(VALU_DEP_2) | instskip(NEXT) | instid1(VALU_DEP_2)
	v_cndmask_b32_e64 v1, |v1|, v4, vcc_lo
	v_mul_f32_e32 v3, v3, v5
	s_delay_alu instid0(VALU_DEP_2) | instskip(SKIP_1) | instid1(TRANS32_DEP_1)
	v_sqrt_f32_e32 v4, v1
	v_nop
	v_dual_add_nc_u32 v6, -1, v4 :: v_dual_add_nc_u32 v7, 1, v4
	s_delay_alu instid0(VALU_DEP_1) | instskip(NEXT) | instid1(VALU_DEP_1)
	v_dual_fma_f32 v8, -v6, v4, v1 :: v_dual_fma_f32 v9, -v7, v4, v1
	v_cmp_ge_f32_e64 s0, 0, v8
	s_delay_alu instid0(VALU_DEP_1) | instskip(NEXT) | instid1(VALU_DEP_3)
	v_cndmask_b32_e64 v4, v4, v6, s0
	v_cmp_lt_f32_e64 s0, 0, v9
	s_delay_alu instid0(VALU_DEP_1) | instskip(NEXT) | instid1(VALU_DEP_1)
	v_cndmask_b32_e64 v4, v4, v7, s0
	v_mul_f32_e32 v6, 0x37800000, v4
	s_delay_alu instid0(VALU_DEP_1) | instskip(SKIP_1) | instid1(VALU_DEP_2)
	v_cndmask_b32_e32 v4, v4, v6, vcc_lo
	v_cmp_class_f32_e64 vcc_lo, v1, 0x260
	v_cndmask_b32_e32 v1, v4, v1, vcc_lo
	s_delay_alu instid0(VALU_DEP_1) | instskip(NEXT) | instid1(VALU_DEP_1)
	v_div_scale_f32 v4, null, v1, v1, v3
	v_rcp_f32_e32 v5, v4
	v_nop
	s_delay_alu instid0(TRANS32_DEP_1) | instskip(NEXT) | instid1(VALU_DEP_1)
	v_fma_f32 v6, -v4, v5, 1.0
	v_fmac_f32_e32 v5, v6, v5
	v_div_scale_f32 v6, vcc_lo, v3, v1, v3
	s_delay_alu instid0(VALU_DEP_1) | instskip(NEXT) | instid1(VALU_DEP_1)
	v_mul_f32_e32 v7, v6, v5
	v_fma_f32 v8, -v4, v7, v6
	s_delay_alu instid0(VALU_DEP_1) | instskip(NEXT) | instid1(VALU_DEP_1)
	v_fmac_f32_e32 v7, v8, v5
	v_fma_f32 v4, -v4, v7, v6
	s_delay_alu instid0(VALU_DEP_1) | instskip(NEXT) | instid1(VALU_DEP_1)
	v_div_fmas_f32 v4, v4, v5, v7
                                        ; implicit-def: $vgpr5
	v_div_fixup_f32 v4, v4, v1, v3
                                        ; implicit-def: $vgpr1
                                        ; implicit-def: $vgpr3
.LBB17_139:
	s_and_not1_saveexec_b32 s23, s23
	s_cbranch_execz .LBB17_141
; %bb.140:
	v_mul_f32_e64 v4, 0x4f800000, |v1|
	v_cmp_gt_f32_e64 vcc_lo, 0xf800000, |v1|
	v_mul_f32_e32 v5, -0.5, v5
	s_delay_alu instid0(VALU_DEP_2) | instskip(NEXT) | instid1(VALU_DEP_2)
	v_cndmask_b32_e64 v1, |v1|, v4, vcc_lo
	v_mul_f32_e32 v3, v3, v5
	s_delay_alu instid0(VALU_DEP_2) | instskip(SKIP_1) | instid1(TRANS32_DEP_1)
	v_sqrt_f32_e32 v4, v1
	v_nop
	v_dual_add_nc_u32 v6, -1, v4 :: v_dual_add_nc_u32 v7, 1, v4
	s_delay_alu instid0(VALU_DEP_1) | instskip(NEXT) | instid1(VALU_DEP_1)
	v_dual_fma_f32 v8, -v6, v4, v1 :: v_dual_fma_f32 v9, -v7, v4, v1
	v_cmp_ge_f32_e64 s0, 0, v8
	s_delay_alu instid0(VALU_DEP_1) | instskip(NEXT) | instid1(VALU_DEP_3)
	v_cndmask_b32_e64 v4, v4, v6, s0
	v_cmp_lt_f32_e64 s0, 0, v9
	s_delay_alu instid0(VALU_DEP_1) | instskip(NEXT) | instid1(VALU_DEP_1)
	v_cndmask_b32_e64 v4, v4, v7, s0
	v_mul_f32_e32 v6, 0x37800000, v4
	s_delay_alu instid0(VALU_DEP_1) | instskip(SKIP_1) | instid1(VALU_DEP_2)
	v_cndmask_b32_e32 v4, v4, v6, vcc_lo
	v_cmp_class_f32_e64 vcc_lo, v1, 0x260
	v_cndmask_b32_e32 v1, v4, v1, vcc_lo
	s_delay_alu instid0(VALU_DEP_1) | instskip(NEXT) | instid1(VALU_DEP_1)
	v_div_scale_f32 v4, null, v1, v1, v3
	v_rcp_f32_e32 v5, v4
	v_nop
	s_delay_alu instid0(TRANS32_DEP_1) | instskip(NEXT) | instid1(VALU_DEP_1)
	v_fma_f32 v6, -v4, v5, 1.0
	v_fmac_f32_e32 v5, v6, v5
	v_div_scale_f32 v6, vcc_lo, v3, v1, v3
	s_delay_alu instid0(VALU_DEP_1) | instskip(NEXT) | instid1(VALU_DEP_1)
	v_mul_f32_e32 v7, v6, v5
	v_fma_f32 v8, -v4, v7, v6
	s_delay_alu instid0(VALU_DEP_1) | instskip(NEXT) | instid1(VALU_DEP_1)
	v_fmac_f32_e32 v7, v8, v5
	v_fma_f32 v4, -v4, v7, v6
	s_delay_alu instid0(VALU_DEP_1) | instskip(NEXT) | instid1(VALU_DEP_1)
	v_div_fmas_f32 v4, v4, v5, v7
	v_div_fixup_f32 v4, v4, v1, v3
.LBB17_141:
	s_or_b32 exec_lo, exec_lo, s23
.LBB17_142:
	s_delay_alu instid0(SALU_CYCLE_1) | instskip(SKIP_4) | instid1(SALU_CYCLE_1)
	s_or_b32 exec_lo, exec_lo, s22
	v_add_nc_u32_e32 v0, 0x80, v0
	global_store_b32 v2, v4, s[4:5]
	s_wait_xcnt 0x0
	s_or_b32 exec_lo, exec_lo, s9
	s_mov_b32 s9, exec_lo
	v_cmpx_gt_i32_e64 s34, v0
	s_cbranch_execnz .LBB17_15
.LBB17_143:
	s_or_b32 exec_lo, exec_lo, s9
	s_delay_alu instid0(SALU_CYCLE_1)
	s_mov_b32 s9, exec_lo
	v_cmpx_gt_i32_e64 s34, v0
	s_cbranch_execz .LBB17_171
.LBB17_144:
	s_and_not1_b32 vcc_lo, exec_lo, s30
	s_cbranch_vccnz .LBB17_149
; %bb.145:
	s_and_not1_b32 vcc_lo, exec_lo, s36
	s_cbranch_vccnz .LBB17_150
; %bb.146:
	s_add_co_i32 s0, s35, 1
	s_cmp_eq_u32 s29, 2
	s_cbranch_scc1 .LBB17_174
; %bb.147:
	v_dual_mov_b32 v2, 0 :: v_dual_mov_b32 v3, 0
	v_mov_b32_e32 v1, v0
	s_and_b32 s22, s0, 28
	s_mov_b32 s23, 0
	s_mov_b64 s[24:25], s[2:3]
	s_mov_b64 s[26:27], s[20:21]
.LBB17_148:                             ; =>This Inner Loop Header: Depth=1
	s_clause 0x1
	s_load_b256 s[40:47], s[24:25], 0x4
	s_load_b128 s[56:59], s[24:25], 0x24
	s_load_b256 s[48:55], s[26:27], 0x0
	s_add_co_i32 s23, s23, 4
	s_wait_xcnt 0x0
	s_add_nc_u64 s[24:25], s[24:25], 48
	s_cmp_eq_u32 s22, s23
	s_add_nc_u64 s[26:27], s[26:27], 32
	s_wait_kmcnt 0x0
	v_mul_hi_u32 v4, s41, v1
	s_delay_alu instid0(VALU_DEP_1) | instskip(NEXT) | instid1(VALU_DEP_1)
	v_add_nc_u32_e32 v4, v1, v4
	v_lshrrev_b32_e32 v4, s42, v4
	s_delay_alu instid0(VALU_DEP_1) | instskip(NEXT) | instid1(VALU_DEP_1)
	v_mul_hi_u32 v5, s44, v4
	v_add_nc_u32_e32 v5, v4, v5
	s_delay_alu instid0(VALU_DEP_1) | instskip(NEXT) | instid1(VALU_DEP_1)
	v_lshrrev_b32_e32 v5, s45, v5
	v_mul_hi_u32 v6, s47, v5
	s_delay_alu instid0(VALU_DEP_1) | instskip(SKIP_1) | instid1(VALU_DEP_1)
	v_add_nc_u32_e32 v6, v5, v6
	v_mul_lo_u32 v7, v4, s40
	v_sub_nc_u32_e32 v1, v1, v7
	v_mul_lo_u32 v7, v5, s43
	s_delay_alu instid0(VALU_DEP_4) | instskip(NEXT) | instid1(VALU_DEP_3)
	v_lshrrev_b32_e32 v6, s56, v6
	v_mad_u32 v3, v1, s49, v3
	v_mad_u32 v1, v1, s48, v2
	s_delay_alu instid0(VALU_DEP_4) | instskip(NEXT) | instid1(VALU_DEP_4)
	v_sub_nc_u32_e32 v2, v4, v7
	v_mul_hi_u32 v8, s58, v6
	v_mul_lo_u32 v4, v6, s46
	s_delay_alu instid0(VALU_DEP_3) | instskip(SKIP_1) | instid1(VALU_DEP_4)
	v_mad_u32 v3, v2, s51, v3
	v_mad_u32 v2, v2, s50, v1
	v_add_nc_u32_e32 v7, v6, v8
	s_delay_alu instid0(VALU_DEP_1) | instskip(NEXT) | instid1(VALU_DEP_1)
	v_dual_sub_nc_u32 v4, v5, v4 :: v_dual_lshrrev_b32 v1, s59, v7
	v_mad_u32 v3, v4, s53, v3
	s_delay_alu instid0(VALU_DEP_4) | instskip(NEXT) | instid1(VALU_DEP_3)
	v_mad_u32 v2, v4, s52, v2
	v_mul_lo_u32 v5, v1, s57
	s_delay_alu instid0(VALU_DEP_1) | instskip(NEXT) | instid1(VALU_DEP_1)
	v_sub_nc_u32_e32 v4, v6, v5
	v_mad_u32 v3, v4, s55, v3
	s_delay_alu instid0(VALU_DEP_4)
	v_mad_u32 v2, v4, s54, v2
	s_cbranch_scc0 .LBB17_148
	s_branch .LBB17_175
.LBB17_149:
                                        ; implicit-def: $vgpr3
	s_branch .LBB17_179
.LBB17_150:
	v_dual_mov_b32 v3, 0 :: v_dual_mov_b32 v2, 0
	s_branch .LBB17_178
.LBB17_151:
	v_mov_b64_e32 v[2:3], 0
	v_mov_b32_e32 v1, v0
	s_mov_b32 s22, 0
.LBB17_152:
	s_and_b32 s0, s0, 3
	s_mov_b32 s23, 0
	s_cmp_eq_u32 s0, 0
	s_cbranch_scc1 .LBB17_155
; %bb.153:
	s_lshl_b32 s24, s22, 3
	s_mov_b32 s25, s23
	s_mul_u64 s[26:27], s[22:23], 12
	s_add_nc_u64 s[24:25], s[2:3], s[24:25]
	s_delay_alu instid0(SALU_CYCLE_1)
	s_add_nc_u64 s[22:23], s[24:25], 0xc4
	s_add_nc_u64 s[24:25], s[2:3], s[26:27]
.LBB17_154:                             ; =>This Inner Loop Header: Depth=1
	s_load_b96 s[40:42], s[24:25], 0x4
	s_load_b64 s[26:27], s[22:23], 0x0
	s_add_co_i32 s0, s0, -1
	s_wait_xcnt 0x0
	s_add_nc_u64 s[24:25], s[24:25], 12
	s_cmp_lg_u32 s0, 0
	s_add_nc_u64 s[22:23], s[22:23], 8
	s_wait_kmcnt 0x0
	v_mul_hi_u32 v4, s41, v1
	s_delay_alu instid0(VALU_DEP_1) | instskip(NEXT) | instid1(VALU_DEP_1)
	v_add_nc_u32_e32 v4, v1, v4
	v_lshrrev_b32_e32 v4, s42, v4
	s_delay_alu instid0(VALU_DEP_1) | instskip(NEXT) | instid1(VALU_DEP_1)
	v_mul_lo_u32 v5, v4, s40
	v_sub_nc_u32_e32 v1, v1, v5
	s_delay_alu instid0(VALU_DEP_1)
	v_mad_u32 v3, v1, s27, v3
	v_mad_u32 v2, v1, s26, v2
	v_mov_b32_e32 v1, v4
	s_cbranch_scc1 .LBB17_154
.LBB17_155:
	s_cbranch_execnz .LBB17_158
.LBB17_156:
	v_mov_b32_e32 v1, 0
	s_and_not1_b32 vcc_lo, exec_lo, s33
	s_delay_alu instid0(VALU_DEP_1) | instskip(NEXT) | instid1(VALU_DEP_1)
	v_mul_u64_e32 v[2:3], s[16:17], v[0:1]
	v_add_nc_u32_e32 v2, v0, v3
	s_delay_alu instid0(VALU_DEP_1) | instskip(NEXT) | instid1(VALU_DEP_1)
	v_lshrrev_b32_e32 v4, s10, v2
	v_mul_lo_u32 v2, v4, s8
	s_delay_alu instid0(VALU_DEP_1) | instskip(NEXT) | instid1(VALU_DEP_1)
	v_sub_nc_u32_e32 v2, v0, v2
	v_mul_lo_u32 v3, v2, s13
	v_mul_lo_u32 v2, v2, s12
	s_cbranch_vccnz .LBB17_158
; %bb.157:
	v_mov_b32_e32 v5, v1
	s_delay_alu instid0(VALU_DEP_1) | instskip(NEXT) | instid1(VALU_DEP_1)
	v_mul_u64_e32 v[6:7], s[18:19], v[4:5]
	v_add_nc_u32_e32 v1, v4, v7
	s_delay_alu instid0(VALU_DEP_1) | instskip(NEXT) | instid1(VALU_DEP_1)
	v_lshrrev_b32_e32 v1, s1, v1
	v_mul_lo_u32 v1, v1, s11
	s_delay_alu instid0(VALU_DEP_1) | instskip(NEXT) | instid1(VALU_DEP_1)
	v_sub_nc_u32_e32 v1, v4, v1
	v_mad_u32 v2, v1, s14, v2
	v_mad_u32 v3, v1, s15, v3
.LBB17_158:
	global_load_b32 v1, v3, s[6:7]
	s_mov_b32 s22, exec_lo
                                        ; implicit-def: $vgpr4
	s_wait_loadcnt 0x0
	v_mul_f32_e64 v3, 0x3fb8aa3b, |v1|
	v_cmpx_ge_f32_e64 0x41000000, |v1|
	s_xor_b32 s22, exec_lo, s22
	s_cbranch_execz .LBB17_164
; %bb.159:
	v_fma_f32 v4, |v1|, 0.5, -2.0
	s_mov_b32 s0, 0x224cf950
	v_rndne_f32_e32 v7, v3
	v_fma_f32 v8, 0x3fb8aa3b, |v1|, -v3
	v_cmp_ngt_f32_e64 vcc_lo, 0xc2ce8ed0, |v1|
	v_fmaak_f32 v5, s0, v4, 0xa3c2be86
	v_cmp_nlt_f32_e64 s0, 0x42b17218, |v1|
	v_sub_f32_e32 v3, v3, v7
	v_fma_f32 v8, 0x32a5705f, |v1|, v8
	s_delay_alu instid0(VALU_DEP_1) | instskip(NEXT) | instid1(VALU_DEP_1)
	v_dual_fmaak_f32 v6, v4, v5, 0xa24cf950 :: v_dual_add_f32 v3, v3, v8
	v_add_f32_e32 v6, 0x25331f1f, v6
	s_delay_alu instid0(VALU_DEP_2) | instskip(NEXT) | instid1(VALU_DEP_1)
	v_exp_f32_e32 v3, v3
	v_fma_f32 v5, v4, v6, -v5
	s_delay_alu instid0(VALU_DEP_1) | instskip(NEXT) | instid1(VALU_DEP_1)
	v_add_f32_e32 v5, 0xa69f5554, v5
	v_fma_f32 v6, v4, v5, -v6
	s_delay_alu instid0(VALU_DEP_1) | instskip(NEXT) | instid1(VALU_DEP_1)
	v_add_f32_e32 v6, 0x2808ebf8, v6
	v_fma_f32 v5, v4, v6, -v5
	s_delay_alu instid0(VALU_DEP_1) | instskip(NEXT) | instid1(VALU_DEP_1)
	v_add_f32_e32 v5, 0xa9631471, v5
	v_fma_f32 v6, v4, v5, -v6
	s_delay_alu instid0(VALU_DEP_1) | instskip(NEXT) | instid1(VALU_DEP_1)
	v_add_f32_e32 v6, 0x2ab57bc2, v6
	v_fma_f32 v5, v4, v6, -v5
	s_delay_alu instid0(VALU_DEP_1) | instskip(NEXT) | instid1(VALU_DEP_1)
	v_add_f32_e32 v5, 0xac0b9c1b, v5
	v_fma_f32 v6, v4, v5, -v6
	s_delay_alu instid0(VALU_DEP_1) | instskip(NEXT) | instid1(VALU_DEP_1)
	v_add_f32_e32 v6, 0x2d4e7716, v6
	v_fma_f32 v5, v4, v6, -v5
	s_delay_alu instid0(VALU_DEP_1) | instskip(NEXT) | instid1(VALU_DEP_1)
	v_add_f32_e32 v5, 0xae92881d, v5
	v_fma_f32 v6, v4, v5, -v6
	s_delay_alu instid0(VALU_DEP_1) | instskip(NEXT) | instid1(VALU_DEP_1)
	v_add_f32_e32 v6, 0x2fc751a6, v6
	v_fma_f32 v5, v4, v6, -v5
	s_delay_alu instid0(VALU_DEP_1) | instskip(NEXT) | instid1(VALU_DEP_1)
	v_add_f32_e32 v5, 0xb101b0d9, v5
	v_fma_f32 v6, v4, v5, -v6
	s_delay_alu instid0(VALU_DEP_1) | instskip(NEXT) | instid1(VALU_DEP_1)
	v_add_f32_e32 v6, 0x32212c70, v6
	v_fma_f32 v5, v4, v6, -v5
	s_delay_alu instid0(VALU_DEP_1) | instskip(NEXT) | instid1(VALU_DEP_1)
	v_add_f32_e32 v5, 0xb33ee9f1, v5
	v_fma_f32 v6, v4, v5, -v6
	s_delay_alu instid0(VALU_DEP_1) | instskip(NEXT) | instid1(VALU_DEP_1)
	v_add_f32_e32 v6, 0x34571a26, v6
	v_fma_f32 v5, v4, v6, -v5
	s_delay_alu instid0(VALU_DEP_1) | instskip(NEXT) | instid1(VALU_DEP_1)
	v_add_f32_e32 v5, 0xb56603cc, v5
	v_fma_f32 v6, v4, v5, -v6
	s_delay_alu instid0(VALU_DEP_1) | instskip(NEXT) | instid1(VALU_DEP_1)
	v_add_f32_e32 v6, 0x3668e277, v6
	v_fma_f32 v5, v4, v6, -v5
	s_delay_alu instid0(VALU_DEP_1) | instskip(NEXT) | instid1(VALU_DEP_1)
	v_add_f32_e32 v5, 0xb75eafce, v5
	v_fma_f32 v6, v4, v5, -v6
	s_delay_alu instid0(VALU_DEP_1) | instskip(NEXT) | instid1(VALU_DEP_1)
	v_add_f32_e32 v6, 0x38488daa, v6
	v_fma_f32 v5, v4, v6, -v5
	s_delay_alu instid0(VALU_DEP_1) | instskip(NEXT) | instid1(VALU_DEP_1)
	v_add_f32_e32 v5, 0xb9299e57, v5
	v_fma_f32 v6, v4, v5, -v6
	s_delay_alu instid0(VALU_DEP_1) | instskip(NEXT) | instid1(VALU_DEP_1)
	v_add_f32_e32 v6, 0x3a064aee, v6
	v_fma_f32 v5, v4, v6, -v5
	s_delay_alu instid0(VALU_DEP_1) | instskip(NEXT) | instid1(VALU_DEP_1)
	v_add_f32_e32 v5, 0xbac66310, v5
	v_fma_f32 v6, v4, v5, -v6
	s_delay_alu instid0(VALU_DEP_1) | instskip(NEXT) | instid1(VALU_DEP_1)
	v_add_f32_e32 v6, 0x3b88329a, v6
	v_fma_f32 v5, v4, v6, -v5
	s_delay_alu instid0(VALU_DEP_1) | instskip(NEXT) | instid1(VALU_DEP_1)
	v_add_f32_e32 v5, 0xbc2d14fc, v5
	v_fma_f32 v6, v4, v5, -v6
	s_delay_alu instid0(VALU_DEP_1) | instskip(NEXT) | instid1(VALU_DEP_1)
	v_add_f32_e32 v6, 0x3cca8f1f, v6
	v_fma_f32 v5, v4, v6, -v5
	s_delay_alu instid0(VALU_DEP_1) | instskip(NEXT) | instid1(VALU_DEP_1)
	v_add_f32_e32 v5, 0xbd58dde3, v5
	v_fma_f32 v6, v4, v5, -v6
	s_delay_alu instid0(VALU_DEP_1) | instskip(NEXT) | instid1(VALU_DEP_1)
	v_add_f32_e32 v6, 0x3dd236d7, v6
	v_fma_f32 v5, v4, v6, -v5
	s_delay_alu instid0(VALU_DEP_1) | instskip(NEXT) | instid1(VALU_DEP_1)
	v_add_f32_e32 v5, 0xbe34a688, v5
	v_fma_f32 v4, v4, v5, -v6
	v_cvt_i32_f32_e32 v5, v7
	s_delay_alu instid0(VALU_DEP_2) | instskip(NEXT) | instid1(VALU_DEP_2)
	v_add_f32_e32 v4, 0x3e81531c, v4
	v_ldexp_f32 v3, v3, v5
	s_delay_alu instid0(VALU_DEP_1) | instskip(SKIP_1) | instid1(VALU_DEP_2)
	v_dual_sub_f32 v4, v4, v6 :: v_dual_cndmask_b32 v5, 0, v3
	v_cmp_ngt_f32_e32 vcc_lo, 0, v1
	v_mul_f32_e32 v4, 0.5, v4
	s_delay_alu instid0(VALU_DEP_1) | instskip(NEXT) | instid1(VALU_DEP_4)
	v_mul_f32_e64 v3, |v1|, v4
	v_cndmask_b32_e64 v1, 0x7f800000, v5, s0
                                        ; implicit-def: $vgpr4
	s_and_saveexec_b32 s0, vcc_lo
	s_delay_alu instid0(SALU_CYCLE_1)
	s_xor_b32 s0, exec_lo, s0
; %bb.160:
	s_delay_alu instid0(VALU_DEP_1)
	v_mul_f32_e32 v4, v1, v3
                                        ; implicit-def: $vgpr1
                                        ; implicit-def: $vgpr3
; %bb.161:
	s_and_not1_saveexec_b32 s0, s0
; %bb.162:
	v_mul_f32_e64 v4, v3, -v1
; %bb.163:
	s_or_b32 exec_lo, exec_lo, s0
                                        ; implicit-def: $vgpr1
                                        ; implicit-def: $vgpr3
.LBB17_164:
	s_and_not1_saveexec_b32 s22, s22
	s_cbranch_execz .LBB17_170
; %bb.165:
	v_and_b32_e32 v4, 0x7fffffff, v1
	s_mov_b32 s0, 0x230aab6e
	s_delay_alu instid0(VALU_DEP_1) | instskip(SKIP_1) | instid1(VALU_DEP_2)
	v_div_scale_f32 v5, null, v4, v4, 0x42000000
	v_div_scale_f32 v4, vcc_lo, 0x42000000, v4, 0x42000000
	v_rcp_f32_e32 v6, v5
	v_nop
	s_delay_alu instid0(TRANS32_DEP_1) | instskip(NEXT) | instid1(VALU_DEP_1)
	v_fma_f32 v7, -v5, v6, 1.0
	v_fmac_f32_e32 v6, v7, v6
	s_delay_alu instid0(VALU_DEP_1) | instskip(NEXT) | instid1(VALU_DEP_1)
	v_mul_f32_e32 v7, v4, v6
	v_fma_f32 v8, -v5, v7, v4
	s_delay_alu instid0(VALU_DEP_1) | instskip(SKIP_1) | instid1(VALU_DEP_2)
	v_fmac_f32_e32 v7, v8, v6
	v_fma_f32 v8, 0x3fb8aa3b, |v1|, -v3
	v_fma_f32 v4, -v5, v7, v4
	s_delay_alu instid0(VALU_DEP_2) | instskip(NEXT) | instid1(VALU_DEP_2)
	v_fma_f32 v8, 0x32a5705f, |v1|, v8
	v_div_fmas_f32 v4, v4, v6, v7
	v_rndne_f32_e32 v7, v3
	v_cmp_ngt_f32_e64 vcc_lo, 0xc2ce8ed0, |v1|
	s_delay_alu instid0(VALU_DEP_3) | instskip(NEXT) | instid1(VALU_DEP_3)
	v_div_fixup_f32 v4, v4, |v1|, 0x42000000
	v_sub_f32_e32 v3, v3, v7
	v_cvt_i32_f32_e32 v7, v7
	s_delay_alu instid0(VALU_DEP_3) | instskip(NEXT) | instid1(VALU_DEP_3)
	v_add_f32_e32 v4, -2.0, v4
	v_add_f32_e32 v3, v3, v8
	s_delay_alu instid0(VALU_DEP_2) | instskip(SKIP_1) | instid1(VALU_DEP_3)
	v_fmaak_f32 v5, s0, v4, 0x22a2dc57
	v_cmp_nlt_f32_e64 s0, 0x42b17218, |v1|
	v_exp_f32_e32 v3, v3
	s_delay_alu instid0(VALU_DEP_2) | instskip(NEXT) | instid1(TRANS32_DEP_1)
	v_fmaak_f32 v6, v4, v5, 0xa30aab6e
	v_ldexp_f32 v3, v3, v7
	s_delay_alu instid0(VALU_DEP_1) | instskip(NEXT) | instid1(VALU_DEP_1)
	v_dual_add_f32 v6, 0xa456751e, v6 :: v_dual_cndmask_b32 v3, 0, v3
	v_fma_f32 v5, v4, v6, -v5
	s_delay_alu instid0(VALU_DEP_2) | instskip(NEXT) | instid1(VALU_DEP_2)
	v_cndmask_b32_e64 v3, 0x7f800000, v3, s0
	v_add_f32_e32 v5, 0xa4140365, v5
	s_mov_b32 s0, exec_lo
	s_delay_alu instid0(VALU_DEP_1) | instskip(NEXT) | instid1(VALU_DEP_1)
	v_fma_f32 v6, v4, v5, -v6
	v_add_f32_e32 v6, 0x25aac8b0, v6
	s_delay_alu instid0(VALU_DEP_1) | instskip(NEXT) | instid1(VALU_DEP_1)
	v_fma_f32 v5, v4, v6, -v5
	v_add_f32_e32 v5, 0x25beb473, v5
	;; [unrolled: 3-line block ×21, first 2 shown]
	s_delay_alu instid0(VALU_DEP_1)
	v_sub_f32_e32 v5, v4, v6
                                        ; implicit-def: $vgpr4
	v_cmpx_ngt_f32_e32 0, v1
	s_xor_b32 s23, exec_lo, s0
	s_cbranch_execz .LBB17_167
; %bb.166:
	v_mul_f32_e64 v4, 0x4f800000, |v1|
	v_cmp_gt_f32_e64 vcc_lo, 0xf800000, |v1|
	v_mul_f32_e32 v5, 0.5, v5
	s_delay_alu instid0(VALU_DEP_2) | instskip(NEXT) | instid1(VALU_DEP_2)
	v_cndmask_b32_e64 v1, |v1|, v4, vcc_lo
	v_mul_f32_e32 v3, v3, v5
	s_delay_alu instid0(VALU_DEP_2) | instskip(SKIP_1) | instid1(TRANS32_DEP_1)
	v_sqrt_f32_e32 v4, v1
	v_nop
	v_dual_add_nc_u32 v6, -1, v4 :: v_dual_add_nc_u32 v7, 1, v4
	s_delay_alu instid0(VALU_DEP_1) | instskip(NEXT) | instid1(VALU_DEP_1)
	v_dual_fma_f32 v8, -v6, v4, v1 :: v_dual_fma_f32 v9, -v7, v4, v1
	v_cmp_ge_f32_e64 s0, 0, v8
	s_delay_alu instid0(VALU_DEP_1) | instskip(NEXT) | instid1(VALU_DEP_3)
	v_cndmask_b32_e64 v4, v4, v6, s0
	v_cmp_lt_f32_e64 s0, 0, v9
	s_delay_alu instid0(VALU_DEP_1) | instskip(NEXT) | instid1(VALU_DEP_1)
	v_cndmask_b32_e64 v4, v4, v7, s0
	v_mul_f32_e32 v6, 0x37800000, v4
	s_delay_alu instid0(VALU_DEP_1) | instskip(SKIP_1) | instid1(VALU_DEP_2)
	v_cndmask_b32_e32 v4, v4, v6, vcc_lo
	v_cmp_class_f32_e64 vcc_lo, v1, 0x260
	v_cndmask_b32_e32 v1, v4, v1, vcc_lo
	s_delay_alu instid0(VALU_DEP_1) | instskip(NEXT) | instid1(VALU_DEP_1)
	v_div_scale_f32 v4, null, v1, v1, v3
	v_rcp_f32_e32 v5, v4
	v_nop
	s_delay_alu instid0(TRANS32_DEP_1) | instskip(NEXT) | instid1(VALU_DEP_1)
	v_fma_f32 v6, -v4, v5, 1.0
	v_fmac_f32_e32 v5, v6, v5
	v_div_scale_f32 v6, vcc_lo, v3, v1, v3
	s_delay_alu instid0(VALU_DEP_1) | instskip(NEXT) | instid1(VALU_DEP_1)
	v_mul_f32_e32 v7, v6, v5
	v_fma_f32 v8, -v4, v7, v6
	s_delay_alu instid0(VALU_DEP_1) | instskip(NEXT) | instid1(VALU_DEP_1)
	v_fmac_f32_e32 v7, v8, v5
	v_fma_f32 v4, -v4, v7, v6
	s_delay_alu instid0(VALU_DEP_1) | instskip(NEXT) | instid1(VALU_DEP_1)
	v_div_fmas_f32 v4, v4, v5, v7
                                        ; implicit-def: $vgpr5
	v_div_fixup_f32 v4, v4, v1, v3
                                        ; implicit-def: $vgpr1
                                        ; implicit-def: $vgpr3
.LBB17_167:
	s_and_not1_saveexec_b32 s23, s23
	s_cbranch_execz .LBB17_169
; %bb.168:
	v_mul_f32_e64 v4, 0x4f800000, |v1|
	v_cmp_gt_f32_e64 vcc_lo, 0xf800000, |v1|
	v_mul_f32_e32 v5, -0.5, v5
	s_delay_alu instid0(VALU_DEP_2) | instskip(NEXT) | instid1(VALU_DEP_2)
	v_cndmask_b32_e64 v1, |v1|, v4, vcc_lo
	v_mul_f32_e32 v3, v3, v5
	s_delay_alu instid0(VALU_DEP_2) | instskip(SKIP_1) | instid1(TRANS32_DEP_1)
	v_sqrt_f32_e32 v4, v1
	v_nop
	v_dual_add_nc_u32 v6, -1, v4 :: v_dual_add_nc_u32 v7, 1, v4
	s_delay_alu instid0(VALU_DEP_1) | instskip(NEXT) | instid1(VALU_DEP_1)
	v_dual_fma_f32 v8, -v6, v4, v1 :: v_dual_fma_f32 v9, -v7, v4, v1
	v_cmp_ge_f32_e64 s0, 0, v8
	s_delay_alu instid0(VALU_DEP_1) | instskip(NEXT) | instid1(VALU_DEP_3)
	v_cndmask_b32_e64 v4, v4, v6, s0
	v_cmp_lt_f32_e64 s0, 0, v9
	s_delay_alu instid0(VALU_DEP_1) | instskip(NEXT) | instid1(VALU_DEP_1)
	v_cndmask_b32_e64 v4, v4, v7, s0
	v_mul_f32_e32 v6, 0x37800000, v4
	s_delay_alu instid0(VALU_DEP_1) | instskip(SKIP_1) | instid1(VALU_DEP_2)
	v_cndmask_b32_e32 v4, v4, v6, vcc_lo
	v_cmp_class_f32_e64 vcc_lo, v1, 0x260
	v_cndmask_b32_e32 v1, v4, v1, vcc_lo
	s_delay_alu instid0(VALU_DEP_1) | instskip(NEXT) | instid1(VALU_DEP_1)
	v_div_scale_f32 v4, null, v1, v1, v3
	v_rcp_f32_e32 v5, v4
	v_nop
	s_delay_alu instid0(TRANS32_DEP_1) | instskip(NEXT) | instid1(VALU_DEP_1)
	v_fma_f32 v6, -v4, v5, 1.0
	v_fmac_f32_e32 v5, v6, v5
	v_div_scale_f32 v6, vcc_lo, v3, v1, v3
	s_delay_alu instid0(VALU_DEP_1) | instskip(NEXT) | instid1(VALU_DEP_1)
	v_mul_f32_e32 v7, v6, v5
	v_fma_f32 v8, -v4, v7, v6
	s_delay_alu instid0(VALU_DEP_1) | instskip(NEXT) | instid1(VALU_DEP_1)
	v_fmac_f32_e32 v7, v8, v5
	v_fma_f32 v4, -v4, v7, v6
	s_delay_alu instid0(VALU_DEP_1) | instskip(NEXT) | instid1(VALU_DEP_1)
	v_div_fmas_f32 v4, v4, v5, v7
	v_div_fixup_f32 v4, v4, v1, v3
.LBB17_169:
	s_or_b32 exec_lo, exec_lo, s23
.LBB17_170:
	s_delay_alu instid0(SALU_CYCLE_1) | instskip(SKIP_4) | instid1(SALU_CYCLE_1)
	s_or_b32 exec_lo, exec_lo, s22
	v_add_nc_u32_e32 v0, 0x80, v0
	global_store_b32 v2, v4, s[4:5]
	s_wait_xcnt 0x0
	s_or_b32 exec_lo, exec_lo, s9
	s_mov_b32 s9, exec_lo
	v_cmpx_gt_i32_e64 s34, v0
	s_cbranch_execnz .LBB17_144
.LBB17_171:
	s_or_b32 exec_lo, exec_lo, s9
	s_delay_alu instid0(SALU_CYCLE_1)
	s_mov_b32 s9, exec_lo
	v_cmpx_gt_i32_e64 s34, v0
	s_cbranch_execnz .LBB17_194
.LBB17_172:
	s_or_b32 exec_lo, exec_lo, s9
                                        ; implicit-def: $vgpr8
                                        ; implicit-def: $vgpr0
	s_and_not1_saveexec_b32 s0, s31
	s_cbranch_execnz .LBB17_8
.LBB17_173:
	s_endpgm
.LBB17_174:
	v_mov_b64_e32 v[2:3], 0
	v_mov_b32_e32 v1, v0
	s_mov_b32 s22, 0
.LBB17_175:
	s_and_b32 s0, s0, 3
	s_mov_b32 s23, 0
	s_cmp_eq_u32 s0, 0
	s_cbranch_scc1 .LBB17_178
; %bb.176:
	s_lshl_b32 s24, s22, 3
	s_mov_b32 s25, s23
	s_mul_u64 s[26:27], s[22:23], 12
	s_add_nc_u64 s[24:25], s[2:3], s[24:25]
	s_delay_alu instid0(SALU_CYCLE_1)
	s_add_nc_u64 s[22:23], s[24:25], 0xc4
	s_add_nc_u64 s[24:25], s[2:3], s[26:27]
.LBB17_177:                             ; =>This Inner Loop Header: Depth=1
	s_load_b96 s[40:42], s[24:25], 0x4
	s_load_b64 s[26:27], s[22:23], 0x0
	s_add_co_i32 s0, s0, -1
	s_wait_xcnt 0x0
	s_add_nc_u64 s[24:25], s[24:25], 12
	s_cmp_lg_u32 s0, 0
	s_add_nc_u64 s[22:23], s[22:23], 8
	s_wait_kmcnt 0x0
	v_mul_hi_u32 v4, s41, v1
	s_delay_alu instid0(VALU_DEP_1) | instskip(NEXT) | instid1(VALU_DEP_1)
	v_add_nc_u32_e32 v4, v1, v4
	v_lshrrev_b32_e32 v4, s42, v4
	s_delay_alu instid0(VALU_DEP_1) | instskip(NEXT) | instid1(VALU_DEP_1)
	v_mul_lo_u32 v5, v4, s40
	v_sub_nc_u32_e32 v1, v1, v5
	s_delay_alu instid0(VALU_DEP_1)
	v_mad_u32 v3, v1, s27, v3
	v_mad_u32 v2, v1, s26, v2
	v_mov_b32_e32 v1, v4
	s_cbranch_scc1 .LBB17_177
.LBB17_178:
	s_cbranch_execnz .LBB17_181
.LBB17_179:
	v_mov_b32_e32 v1, 0
	s_and_not1_b32 vcc_lo, exec_lo, s33
	s_delay_alu instid0(VALU_DEP_1) | instskip(NEXT) | instid1(VALU_DEP_1)
	v_mul_u64_e32 v[2:3], s[16:17], v[0:1]
	v_add_nc_u32_e32 v2, v0, v3
	s_delay_alu instid0(VALU_DEP_1) | instskip(NEXT) | instid1(VALU_DEP_1)
	v_lshrrev_b32_e32 v4, s10, v2
	v_mul_lo_u32 v2, v4, s8
	s_delay_alu instid0(VALU_DEP_1) | instskip(NEXT) | instid1(VALU_DEP_1)
	v_sub_nc_u32_e32 v2, v0, v2
	v_mul_lo_u32 v3, v2, s13
	v_mul_lo_u32 v2, v2, s12
	s_cbranch_vccnz .LBB17_181
; %bb.180:
	v_mov_b32_e32 v5, v1
	s_delay_alu instid0(VALU_DEP_1) | instskip(NEXT) | instid1(VALU_DEP_1)
	v_mul_u64_e32 v[6:7], s[18:19], v[4:5]
	v_add_nc_u32_e32 v1, v4, v7
	s_delay_alu instid0(VALU_DEP_1) | instskip(NEXT) | instid1(VALU_DEP_1)
	v_lshrrev_b32_e32 v1, s1, v1
	v_mul_lo_u32 v1, v1, s11
	s_delay_alu instid0(VALU_DEP_1) | instskip(NEXT) | instid1(VALU_DEP_1)
	v_sub_nc_u32_e32 v1, v4, v1
	v_mad_u32 v2, v1, s14, v2
	v_mad_u32 v3, v1, s15, v3
.LBB17_181:
	global_load_b32 v1, v3, s[6:7]
	s_mov_b32 s22, exec_lo
                                        ; implicit-def: $vgpr4
	s_wait_loadcnt 0x0
	v_mul_f32_e64 v3, 0x3fb8aa3b, |v1|
	v_cmpx_ge_f32_e64 0x41000000, |v1|
	s_xor_b32 s22, exec_lo, s22
	s_cbranch_execz .LBB17_187
; %bb.182:
	v_fma_f32 v4, |v1|, 0.5, -2.0
	s_mov_b32 s0, 0x224cf950
	v_rndne_f32_e32 v7, v3
	v_fma_f32 v8, 0x3fb8aa3b, |v1|, -v3
	v_cmp_ngt_f32_e64 vcc_lo, 0xc2ce8ed0, |v1|
	v_fmaak_f32 v5, s0, v4, 0xa3c2be86
	v_cmp_nlt_f32_e64 s0, 0x42b17218, |v1|
	v_sub_f32_e32 v3, v3, v7
	v_fma_f32 v8, 0x32a5705f, |v1|, v8
	s_delay_alu instid0(VALU_DEP_1) | instskip(NEXT) | instid1(VALU_DEP_1)
	v_dual_fmaak_f32 v6, v4, v5, 0xa24cf950 :: v_dual_add_f32 v3, v3, v8
	v_add_f32_e32 v6, 0x25331f1f, v6
	s_delay_alu instid0(VALU_DEP_2) | instskip(NEXT) | instid1(VALU_DEP_1)
	v_exp_f32_e32 v3, v3
	v_fma_f32 v5, v4, v6, -v5
	s_delay_alu instid0(VALU_DEP_1) | instskip(NEXT) | instid1(VALU_DEP_1)
	v_add_f32_e32 v5, 0xa69f5554, v5
	v_fma_f32 v6, v4, v5, -v6
	s_delay_alu instid0(VALU_DEP_1) | instskip(NEXT) | instid1(VALU_DEP_1)
	v_add_f32_e32 v6, 0x2808ebf8, v6
	;; [unrolled: 3-line block ×25, first 2 shown]
	v_fma_f32 v4, v4, v5, -v6
	v_cvt_i32_f32_e32 v5, v7
	s_delay_alu instid0(VALU_DEP_2) | instskip(NEXT) | instid1(VALU_DEP_2)
	v_add_f32_e32 v4, 0x3e81531c, v4
	v_ldexp_f32 v3, v3, v5
	s_delay_alu instid0(VALU_DEP_1) | instskip(SKIP_1) | instid1(VALU_DEP_2)
	v_dual_sub_f32 v4, v4, v6 :: v_dual_cndmask_b32 v5, 0, v3
	v_cmp_ngt_f32_e32 vcc_lo, 0, v1
	v_mul_f32_e32 v4, 0.5, v4
	s_delay_alu instid0(VALU_DEP_1) | instskip(NEXT) | instid1(VALU_DEP_4)
	v_mul_f32_e64 v3, |v1|, v4
	v_cndmask_b32_e64 v1, 0x7f800000, v5, s0
                                        ; implicit-def: $vgpr4
	s_and_saveexec_b32 s0, vcc_lo
	s_delay_alu instid0(SALU_CYCLE_1)
	s_xor_b32 s0, exec_lo, s0
; %bb.183:
	s_delay_alu instid0(VALU_DEP_1)
	v_mul_f32_e32 v4, v1, v3
                                        ; implicit-def: $vgpr1
                                        ; implicit-def: $vgpr3
; %bb.184:
	s_and_not1_saveexec_b32 s0, s0
; %bb.185:
	v_mul_f32_e64 v4, v3, -v1
; %bb.186:
	s_or_b32 exec_lo, exec_lo, s0
                                        ; implicit-def: $vgpr1
                                        ; implicit-def: $vgpr3
.LBB17_187:
	s_and_not1_saveexec_b32 s22, s22
	s_cbranch_execz .LBB17_193
; %bb.188:
	v_and_b32_e32 v4, 0x7fffffff, v1
	s_mov_b32 s0, 0x230aab6e
	s_delay_alu instid0(VALU_DEP_1) | instskip(SKIP_1) | instid1(VALU_DEP_2)
	v_div_scale_f32 v5, null, v4, v4, 0x42000000
	v_div_scale_f32 v4, vcc_lo, 0x42000000, v4, 0x42000000
	v_rcp_f32_e32 v6, v5
	v_nop
	s_delay_alu instid0(TRANS32_DEP_1) | instskip(NEXT) | instid1(VALU_DEP_1)
	v_fma_f32 v7, -v5, v6, 1.0
	v_fmac_f32_e32 v6, v7, v6
	s_delay_alu instid0(VALU_DEP_1) | instskip(NEXT) | instid1(VALU_DEP_1)
	v_mul_f32_e32 v7, v4, v6
	v_fma_f32 v8, -v5, v7, v4
	s_delay_alu instid0(VALU_DEP_1) | instskip(SKIP_1) | instid1(VALU_DEP_2)
	v_fmac_f32_e32 v7, v8, v6
	v_fma_f32 v8, 0x3fb8aa3b, |v1|, -v3
	v_fma_f32 v4, -v5, v7, v4
	s_delay_alu instid0(VALU_DEP_2) | instskip(NEXT) | instid1(VALU_DEP_2)
	v_fma_f32 v8, 0x32a5705f, |v1|, v8
	v_div_fmas_f32 v4, v4, v6, v7
	v_rndne_f32_e32 v7, v3
	v_cmp_ngt_f32_e64 vcc_lo, 0xc2ce8ed0, |v1|
	s_delay_alu instid0(VALU_DEP_3) | instskip(NEXT) | instid1(VALU_DEP_3)
	v_div_fixup_f32 v4, v4, |v1|, 0x42000000
	v_sub_f32_e32 v3, v3, v7
	v_cvt_i32_f32_e32 v7, v7
	s_delay_alu instid0(VALU_DEP_3) | instskip(NEXT) | instid1(VALU_DEP_3)
	v_add_f32_e32 v4, -2.0, v4
	v_add_f32_e32 v3, v3, v8
	s_delay_alu instid0(VALU_DEP_2) | instskip(SKIP_1) | instid1(VALU_DEP_3)
	v_fmaak_f32 v5, s0, v4, 0x22a2dc57
	v_cmp_nlt_f32_e64 s0, 0x42b17218, |v1|
	v_exp_f32_e32 v3, v3
	s_delay_alu instid0(VALU_DEP_2) | instskip(NEXT) | instid1(TRANS32_DEP_1)
	v_fmaak_f32 v6, v4, v5, 0xa30aab6e
	v_ldexp_f32 v3, v3, v7
	s_delay_alu instid0(VALU_DEP_1) | instskip(NEXT) | instid1(VALU_DEP_1)
	v_dual_add_f32 v6, 0xa456751e, v6 :: v_dual_cndmask_b32 v3, 0, v3
	v_fma_f32 v5, v4, v6, -v5
	s_delay_alu instid0(VALU_DEP_2) | instskip(NEXT) | instid1(VALU_DEP_2)
	v_cndmask_b32_e64 v3, 0x7f800000, v3, s0
	v_add_f32_e32 v5, 0xa4140365, v5
	s_mov_b32 s0, exec_lo
	s_delay_alu instid0(VALU_DEP_1) | instskip(NEXT) | instid1(VALU_DEP_1)
	v_fma_f32 v6, v4, v5, -v6
	v_add_f32_e32 v6, 0x25aac8b0, v6
	s_delay_alu instid0(VALU_DEP_1) | instskip(NEXT) | instid1(VALU_DEP_1)
	v_fma_f32 v5, v4, v6, -v5
	v_add_f32_e32 v5, 0x25beb473, v5
	;; [unrolled: 3-line block ×21, first 2 shown]
	s_delay_alu instid0(VALU_DEP_1)
	v_sub_f32_e32 v5, v4, v6
                                        ; implicit-def: $vgpr4
	v_cmpx_ngt_f32_e32 0, v1
	s_xor_b32 s23, exec_lo, s0
	s_cbranch_execz .LBB17_190
; %bb.189:
	v_mul_f32_e64 v4, 0x4f800000, |v1|
	v_cmp_gt_f32_e64 vcc_lo, 0xf800000, |v1|
	v_mul_f32_e32 v5, 0.5, v5
	s_delay_alu instid0(VALU_DEP_2) | instskip(NEXT) | instid1(VALU_DEP_2)
	v_cndmask_b32_e64 v1, |v1|, v4, vcc_lo
	v_mul_f32_e32 v3, v3, v5
	s_delay_alu instid0(VALU_DEP_2) | instskip(SKIP_1) | instid1(TRANS32_DEP_1)
	v_sqrt_f32_e32 v4, v1
	v_nop
	v_dual_add_nc_u32 v6, -1, v4 :: v_dual_add_nc_u32 v7, 1, v4
	s_delay_alu instid0(VALU_DEP_1) | instskip(NEXT) | instid1(VALU_DEP_1)
	v_dual_fma_f32 v8, -v6, v4, v1 :: v_dual_fma_f32 v9, -v7, v4, v1
	v_cmp_ge_f32_e64 s0, 0, v8
	s_delay_alu instid0(VALU_DEP_1) | instskip(NEXT) | instid1(VALU_DEP_3)
	v_cndmask_b32_e64 v4, v4, v6, s0
	v_cmp_lt_f32_e64 s0, 0, v9
	s_delay_alu instid0(VALU_DEP_1) | instskip(NEXT) | instid1(VALU_DEP_1)
	v_cndmask_b32_e64 v4, v4, v7, s0
	v_mul_f32_e32 v6, 0x37800000, v4
	s_delay_alu instid0(VALU_DEP_1) | instskip(SKIP_1) | instid1(VALU_DEP_2)
	v_cndmask_b32_e32 v4, v4, v6, vcc_lo
	v_cmp_class_f32_e64 vcc_lo, v1, 0x260
	v_cndmask_b32_e32 v1, v4, v1, vcc_lo
	s_delay_alu instid0(VALU_DEP_1) | instskip(NEXT) | instid1(VALU_DEP_1)
	v_div_scale_f32 v4, null, v1, v1, v3
	v_rcp_f32_e32 v5, v4
	v_nop
	s_delay_alu instid0(TRANS32_DEP_1) | instskip(NEXT) | instid1(VALU_DEP_1)
	v_fma_f32 v6, -v4, v5, 1.0
	v_fmac_f32_e32 v5, v6, v5
	v_div_scale_f32 v6, vcc_lo, v3, v1, v3
	s_delay_alu instid0(VALU_DEP_1) | instskip(NEXT) | instid1(VALU_DEP_1)
	v_mul_f32_e32 v7, v6, v5
	v_fma_f32 v8, -v4, v7, v6
	s_delay_alu instid0(VALU_DEP_1) | instskip(NEXT) | instid1(VALU_DEP_1)
	v_fmac_f32_e32 v7, v8, v5
	v_fma_f32 v4, -v4, v7, v6
	s_delay_alu instid0(VALU_DEP_1) | instskip(NEXT) | instid1(VALU_DEP_1)
	v_div_fmas_f32 v4, v4, v5, v7
                                        ; implicit-def: $vgpr5
	v_div_fixup_f32 v4, v4, v1, v3
                                        ; implicit-def: $vgpr1
                                        ; implicit-def: $vgpr3
.LBB17_190:
	s_and_not1_saveexec_b32 s23, s23
	s_cbranch_execz .LBB17_192
; %bb.191:
	v_mul_f32_e64 v4, 0x4f800000, |v1|
	v_cmp_gt_f32_e64 vcc_lo, 0xf800000, |v1|
	v_mul_f32_e32 v5, -0.5, v5
	s_delay_alu instid0(VALU_DEP_2) | instskip(NEXT) | instid1(VALU_DEP_2)
	v_cndmask_b32_e64 v1, |v1|, v4, vcc_lo
	v_mul_f32_e32 v3, v3, v5
	s_delay_alu instid0(VALU_DEP_2) | instskip(SKIP_1) | instid1(TRANS32_DEP_1)
	v_sqrt_f32_e32 v4, v1
	v_nop
	v_dual_add_nc_u32 v6, -1, v4 :: v_dual_add_nc_u32 v7, 1, v4
	s_delay_alu instid0(VALU_DEP_1) | instskip(NEXT) | instid1(VALU_DEP_1)
	v_dual_fma_f32 v8, -v6, v4, v1 :: v_dual_fma_f32 v9, -v7, v4, v1
	v_cmp_ge_f32_e64 s0, 0, v8
	s_delay_alu instid0(VALU_DEP_1) | instskip(NEXT) | instid1(VALU_DEP_3)
	v_cndmask_b32_e64 v4, v4, v6, s0
	v_cmp_lt_f32_e64 s0, 0, v9
	s_delay_alu instid0(VALU_DEP_1) | instskip(NEXT) | instid1(VALU_DEP_1)
	v_cndmask_b32_e64 v4, v4, v7, s0
	v_mul_f32_e32 v6, 0x37800000, v4
	s_delay_alu instid0(VALU_DEP_1) | instskip(SKIP_1) | instid1(VALU_DEP_2)
	v_cndmask_b32_e32 v4, v4, v6, vcc_lo
	v_cmp_class_f32_e64 vcc_lo, v1, 0x260
	v_cndmask_b32_e32 v1, v4, v1, vcc_lo
	s_delay_alu instid0(VALU_DEP_1) | instskip(NEXT) | instid1(VALU_DEP_1)
	v_div_scale_f32 v4, null, v1, v1, v3
	v_rcp_f32_e32 v5, v4
	v_nop
	s_delay_alu instid0(TRANS32_DEP_1) | instskip(NEXT) | instid1(VALU_DEP_1)
	v_fma_f32 v6, -v4, v5, 1.0
	v_fmac_f32_e32 v5, v6, v5
	v_div_scale_f32 v6, vcc_lo, v3, v1, v3
	s_delay_alu instid0(VALU_DEP_1) | instskip(NEXT) | instid1(VALU_DEP_1)
	v_mul_f32_e32 v7, v6, v5
	v_fma_f32 v8, -v4, v7, v6
	s_delay_alu instid0(VALU_DEP_1) | instskip(NEXT) | instid1(VALU_DEP_1)
	v_fmac_f32_e32 v7, v8, v5
	v_fma_f32 v4, -v4, v7, v6
	s_delay_alu instid0(VALU_DEP_1) | instskip(NEXT) | instid1(VALU_DEP_1)
	v_div_fmas_f32 v4, v4, v5, v7
	v_div_fixup_f32 v4, v4, v1, v3
.LBB17_192:
	s_or_b32 exec_lo, exec_lo, s23
.LBB17_193:
	s_delay_alu instid0(SALU_CYCLE_1) | instskip(SKIP_4) | instid1(SALU_CYCLE_1)
	s_or_b32 exec_lo, exec_lo, s22
	v_add_nc_u32_e32 v0, 0x80, v0
	global_store_b32 v2, v4, s[4:5]
	s_wait_xcnt 0x0
	s_or_b32 exec_lo, exec_lo, s9
	s_mov_b32 s9, exec_lo
	v_cmpx_gt_i32_e64 s34, v0
	s_cbranch_execz .LBB17_172
.LBB17_194:
	s_and_not1_b32 vcc_lo, exec_lo, s30
	s_cbranch_vccnz .LBB17_199
; %bb.195:
	s_and_not1_b32 vcc_lo, exec_lo, s36
	s_cbranch_vccnz .LBB17_200
; %bb.196:
	s_add_co_i32 s35, s35, 1
	s_cmp_eq_u32 s29, 2
	s_cbranch_scc1 .LBB17_201
; %bb.197:
	v_dual_mov_b32 v2, 0 :: v_dual_mov_b32 v3, 0
	v_mov_b32_e32 v1, v0
	s_and_b32 s22, s35, 28
	s_mov_b32 s0, 0
	s_mov_b64 s[24:25], s[2:3]
.LBB17_198:                             ; =>This Inner Loop Header: Depth=1
	s_clause 0x1
	s_load_b256 s[36:43], s[24:25], 0x4
	s_load_b128 s[52:55], s[24:25], 0x24
	s_load_b256 s[44:51], s[20:21], 0x0
	s_add_co_i32 s0, s0, 4
	s_wait_xcnt 0x0
	s_add_nc_u64 s[24:25], s[24:25], 48
	s_cmp_eq_u32 s22, s0
	s_add_nc_u64 s[20:21], s[20:21], 32
	s_wait_kmcnt 0x0
	v_mul_hi_u32 v4, s37, v1
	s_delay_alu instid0(VALU_DEP_1) | instskip(NEXT) | instid1(VALU_DEP_1)
	v_add_nc_u32_e32 v4, v1, v4
	v_lshrrev_b32_e32 v4, s38, v4
	s_delay_alu instid0(VALU_DEP_1) | instskip(NEXT) | instid1(VALU_DEP_1)
	v_mul_hi_u32 v5, s40, v4
	v_add_nc_u32_e32 v5, v4, v5
	s_delay_alu instid0(VALU_DEP_1) | instskip(NEXT) | instid1(VALU_DEP_1)
	v_lshrrev_b32_e32 v5, s41, v5
	v_mul_hi_u32 v6, s43, v5
	s_delay_alu instid0(VALU_DEP_1) | instskip(SKIP_1) | instid1(VALU_DEP_1)
	v_add_nc_u32_e32 v6, v5, v6
	v_mul_lo_u32 v7, v4, s36
	v_sub_nc_u32_e32 v1, v1, v7
	v_mul_lo_u32 v7, v5, s39
	s_delay_alu instid0(VALU_DEP_4) | instskip(NEXT) | instid1(VALU_DEP_3)
	v_lshrrev_b32_e32 v6, s52, v6
	v_mad_u32 v3, v1, s45, v3
	v_mad_u32 v1, v1, s44, v2
	s_delay_alu instid0(VALU_DEP_4) | instskip(NEXT) | instid1(VALU_DEP_4)
	v_sub_nc_u32_e32 v2, v4, v7
	v_mul_hi_u32 v8, s54, v6
	v_mul_lo_u32 v4, v6, s42
	s_delay_alu instid0(VALU_DEP_3) | instskip(SKIP_1) | instid1(VALU_DEP_4)
	v_mad_u32 v3, v2, s47, v3
	v_mad_u32 v2, v2, s46, v1
	v_add_nc_u32_e32 v7, v6, v8
	s_delay_alu instid0(VALU_DEP_1) | instskip(NEXT) | instid1(VALU_DEP_1)
	v_dual_sub_nc_u32 v4, v5, v4 :: v_dual_lshrrev_b32 v1, s55, v7
	v_mad_u32 v3, v4, s49, v3
	s_delay_alu instid0(VALU_DEP_4) | instskip(NEXT) | instid1(VALU_DEP_3)
	v_mad_u32 v2, v4, s48, v2
	v_mul_lo_u32 v5, v1, s53
	s_delay_alu instid0(VALU_DEP_1) | instskip(NEXT) | instid1(VALU_DEP_1)
	v_sub_nc_u32_e32 v4, v6, v5
	v_mad_u32 v3, v4, s51, v3
	s_delay_alu instid0(VALU_DEP_4)
	v_mad_u32 v2, v4, s50, v2
	s_cbranch_scc0 .LBB17_198
	s_branch .LBB17_202
.LBB17_199:
                                        ; implicit-def: $vgpr3
	s_branch .LBB17_206
.LBB17_200:
	v_dual_mov_b32 v3, 0 :: v_dual_mov_b32 v2, 0
	s_branch .LBB17_205
.LBB17_201:
	v_mov_b64_e32 v[2:3], 0
	v_mov_b32_e32 v1, v0
	s_mov_b32 s22, 0
.LBB17_202:
	s_and_b32 s0, s35, 3
	s_mov_b32 s23, 0
	s_cmp_eq_u32 s0, 0
	s_cbranch_scc1 .LBB17_205
; %bb.203:
	s_lshl_b32 s20, s22, 3
	s_mov_b32 s21, s23
	s_mul_u64 s[22:23], s[22:23], 12
	s_add_nc_u64 s[20:21], s[2:3], s[20:21]
	s_add_nc_u64 s[22:23], s[2:3], s[22:23]
	;; [unrolled: 1-line block ×3, first 2 shown]
.LBB17_204:                             ; =>This Inner Loop Header: Depth=1
	s_load_b96 s[24:26], s[22:23], 0x4
	s_add_co_i32 s0, s0, -1
	s_wait_xcnt 0x0
	s_add_nc_u64 s[22:23], s[22:23], 12
	s_cmp_lg_u32 s0, 0
	s_wait_kmcnt 0x0
	v_mul_hi_u32 v4, s25, v1
	s_delay_alu instid0(VALU_DEP_1) | instskip(NEXT) | instid1(VALU_DEP_1)
	v_add_nc_u32_e32 v4, v1, v4
	v_lshrrev_b32_e32 v4, s26, v4
	s_load_b64 s[26:27], s[20:21], 0x0
	s_wait_xcnt 0x0
	s_add_nc_u64 s[20:21], s[20:21], 8
	s_delay_alu instid0(VALU_DEP_1) | instskip(NEXT) | instid1(VALU_DEP_1)
	v_mul_lo_u32 v5, v4, s24
	v_sub_nc_u32_e32 v1, v1, v5
	s_wait_kmcnt 0x0
	s_delay_alu instid0(VALU_DEP_1)
	v_mad_u32 v3, v1, s27, v3
	v_mad_u32 v2, v1, s26, v2
	v_mov_b32_e32 v1, v4
	s_cbranch_scc1 .LBB17_204
.LBB17_205:
	s_cbranch_execnz .LBB17_208
.LBB17_206:
	v_mov_b32_e32 v1, 0
	s_and_not1_b32 vcc_lo, exec_lo, s33
	s_delay_alu instid0(VALU_DEP_1) | instskip(NEXT) | instid1(VALU_DEP_1)
	v_mul_u64_e32 v[2:3], s[16:17], v[0:1]
	v_add_nc_u32_e32 v2, v0, v3
	s_delay_alu instid0(VALU_DEP_1) | instskip(NEXT) | instid1(VALU_DEP_1)
	v_lshrrev_b32_e32 v4, s10, v2
	v_mul_lo_u32 v2, v4, s8
	s_delay_alu instid0(VALU_DEP_1) | instskip(NEXT) | instid1(VALU_DEP_1)
	v_sub_nc_u32_e32 v0, v0, v2
	v_mul_lo_u32 v3, v0, s13
	v_mul_lo_u32 v2, v0, s12
	s_cbranch_vccnz .LBB17_208
; %bb.207:
	v_mov_b32_e32 v5, v1
	s_delay_alu instid0(VALU_DEP_1) | instskip(NEXT) | instid1(VALU_DEP_1)
	v_mul_u64_e32 v[0:1], s[18:19], v[4:5]
	v_add_nc_u32_e32 v0, v4, v1
	s_delay_alu instid0(VALU_DEP_1) | instskip(NEXT) | instid1(VALU_DEP_1)
	v_lshrrev_b32_e32 v0, s1, v0
	v_mul_lo_u32 v0, v0, s11
	s_delay_alu instid0(VALU_DEP_1) | instskip(NEXT) | instid1(VALU_DEP_1)
	v_sub_nc_u32_e32 v0, v4, v0
	v_mad_u32 v2, v0, s14, v2
	v_mad_u32 v3, v0, s15, v3
.LBB17_208:
	global_load_b32 v0, v3, s[6:7]
	s_mov_b32 s1, exec_lo
                                        ; implicit-def: $vgpr3
	s_wait_loadcnt 0x0
	v_mul_f32_e64 v1, 0x3fb8aa3b, |v0|
	s_wait_xcnt 0x0
	v_cmpx_ge_f32_e64 0x41000000, |v0|
	s_xor_b32 s1, exec_lo, s1
	s_cbranch_execz .LBB17_214
; %bb.209:
	v_fma_f32 v3, |v0|, 0.5, -2.0
	s_mov_b32 s0, 0x224cf950
	v_rndne_f32_e32 v6, v1
	v_fma_f32 v7, 0x3fb8aa3b, |v0|, -v1
	v_cmp_ngt_f32_e64 vcc_lo, 0xc2ce8ed0, |v0|
	v_fmaak_f32 v4, s0, v3, 0xa3c2be86
	v_cmp_nlt_f32_e64 s0, 0x42b17218, |v0|
	v_sub_f32_e32 v1, v1, v6
	v_fma_f32 v7, 0x32a5705f, |v0|, v7
	s_delay_alu instid0(VALU_DEP_4) | instskip(NEXT) | instid1(VALU_DEP_2)
	v_fmaak_f32 v5, v3, v4, 0xa24cf950
	v_add_f32_e32 v1, v1, v7
	s_delay_alu instid0(VALU_DEP_2) | instskip(NEXT) | instid1(VALU_DEP_2)
	v_add_f32_e32 v5, 0x25331f1f, v5
	v_exp_f32_e32 v1, v1
	s_delay_alu instid0(VALU_DEP_1) | instskip(NEXT) | instid1(VALU_DEP_1)
	v_fma_f32 v4, v3, v5, -v4
	v_add_f32_e32 v4, 0xa69f5554, v4
	s_delay_alu instid0(VALU_DEP_1) | instskip(NEXT) | instid1(VALU_DEP_1)
	v_fma_f32 v5, v3, v4, -v5
	v_add_f32_e32 v5, 0x2808ebf8, v5
	;; [unrolled: 3-line block ×25, first 2 shown]
	s_delay_alu instid0(VALU_DEP_1) | instskip(SKIP_1) | instid1(VALU_DEP_2)
	v_fma_f32 v3, v3, v4, -v5
	v_cvt_i32_f32_e32 v4, v6
	v_add_f32_e32 v3, 0x3e81531c, v3
	s_delay_alu instid0(VALU_DEP_2) | instskip(NEXT) | instid1(VALU_DEP_2)
	v_ldexp_f32 v1, v1, v4
	v_sub_f32_e32 v3, v3, v5
	s_delay_alu instid0(VALU_DEP_2) | instskip(SKIP_1) | instid1(VALU_DEP_3)
	v_cndmask_b32_e32 v4, 0, v1, vcc_lo
	v_cmp_ngt_f32_e32 vcc_lo, 0, v0
	v_mul_f32_e32 v3, 0.5, v3
	s_delay_alu instid0(VALU_DEP_1) | instskip(NEXT) | instid1(VALU_DEP_4)
	v_mul_f32_e64 v1, |v0|, v3
	v_cndmask_b32_e64 v0, 0x7f800000, v4, s0
                                        ; implicit-def: $vgpr3
	s_and_saveexec_b32 s0, vcc_lo
	s_delay_alu instid0(SALU_CYCLE_1)
	s_xor_b32 s0, exec_lo, s0
; %bb.210:
	s_delay_alu instid0(VALU_DEP_1)
	v_mul_f32_e32 v3, v0, v1
                                        ; implicit-def: $vgpr0
                                        ; implicit-def: $vgpr1
; %bb.211:
	s_and_not1_saveexec_b32 s0, s0
; %bb.212:
	v_mul_f32_e64 v3, v1, -v0
; %bb.213:
	s_or_b32 exec_lo, exec_lo, s0
                                        ; implicit-def: $vgpr0
                                        ; implicit-def: $vgpr1
.LBB17_214:
	s_and_not1_saveexec_b32 s1, s1
	s_cbranch_execz .LBB17_220
; %bb.215:
	v_and_b32_e32 v3, 0x7fffffff, v0
	s_mov_b32 s0, 0x230aab6e
	s_delay_alu instid0(VALU_DEP_1) | instskip(SKIP_1) | instid1(VALU_DEP_2)
	v_div_scale_f32 v4, null, v3, v3, 0x42000000
	v_div_scale_f32 v3, vcc_lo, 0x42000000, v3, 0x42000000
	v_rcp_f32_e32 v5, v4
	v_nop
	s_delay_alu instid0(TRANS32_DEP_1) | instskip(NEXT) | instid1(VALU_DEP_1)
	v_fma_f32 v6, -v4, v5, 1.0
	v_fmac_f32_e32 v5, v6, v5
	s_delay_alu instid0(VALU_DEP_1) | instskip(NEXT) | instid1(VALU_DEP_1)
	v_mul_f32_e32 v6, v3, v5
	v_fma_f32 v7, -v4, v6, v3
	s_delay_alu instid0(VALU_DEP_1) | instskip(SKIP_1) | instid1(VALU_DEP_2)
	v_fmac_f32_e32 v6, v7, v5
	v_fma_f32 v7, 0x3fb8aa3b, |v0|, -v1
	v_fma_f32 v3, -v4, v6, v3
	s_delay_alu instid0(VALU_DEP_2) | instskip(NEXT) | instid1(VALU_DEP_2)
	v_fma_f32 v7, 0x32a5705f, |v0|, v7
	v_div_fmas_f32 v3, v3, v5, v6
	v_rndne_f32_e32 v6, v1
	v_cmp_ngt_f32_e64 vcc_lo, 0xc2ce8ed0, |v0|
	s_delay_alu instid0(VALU_DEP_3) | instskip(NEXT) | instid1(VALU_DEP_3)
	v_div_fixup_f32 v3, v3, |v0|, 0x42000000
	v_sub_f32_e32 v1, v1, v6
	v_cvt_i32_f32_e32 v6, v6
	s_delay_alu instid0(VALU_DEP_3) | instskip(NEXT) | instid1(VALU_DEP_3)
	v_add_f32_e32 v3, -2.0, v3
	v_add_f32_e32 v1, v1, v7
	s_delay_alu instid0(VALU_DEP_2) | instskip(SKIP_1) | instid1(VALU_DEP_3)
	v_fmaak_f32 v4, s0, v3, 0x22a2dc57
	v_cmp_nlt_f32_e64 s0, 0x42b17218, |v0|
	v_exp_f32_e32 v1, v1
	s_delay_alu instid0(VALU_DEP_2) | instskip(NEXT) | instid1(TRANS32_DEP_1)
	v_fmaak_f32 v5, v3, v4, 0xa30aab6e
	v_ldexp_f32 v1, v1, v6
	s_delay_alu instid0(VALU_DEP_2) | instskip(NEXT) | instid1(VALU_DEP_2)
	v_add_f32_e32 v5, 0xa456751e, v5
	v_cndmask_b32_e32 v1, 0, v1, vcc_lo
	s_delay_alu instid0(VALU_DEP_2) | instskip(NEXT) | instid1(VALU_DEP_2)
	v_fma_f32 v4, v3, v5, -v4
	v_cndmask_b32_e64 v1, 0x7f800000, v1, s0
	s_delay_alu instid0(VALU_DEP_2) | instskip(SKIP_1) | instid1(VALU_DEP_1)
	v_add_f32_e32 v4, 0xa4140365, v4
	s_mov_b32 s0, exec_lo
	v_fma_f32 v5, v3, v4, -v5
	s_delay_alu instid0(VALU_DEP_1) | instskip(NEXT) | instid1(VALU_DEP_1)
	v_add_f32_e32 v5, 0x25aac8b0, v5
	v_fma_f32 v4, v3, v5, -v4
	s_delay_alu instid0(VALU_DEP_1) | instskip(NEXT) | instid1(VALU_DEP_1)
	v_add_f32_e32 v4, 0x25beb473, v4
	;; [unrolled: 3-line block ×21, first 2 shown]
	v_sub_f32_e32 v4, v3, v5
                                        ; implicit-def: $vgpr3
	v_cmpx_ngt_f32_e32 0, v0
	s_xor_b32 s6, exec_lo, s0
	s_cbranch_execz .LBB17_217
; %bb.216:
	v_mul_f32_e64 v3, 0x4f800000, |v0|
	v_cmp_gt_f32_e64 vcc_lo, 0xf800000, |v0|
	v_mul_f32_e32 v4, 0.5, v4
	s_delay_alu instid0(VALU_DEP_2) | instskip(NEXT) | instid1(VALU_DEP_2)
	v_cndmask_b32_e64 v0, |v0|, v3, vcc_lo
	v_mul_f32_e32 v1, v1, v4
	s_delay_alu instid0(VALU_DEP_2) | instskip(SKIP_1) | instid1(TRANS32_DEP_1)
	v_sqrt_f32_e32 v3, v0
	v_nop
	v_dual_add_nc_u32 v5, -1, v3 :: v_dual_add_nc_u32 v6, 1, v3
	s_delay_alu instid0(VALU_DEP_1) | instskip(NEXT) | instid1(VALU_DEP_1)
	v_dual_fma_f32 v7, -v5, v3, v0 :: v_dual_fma_f32 v8, -v6, v3, v0
	v_cmp_ge_f32_e64 s0, 0, v7
	s_delay_alu instid0(VALU_DEP_1) | instskip(NEXT) | instid1(VALU_DEP_3)
	v_cndmask_b32_e64 v3, v3, v5, s0
	v_cmp_lt_f32_e64 s0, 0, v8
	s_delay_alu instid0(VALU_DEP_1) | instskip(NEXT) | instid1(VALU_DEP_1)
	v_cndmask_b32_e64 v3, v3, v6, s0
	v_mul_f32_e32 v5, 0x37800000, v3
	s_delay_alu instid0(VALU_DEP_1) | instskip(SKIP_1) | instid1(VALU_DEP_2)
	v_cndmask_b32_e32 v3, v3, v5, vcc_lo
	v_cmp_class_f32_e64 vcc_lo, v0, 0x260
	v_cndmask_b32_e32 v0, v3, v0, vcc_lo
	s_delay_alu instid0(VALU_DEP_1) | instskip(NEXT) | instid1(VALU_DEP_1)
	v_div_scale_f32 v3, null, v0, v0, v1
	v_rcp_f32_e32 v4, v3
	v_nop
	s_delay_alu instid0(TRANS32_DEP_1) | instskip(NEXT) | instid1(VALU_DEP_1)
	v_fma_f32 v5, -v3, v4, 1.0
	v_fmac_f32_e32 v4, v5, v4
	v_div_scale_f32 v5, vcc_lo, v1, v0, v1
	s_delay_alu instid0(VALU_DEP_1) | instskip(NEXT) | instid1(VALU_DEP_1)
	v_mul_f32_e32 v6, v5, v4
	v_fma_f32 v7, -v3, v6, v5
	s_delay_alu instid0(VALU_DEP_1) | instskip(NEXT) | instid1(VALU_DEP_1)
	v_fmac_f32_e32 v6, v7, v4
	v_fma_f32 v3, -v3, v6, v5
	s_delay_alu instid0(VALU_DEP_1) | instskip(NEXT) | instid1(VALU_DEP_1)
	v_div_fmas_f32 v3, v3, v4, v6
                                        ; implicit-def: $vgpr4
	v_div_fixup_f32 v3, v3, v0, v1
                                        ; implicit-def: $vgpr0
                                        ; implicit-def: $vgpr1
.LBB17_217:
	s_and_not1_saveexec_b32 s6, s6
	s_cbranch_execz .LBB17_219
; %bb.218:
	v_mul_f32_e64 v3, 0x4f800000, |v0|
	v_cmp_gt_f32_e64 vcc_lo, 0xf800000, |v0|
	v_mul_f32_e32 v4, -0.5, v4
	s_delay_alu instid0(VALU_DEP_2) | instskip(NEXT) | instid1(VALU_DEP_2)
	v_cndmask_b32_e64 v0, |v0|, v3, vcc_lo
	v_mul_f32_e32 v1, v1, v4
	s_delay_alu instid0(VALU_DEP_2) | instskip(SKIP_1) | instid1(TRANS32_DEP_1)
	v_sqrt_f32_e32 v3, v0
	v_nop
	v_dual_add_nc_u32 v5, -1, v3 :: v_dual_add_nc_u32 v6, 1, v3
	s_delay_alu instid0(VALU_DEP_1) | instskip(NEXT) | instid1(VALU_DEP_1)
	v_dual_fma_f32 v7, -v5, v3, v0 :: v_dual_fma_f32 v8, -v6, v3, v0
	v_cmp_ge_f32_e64 s0, 0, v7
	s_delay_alu instid0(VALU_DEP_1) | instskip(NEXT) | instid1(VALU_DEP_3)
	v_cndmask_b32_e64 v3, v3, v5, s0
	v_cmp_lt_f32_e64 s0, 0, v8
	s_delay_alu instid0(VALU_DEP_1) | instskip(NEXT) | instid1(VALU_DEP_1)
	v_cndmask_b32_e64 v3, v3, v6, s0
	v_mul_f32_e32 v5, 0x37800000, v3
	s_delay_alu instid0(VALU_DEP_1) | instskip(SKIP_1) | instid1(VALU_DEP_2)
	v_cndmask_b32_e32 v3, v3, v5, vcc_lo
	v_cmp_class_f32_e64 vcc_lo, v0, 0x260
	v_cndmask_b32_e32 v0, v3, v0, vcc_lo
	s_delay_alu instid0(VALU_DEP_1) | instskip(NEXT) | instid1(VALU_DEP_1)
	v_div_scale_f32 v3, null, v0, v0, v1
	v_rcp_f32_e32 v4, v3
	v_nop
	s_delay_alu instid0(TRANS32_DEP_1) | instskip(NEXT) | instid1(VALU_DEP_1)
	v_fma_f32 v5, -v3, v4, 1.0
	v_fmac_f32_e32 v4, v5, v4
	v_div_scale_f32 v5, vcc_lo, v1, v0, v1
	s_delay_alu instid0(VALU_DEP_1) | instskip(NEXT) | instid1(VALU_DEP_1)
	v_mul_f32_e32 v6, v5, v4
	v_fma_f32 v7, -v3, v6, v5
	s_delay_alu instid0(VALU_DEP_1) | instskip(NEXT) | instid1(VALU_DEP_1)
	v_fmac_f32_e32 v6, v7, v4
	v_fma_f32 v3, -v3, v6, v5
	s_delay_alu instid0(VALU_DEP_1) | instskip(NEXT) | instid1(VALU_DEP_1)
	v_div_fmas_f32 v3, v3, v4, v6
	v_div_fixup_f32 v3, v3, v0, v1
.LBB17_219:
	s_or_b32 exec_lo, exec_lo, s6
.LBB17_220:
	s_delay_alu instid0(SALU_CYCLE_1)
	s_or_b32 exec_lo, exec_lo, s1
	global_store_b32 v2, v3, s[4:5]
	s_wait_xcnt 0x0
	s_or_b32 exec_lo, exec_lo, s9
                                        ; implicit-def: $vgpr8
                                        ; implicit-def: $vgpr0
	s_and_not1_saveexec_b32 s0, s31
	s_cbranch_execz .LBB17_173
	s_branch .LBB17_8
	.section	.rodata,"a",@progbits
	.p2align	6, 0x0
	.amdhsa_kernel _ZN2at6native32elementwise_kernel_manual_unrollILi128ELi4EZNS0_22gpu_kernel_impl_nocastIZZZNS0_12_GLOBAL__N_130modified_bessel_i1_kernel_cudaERNS_18TensorIteratorBaseEENKUlvE_clEvENKUlvE0_clEvEUlfE_EEvS5_RKT_EUlibE_EEviT1_
		.amdhsa_group_segment_fixed_size 0
		.amdhsa_private_segment_fixed_size 0
		.amdhsa_kernarg_size 360
		.amdhsa_user_sgpr_count 2
		.amdhsa_user_sgpr_dispatch_ptr 0
		.amdhsa_user_sgpr_queue_ptr 0
		.amdhsa_user_sgpr_kernarg_segment_ptr 1
		.amdhsa_user_sgpr_dispatch_id 0
		.amdhsa_user_sgpr_kernarg_preload_length 0
		.amdhsa_user_sgpr_kernarg_preload_offset 0
		.amdhsa_user_sgpr_private_segment_size 0
		.amdhsa_wavefront_size32 1
		.amdhsa_uses_dynamic_stack 0
		.amdhsa_enable_private_segment 0
		.amdhsa_system_sgpr_workgroup_id_x 1
		.amdhsa_system_sgpr_workgroup_id_y 0
		.amdhsa_system_sgpr_workgroup_id_z 0
		.amdhsa_system_sgpr_workgroup_info 0
		.amdhsa_system_vgpr_workitem_id 0
		.amdhsa_next_free_vgpr 15
		.amdhsa_next_free_sgpr 60
		.amdhsa_named_barrier_count 0
		.amdhsa_reserve_vcc 1
		.amdhsa_float_round_mode_32 0
		.amdhsa_float_round_mode_16_64 0
		.amdhsa_float_denorm_mode_32 3
		.amdhsa_float_denorm_mode_16_64 3
		.amdhsa_fp16_overflow 0
		.amdhsa_memory_ordered 1
		.amdhsa_forward_progress 1
		.amdhsa_inst_pref_size 176
		.amdhsa_round_robin_scheduling 0
		.amdhsa_exception_fp_ieee_invalid_op 0
		.amdhsa_exception_fp_denorm_src 0
		.amdhsa_exception_fp_ieee_div_zero 0
		.amdhsa_exception_fp_ieee_overflow 0
		.amdhsa_exception_fp_ieee_underflow 0
		.amdhsa_exception_fp_ieee_inexact 0
		.amdhsa_exception_int_div_zero 0
	.end_amdhsa_kernel
	.section	.text._ZN2at6native32elementwise_kernel_manual_unrollILi128ELi4EZNS0_22gpu_kernel_impl_nocastIZZZNS0_12_GLOBAL__N_130modified_bessel_i1_kernel_cudaERNS_18TensorIteratorBaseEENKUlvE_clEvENKUlvE0_clEvEUlfE_EEvS5_RKT_EUlibE_EEviT1_,"axG",@progbits,_ZN2at6native32elementwise_kernel_manual_unrollILi128ELi4EZNS0_22gpu_kernel_impl_nocastIZZZNS0_12_GLOBAL__N_130modified_bessel_i1_kernel_cudaERNS_18TensorIteratorBaseEENKUlvE_clEvENKUlvE0_clEvEUlfE_EEvS5_RKT_EUlibE_EEviT1_,comdat
.Lfunc_end17:
	.size	_ZN2at6native32elementwise_kernel_manual_unrollILi128ELi4EZNS0_22gpu_kernel_impl_nocastIZZZNS0_12_GLOBAL__N_130modified_bessel_i1_kernel_cudaERNS_18TensorIteratorBaseEENKUlvE_clEvENKUlvE0_clEvEUlfE_EEvS5_RKT_EUlibE_EEviT1_, .Lfunc_end17-_ZN2at6native32elementwise_kernel_manual_unrollILi128ELi4EZNS0_22gpu_kernel_impl_nocastIZZZNS0_12_GLOBAL__N_130modified_bessel_i1_kernel_cudaERNS_18TensorIteratorBaseEENKUlvE_clEvENKUlvE0_clEvEUlfE_EEvS5_RKT_EUlibE_EEviT1_
                                        ; -- End function
	.set _ZN2at6native32elementwise_kernel_manual_unrollILi128ELi4EZNS0_22gpu_kernel_impl_nocastIZZZNS0_12_GLOBAL__N_130modified_bessel_i1_kernel_cudaERNS_18TensorIteratorBaseEENKUlvE_clEvENKUlvE0_clEvEUlfE_EEvS5_RKT_EUlibE_EEviT1_.num_vgpr, 15
	.set _ZN2at6native32elementwise_kernel_manual_unrollILi128ELi4EZNS0_22gpu_kernel_impl_nocastIZZZNS0_12_GLOBAL__N_130modified_bessel_i1_kernel_cudaERNS_18TensorIteratorBaseEENKUlvE_clEvENKUlvE0_clEvEUlfE_EEvS5_RKT_EUlibE_EEviT1_.num_agpr, 0
	.set _ZN2at6native32elementwise_kernel_manual_unrollILi128ELi4EZNS0_22gpu_kernel_impl_nocastIZZZNS0_12_GLOBAL__N_130modified_bessel_i1_kernel_cudaERNS_18TensorIteratorBaseEENKUlvE_clEvENKUlvE0_clEvEUlfE_EEvS5_RKT_EUlibE_EEviT1_.numbered_sgpr, 60
	.set _ZN2at6native32elementwise_kernel_manual_unrollILi128ELi4EZNS0_22gpu_kernel_impl_nocastIZZZNS0_12_GLOBAL__N_130modified_bessel_i1_kernel_cudaERNS_18TensorIteratorBaseEENKUlvE_clEvENKUlvE0_clEvEUlfE_EEvS5_RKT_EUlibE_EEviT1_.num_named_barrier, 0
	.set _ZN2at6native32elementwise_kernel_manual_unrollILi128ELi4EZNS0_22gpu_kernel_impl_nocastIZZZNS0_12_GLOBAL__N_130modified_bessel_i1_kernel_cudaERNS_18TensorIteratorBaseEENKUlvE_clEvENKUlvE0_clEvEUlfE_EEvS5_RKT_EUlibE_EEviT1_.private_seg_size, 0
	.set _ZN2at6native32elementwise_kernel_manual_unrollILi128ELi4EZNS0_22gpu_kernel_impl_nocastIZZZNS0_12_GLOBAL__N_130modified_bessel_i1_kernel_cudaERNS_18TensorIteratorBaseEENKUlvE_clEvENKUlvE0_clEvEUlfE_EEvS5_RKT_EUlibE_EEviT1_.uses_vcc, 1
	.set _ZN2at6native32elementwise_kernel_manual_unrollILi128ELi4EZNS0_22gpu_kernel_impl_nocastIZZZNS0_12_GLOBAL__N_130modified_bessel_i1_kernel_cudaERNS_18TensorIteratorBaseEENKUlvE_clEvENKUlvE0_clEvEUlfE_EEvS5_RKT_EUlibE_EEviT1_.uses_flat_scratch, 0
	.set _ZN2at6native32elementwise_kernel_manual_unrollILi128ELi4EZNS0_22gpu_kernel_impl_nocastIZZZNS0_12_GLOBAL__N_130modified_bessel_i1_kernel_cudaERNS_18TensorIteratorBaseEENKUlvE_clEvENKUlvE0_clEvEUlfE_EEvS5_RKT_EUlibE_EEviT1_.has_dyn_sized_stack, 0
	.set _ZN2at6native32elementwise_kernel_manual_unrollILi128ELi4EZNS0_22gpu_kernel_impl_nocastIZZZNS0_12_GLOBAL__N_130modified_bessel_i1_kernel_cudaERNS_18TensorIteratorBaseEENKUlvE_clEvENKUlvE0_clEvEUlfE_EEvS5_RKT_EUlibE_EEviT1_.has_recursion, 0
	.set _ZN2at6native32elementwise_kernel_manual_unrollILi128ELi4EZNS0_22gpu_kernel_impl_nocastIZZZNS0_12_GLOBAL__N_130modified_bessel_i1_kernel_cudaERNS_18TensorIteratorBaseEENKUlvE_clEvENKUlvE0_clEvEUlfE_EEvS5_RKT_EUlibE_EEviT1_.has_indirect_call, 0
	.section	.AMDGPU.csdata,"",@progbits
; Kernel info:
; codeLenInByte = 22440
; TotalNumSgprs: 62
; NumVgprs: 15
; ScratchSize: 0
; MemoryBound: 0
; FloatMode: 240
; IeeeMode: 1
; LDSByteSize: 0 bytes/workgroup (compile time only)
; SGPRBlocks: 0
; VGPRBlocks: 0
; NumSGPRsForWavesPerEU: 62
; NumVGPRsForWavesPerEU: 15
; NamedBarCnt: 0
; Occupancy: 16
; WaveLimiterHint : 1
; COMPUTE_PGM_RSRC2:SCRATCH_EN: 0
; COMPUTE_PGM_RSRC2:USER_SGPR: 2
; COMPUTE_PGM_RSRC2:TRAP_HANDLER: 0
; COMPUTE_PGM_RSRC2:TGID_X_EN: 1
; COMPUTE_PGM_RSRC2:TGID_Y_EN: 0
; COMPUTE_PGM_RSRC2:TGID_Z_EN: 0
; COMPUTE_PGM_RSRC2:TIDIG_COMP_CNT: 0
	.section	.text._ZN2at6native32elementwise_kernel_manual_unrollILi128ELi4EZNS0_15gpu_kernel_implIZZZNS0_12_GLOBAL__N_130modified_bessel_i1_kernel_cudaERNS_18TensorIteratorBaseEENKUlvE_clEvENKUlvE0_clEvEUlfE_EEvS5_RKT_EUlibE_EEviT1_,"axG",@progbits,_ZN2at6native32elementwise_kernel_manual_unrollILi128ELi4EZNS0_15gpu_kernel_implIZZZNS0_12_GLOBAL__N_130modified_bessel_i1_kernel_cudaERNS_18TensorIteratorBaseEENKUlvE_clEvENKUlvE0_clEvEUlfE_EEvS5_RKT_EUlibE_EEviT1_,comdat
	.globl	_ZN2at6native32elementwise_kernel_manual_unrollILi128ELi4EZNS0_15gpu_kernel_implIZZZNS0_12_GLOBAL__N_130modified_bessel_i1_kernel_cudaERNS_18TensorIteratorBaseEENKUlvE_clEvENKUlvE0_clEvEUlfE_EEvS5_RKT_EUlibE_EEviT1_ ; -- Begin function _ZN2at6native32elementwise_kernel_manual_unrollILi128ELi4EZNS0_15gpu_kernel_implIZZZNS0_12_GLOBAL__N_130modified_bessel_i1_kernel_cudaERNS_18TensorIteratorBaseEENKUlvE_clEvENKUlvE0_clEvEUlfE_EEvS5_RKT_EUlibE_EEviT1_
	.p2align	8
	.type	_ZN2at6native32elementwise_kernel_manual_unrollILi128ELi4EZNS0_15gpu_kernel_implIZZZNS0_12_GLOBAL__N_130modified_bessel_i1_kernel_cudaERNS_18TensorIteratorBaseEENKUlvE_clEvENKUlvE0_clEvEUlfE_EEvS5_RKT_EUlibE_EEviT1_,@function
_ZN2at6native32elementwise_kernel_manual_unrollILi128ELi4EZNS0_15gpu_kernel_implIZZZNS0_12_GLOBAL__N_130modified_bessel_i1_kernel_cudaERNS_18TensorIteratorBaseEENKUlvE_clEvENKUlvE0_clEvEUlfE_EEvS5_RKT_EUlibE_EEviT1_: ; @_ZN2at6native32elementwise_kernel_manual_unrollILi128ELi4EZNS0_15gpu_kernel_implIZZZNS0_12_GLOBAL__N_130modified_bessel_i1_kernel_cudaERNS_18TensorIteratorBaseEENKUlvE_clEvENKUlvE0_clEvEUlfE_EEvS5_RKT_EUlibE_EEviT1_
; %bb.0:
	v_mov_b32_e32 v1, 0
	s_bfe_u32 s9, ttmp6, 0x4000c
	s_clause 0x1
	s_load_b32 s12, s[0:1], 0x0
	s_load_b128 s[4:7], s[0:1], 0x8
	s_add_co_i32 s9, s9, 1
	s_and_b32 s10, ttmp6, 15
	global_load_u16 v1, v1, s[0:1] offset:33
	s_load_b64 s[2:3], s[0:1], 0x18
	s_wait_xcnt 0x0
	s_mul_i32 s1, ttmp9, s9
	s_getreg_b32 s11, hwreg(HW_REG_IB_STS2, 6, 4)
	s_add_co_i32 s10, s10, s1
	s_mov_b32 s1, 0
	s_wait_loadcnt 0x0
	v_readfirstlane_b32 s8, v1
	s_and_b32 s0, 0xffff, s8
	s_delay_alu instid0(SALU_CYCLE_1) | instskip(SKIP_3) | instid1(SALU_CYCLE_1)
	s_lshr_b32 s9, s0, 8
	s_cmp_eq_u32 s11, 0
	s_mov_b32 s11, 0
	s_cselect_b32 s0, ttmp9, s10
	v_lshl_or_b32 v8, s0, 9, v0
	s_mov_b32 s0, exec_lo
	s_delay_alu instid0(VALU_DEP_1) | instskip(SKIP_1) | instid1(VALU_DEP_1)
	v_or_b32_e32 v0, 0x180, v8
	s_wait_kmcnt 0x0
	v_cmpx_le_i32_e64 s12, v0
	s_xor_b32 s10, exec_lo, s0
	s_cbranch_execz .LBB18_1079
; %bb.1:
	s_mov_b32 s17, -1
	s_mov_b32 s15, 0
	s_mov_b32 s13, 0
	s_mov_b32 s14, exec_lo
	v_cmpx_gt_i32_e64 s12, v8
	s_cbranch_execz .LBB18_264
; %bb.2:
	v_mul_lo_u32 v0, v8, s3
	s_and_b32 s0, 0xffff, s9
	s_delay_alu instid0(SALU_CYCLE_1) | instskip(NEXT) | instid1(VALU_DEP_1)
	s_cmp_lt_i32 s0, 11
	v_ashrrev_i32_e32 v1, 31, v0
	s_delay_alu instid0(VALU_DEP_1)
	v_add_nc_u64_e32 v[0:1], s[6:7], v[0:1]
	s_cbranch_scc1 .LBB18_9
; %bb.3:
	s_cmp_gt_i32 s0, 25
	s_cbranch_scc0 .LBB18_30
; %bb.4:
	s_cmp_gt_i32 s0, 28
	s_cbranch_scc0 .LBB18_33
	;; [unrolled: 3-line block ×4, first 2 shown]
; %bb.7:
	s_cmp_eq_u32 s0, 46
	s_mov_b32 s16, 0
	s_cbranch_scc0 .LBB18_39
; %bb.8:
	global_load_b32 v2, v[0:1], off
	s_mov_b32 s11, -1
	s_wait_loadcnt 0x0
	v_lshlrev_b32_e32 v2, 16, v2
	s_branch .LBB18_41
.LBB18_9:
                                        ; implicit-def: $vgpr2
	s_cbranch_execnz .LBB18_214
.LBB18_10:
	s_and_not1_b32 vcc_lo, exec_lo, s11
	s_cbranch_vccnz .LBB18_261
.LBB18_11:
	s_wait_loadcnt 0x0
	s_delay_alu instid0(VALU_DEP_1)
	v_mul_f32_e64 v1, 0x3fb8aa3b, |v2|
	s_mov_b32 s11, exec_lo
                                        ; implicit-def: $vgpr0
	v_cmpx_ge_f32_e64 0x41000000, |v2|
	s_xor_b32 s11, exec_lo, s11
	s_cbranch_execz .LBB18_17
; %bb.12:
	v_fma_f32 v0, |v2|, 0.5, -2.0
	s_mov_b32 s0, 0x224cf950
	v_rndne_f32_e32 v5, v1
	v_fma_f32 v6, 0x3fb8aa3b, |v2|, -v1
	v_cmp_ngt_f32_e64 vcc_lo, 0xc2ce8ed0, |v2|
	v_fmaak_f32 v3, s0, v0, 0xa3c2be86
	v_cmp_nlt_f32_e64 s0, 0x42b17218, |v2|
	v_sub_f32_e32 v1, v1, v5
	v_fma_f32 v6, 0x32a5705f, |v2|, v6
	s_delay_alu instid0(VALU_DEP_1) | instskip(NEXT) | instid1(VALU_DEP_1)
	v_dual_fmaak_f32 v4, v0, v3, 0xa24cf950 :: v_dual_add_f32 v1, v1, v6
	v_add_f32_e32 v4, 0x25331f1f, v4
	s_delay_alu instid0(VALU_DEP_2) | instskip(NEXT) | instid1(VALU_DEP_1)
	v_exp_f32_e32 v1, v1
	v_fma_f32 v3, v0, v4, -v3
	s_delay_alu instid0(VALU_DEP_1) | instskip(NEXT) | instid1(VALU_DEP_1)
	v_add_f32_e32 v3, 0xa69f5554, v3
	v_fma_f32 v4, v0, v3, -v4
	s_delay_alu instid0(VALU_DEP_1) | instskip(NEXT) | instid1(VALU_DEP_1)
	v_add_f32_e32 v4, 0x2808ebf8, v4
	;; [unrolled: 3-line block ×25, first 2 shown]
	v_fma_f32 v0, v0, v3, -v4
	v_cvt_i32_f32_e32 v3, v5
	s_delay_alu instid0(VALU_DEP_2) | instskip(NEXT) | instid1(VALU_DEP_2)
	v_add_f32_e32 v0, 0x3e81531c, v0
	v_ldexp_f32 v1, v1, v3
	s_delay_alu instid0(VALU_DEP_1) | instskip(SKIP_1) | instid1(VALU_DEP_2)
	v_dual_sub_f32 v0, v0, v4 :: v_dual_cndmask_b32 v3, 0, v1
	v_cmp_ngt_f32_e32 vcc_lo, 0, v2
	v_mul_f32_e32 v0, 0.5, v0
	s_delay_alu instid0(VALU_DEP_1) | instskip(NEXT) | instid1(VALU_DEP_4)
	v_mul_f32_e64 v1, |v2|, v0
	v_cndmask_b32_e64 v2, 0x7f800000, v3, s0
                                        ; implicit-def: $vgpr0
	s_and_saveexec_b32 s0, vcc_lo
	s_delay_alu instid0(SALU_CYCLE_1)
	s_xor_b32 s0, exec_lo, s0
; %bb.13:
	s_delay_alu instid0(VALU_DEP_1)
	v_mul_f32_e32 v0, v2, v1
                                        ; implicit-def: $vgpr2
                                        ; implicit-def: $vgpr1
; %bb.14:
	s_and_not1_saveexec_b32 s0, s0
; %bb.15:
	v_mul_f32_e64 v0, v1, -v2
; %bb.16:
	s_or_b32 exec_lo, exec_lo, s0
                                        ; implicit-def: $vgpr2
                                        ; implicit-def: $vgpr1
.LBB18_17:
	s_and_not1_saveexec_b32 s11, s11
	s_cbranch_execz .LBB18_23
; %bb.18:
	v_and_b32_e32 v0, 0x7fffffff, v2
	s_mov_b32 s0, 0x230aab6e
	s_delay_alu instid0(VALU_DEP_1) | instskip(SKIP_1) | instid1(VALU_DEP_2)
	v_div_scale_f32 v3, null, v0, v0, 0x42000000
	v_div_scale_f32 v0, vcc_lo, 0x42000000, v0, 0x42000000
	v_rcp_f32_e32 v4, v3
	v_nop
	s_delay_alu instid0(TRANS32_DEP_1) | instskip(NEXT) | instid1(VALU_DEP_1)
	v_fma_f32 v5, -v3, v4, 1.0
	v_fmac_f32_e32 v4, v5, v4
	s_delay_alu instid0(VALU_DEP_1) | instskip(NEXT) | instid1(VALU_DEP_1)
	v_mul_f32_e32 v5, v0, v4
	v_fma_f32 v6, -v3, v5, v0
	s_delay_alu instid0(VALU_DEP_1) | instskip(SKIP_1) | instid1(VALU_DEP_2)
	v_fmac_f32_e32 v5, v6, v4
	v_fma_f32 v6, 0x3fb8aa3b, |v2|, -v1
	v_fma_f32 v0, -v3, v5, v0
	s_delay_alu instid0(VALU_DEP_2) | instskip(NEXT) | instid1(VALU_DEP_2)
	v_fma_f32 v6, 0x32a5705f, |v2|, v6
	v_div_fmas_f32 v0, v0, v4, v5
	v_rndne_f32_e32 v5, v1
	v_cmp_ngt_f32_e64 vcc_lo, 0xc2ce8ed0, |v2|
	s_delay_alu instid0(VALU_DEP_3) | instskip(NEXT) | instid1(VALU_DEP_3)
	v_div_fixup_f32 v0, v0, |v2|, 0x42000000
	v_sub_f32_e32 v1, v1, v5
	v_cvt_i32_f32_e32 v5, v5
	s_delay_alu instid0(VALU_DEP_2) | instskip(NEXT) | instid1(VALU_DEP_1)
	v_dual_add_f32 v0, -2.0, v0 :: v_dual_add_f32 v1, v1, v6
	v_fmaak_f32 v3, s0, v0, 0x22a2dc57
	v_cmp_nlt_f32_e64 s0, 0x42b17218, |v2|
	s_delay_alu instid0(VALU_DEP_3) | instskip(NEXT) | instid1(VALU_DEP_2)
	v_exp_f32_e32 v1, v1
	v_fmaak_f32 v4, v0, v3, 0xa30aab6e
	s_delay_alu instid0(TRANS32_DEP_1) | instskip(NEXT) | instid1(VALU_DEP_1)
	v_ldexp_f32 v1, v1, v5
	v_dual_add_f32 v4, 0xa456751e, v4 :: v_dual_cndmask_b32 v1, 0, v1
	s_delay_alu instid0(VALU_DEP_1) | instskip(NEXT) | instid1(VALU_DEP_2)
	v_fma_f32 v3, v0, v4, -v3
	v_cndmask_b32_e64 v1, 0x7f800000, v1, s0
	s_delay_alu instid0(VALU_DEP_2) | instskip(SKIP_1) | instid1(VALU_DEP_1)
	v_add_f32_e32 v3, 0xa4140365, v3
	s_mov_b32 s0, exec_lo
	v_fma_f32 v4, v0, v3, -v4
	s_delay_alu instid0(VALU_DEP_1) | instskip(NEXT) | instid1(VALU_DEP_1)
	v_add_f32_e32 v4, 0x25aac8b0, v4
	v_fma_f32 v3, v0, v4, -v3
	s_delay_alu instid0(VALU_DEP_1) | instskip(NEXT) | instid1(VALU_DEP_1)
	v_add_f32_e32 v3, 0x25beb473, v3
	v_fma_f32 v4, v0, v3, -v4
	s_delay_alu instid0(VALU_DEP_1) | instskip(NEXT) | instid1(VALU_DEP_1)
	v_add_f32_e32 v4, 0xa7077e6c, v4
	v_fma_f32 v3, v0, v4, -v3
	s_delay_alu instid0(VALU_DEP_1) | instskip(NEXT) | instid1(VALU_DEP_1)
	v_add_f32_e32 v3, 0xa7896da9, v3
	v_fma_f32 v4, v0, v3, -v4
	s_delay_alu instid0(VALU_DEP_1) | instskip(NEXT) | instid1(VALU_DEP_1)
	v_add_f32_e32 v4, 0x283bb70c, v4
	v_fma_f32 v3, v0, v4, -v3
	s_delay_alu instid0(VALU_DEP_1) | instskip(NEXT) | instid1(VALU_DEP_1)
	v_add_f32_e32 v3, 0x294069e1, v3
	v_fma_f32 v4, v0, v3, -v4
	s_delay_alu instid0(VALU_DEP_1) | instskip(NEXT) | instid1(VALU_DEP_1)
	v_add_f32_e32 v4, 0xa8bd4a41, v4
	v_fma_f32 v3, v0, v4, -v3
	s_delay_alu instid0(VALU_DEP_1) | instskip(NEXT) | instid1(VALU_DEP_1)
	v_add_f32_e32 v3, 0xaae5e22c, v3
	v_fma_f32 v4, v0, v3, -v4
	s_delay_alu instid0(VALU_DEP_1) | instskip(NEXT) | instid1(VALU_DEP_1)
	v_add_f32_e32 v4, 0xab4a9f08, v4
	v_fma_f32 v3, v0, v4, -v3
	s_delay_alu instid0(VALU_DEP_1) | instskip(NEXT) | instid1(VALU_DEP_1)
	v_add_f32_e32 v3, 0x2c0f3ea0, v3
	v_fma_f32 v4, v0, v3, -v4
	s_delay_alu instid0(VALU_DEP_1) | instskip(NEXT) | instid1(VALU_DEP_1)
	v_add_f32_e32 v4, 0x2d7880fb, v4
	v_fma_f32 v3, v0, v4, -v3
	s_delay_alu instid0(VALU_DEP_1) | instskip(NEXT) | instid1(VALU_DEP_1)
	v_add_f32_e32 v3, 0x2e0f0d10, v3
	v_fma_f32 v4, v0, v3, -v4
	s_delay_alu instid0(VALU_DEP_1) | instskip(NEXT) | instid1(VALU_DEP_1)
	v_add_f32_e32 v4, 0xada6e7cf, v4
	v_fma_f32 v3, v0, v4, -v3
	s_delay_alu instid0(VALU_DEP_1) | instskip(NEXT) | instid1(VALU_DEP_1)
	v_add_f32_e32 v3, 0xb019a653, v3
	v_fma_f32 v4, v0, v3, -v4
	s_delay_alu instid0(VALU_DEP_1) | instskip(NEXT) | instid1(VALU_DEP_1)
	v_add_f32_e32 v4, 0xb183c85d, v4
	v_fma_f32 v3, v0, v4, -v3
	s_delay_alu instid0(VALU_DEP_1) | instskip(NEXT) | instid1(VALU_DEP_1)
	v_add_f32_e32 v3, 0xb2e20a9d, v3
	v_fma_f32 v4, v0, v3, -v4
	s_delay_alu instid0(VALU_DEP_1) | instskip(NEXT) | instid1(VALU_DEP_1)
	v_add_f32_e32 v4, 0xb486dfe9, v4
	v_fma_f32 v3, v0, v4, -v3
	s_delay_alu instid0(VALU_DEP_1) | instskip(NEXT) | instid1(VALU_DEP_1)
	v_add_f32_e32 v3, 0xb68246fa, v3
	v_fma_f32 v4, v0, v3, -v4
	s_delay_alu instid0(VALU_DEP_1) | instskip(NEXT) | instid1(VALU_DEP_1)
	v_add_f32_e32 v4, 0xb8e7ebfc, v4
	v_fma_f32 v3, v0, v4, -v3
	s_delay_alu instid0(VALU_DEP_1) | instskip(NEXT) | instid1(VALU_DEP_1)
	v_add_f32_e32 v3, 0xbc1fed03, v3
	v_fma_f32 v0, v0, v3, -v4
	s_delay_alu instid0(VALU_DEP_1) | instskip(NEXT) | instid1(VALU_DEP_1)
	v_add_f32_e32 v0, 0x3f4750c6, v0
	v_sub_f32_e32 v3, v0, v4
	v_mul_f32_e64 v4, 0x4f800000, |v2|
                                        ; implicit-def: $vgpr0
	v_cmpx_ngt_f32_e32 0, v2
	s_xor_b32 s16, exec_lo, s0
	s_cbranch_execz .LBB18_20
; %bb.19:
	v_cmp_gt_f32_e64 vcc_lo, 0xf800000, |v2|
	v_mul_f32_e32 v3, 0.5, v3
	s_delay_alu instid0(VALU_DEP_2) | instskip(NEXT) | instid1(VALU_DEP_2)
	v_cndmask_b32_e64 v0, |v2|, v4, vcc_lo
	v_mul_f32_e32 v1, v1, v3
	s_delay_alu instid0(VALU_DEP_2) | instskip(SKIP_1) | instid1(TRANS32_DEP_1)
	v_sqrt_f32_e32 v2, v0
	v_nop
	v_dual_add_nc_u32 v4, -1, v2 :: v_dual_add_nc_u32 v5, 1, v2
	s_delay_alu instid0(VALU_DEP_1) | instskip(NEXT) | instid1(VALU_DEP_1)
	v_dual_fma_f32 v6, -v4, v2, v0 :: v_dual_fma_f32 v7, -v5, v2, v0
	v_cmp_ge_f32_e64 s0, 0, v6
	s_delay_alu instid0(VALU_DEP_1) | instskip(NEXT) | instid1(VALU_DEP_3)
	v_cndmask_b32_e64 v2, v2, v4, s0
	v_cmp_lt_f32_e64 s0, 0, v7
	s_delay_alu instid0(VALU_DEP_1) | instskip(NEXT) | instid1(VALU_DEP_1)
	v_cndmask_b32_e64 v2, v2, v5, s0
	v_mul_f32_e32 v4, 0x37800000, v2
	s_delay_alu instid0(VALU_DEP_1) | instskip(SKIP_1) | instid1(VALU_DEP_2)
	v_cndmask_b32_e32 v2, v2, v4, vcc_lo
	v_cmp_class_f32_e64 vcc_lo, v0, 0x260
	v_cndmask_b32_e32 v0, v2, v0, vcc_lo
	s_delay_alu instid0(VALU_DEP_1) | instskip(NEXT) | instid1(VALU_DEP_1)
	v_div_scale_f32 v2, null, v0, v0, v1
	v_rcp_f32_e32 v3, v2
	v_nop
	s_delay_alu instid0(TRANS32_DEP_1) | instskip(NEXT) | instid1(VALU_DEP_1)
	v_fma_f32 v4, -v2, v3, 1.0
	v_fmac_f32_e32 v3, v4, v3
	v_div_scale_f32 v4, vcc_lo, v1, v0, v1
	s_delay_alu instid0(VALU_DEP_1) | instskip(NEXT) | instid1(VALU_DEP_1)
	v_mul_f32_e32 v5, v4, v3
	v_fma_f32 v6, -v2, v5, v4
	s_delay_alu instid0(VALU_DEP_1) | instskip(NEXT) | instid1(VALU_DEP_1)
	v_fmac_f32_e32 v5, v6, v3
	v_fma_f32 v2, -v2, v5, v4
                                        ; implicit-def: $vgpr4
	s_delay_alu instid0(VALU_DEP_1) | instskip(NEXT) | instid1(VALU_DEP_1)
	v_div_fmas_f32 v2, v2, v3, v5
                                        ; implicit-def: $vgpr3
	v_div_fixup_f32 v0, v2, v0, v1
                                        ; implicit-def: $vgpr2
                                        ; implicit-def: $vgpr1
.LBB18_20:
	s_and_not1_saveexec_b32 s16, s16
	s_cbranch_execz .LBB18_22
; %bb.21:
	v_cmp_gt_f32_e64 vcc_lo, 0xf800000, |v2|
	v_mul_f32_e32 v3, -0.5, v3
	s_delay_alu instid0(VALU_DEP_2) | instskip(NEXT) | instid1(VALU_DEP_2)
	v_cndmask_b32_e64 v0, |v2|, v4, vcc_lo
	v_mul_f32_e32 v1, v1, v3
	s_delay_alu instid0(VALU_DEP_2) | instskip(SKIP_1) | instid1(TRANS32_DEP_1)
	v_sqrt_f32_e32 v2, v0
	v_nop
	v_dual_add_nc_u32 v4, -1, v2 :: v_dual_add_nc_u32 v5, 1, v2
	s_delay_alu instid0(VALU_DEP_1) | instskip(NEXT) | instid1(VALU_DEP_1)
	v_dual_fma_f32 v6, -v4, v2, v0 :: v_dual_fma_f32 v7, -v5, v2, v0
	v_cmp_ge_f32_e64 s0, 0, v6
	s_delay_alu instid0(VALU_DEP_1) | instskip(NEXT) | instid1(VALU_DEP_3)
	v_cndmask_b32_e64 v2, v2, v4, s0
	v_cmp_lt_f32_e64 s0, 0, v7
	s_delay_alu instid0(VALU_DEP_1) | instskip(NEXT) | instid1(VALU_DEP_1)
	v_cndmask_b32_e64 v2, v2, v5, s0
	v_mul_f32_e32 v4, 0x37800000, v2
	s_delay_alu instid0(VALU_DEP_1) | instskip(SKIP_1) | instid1(VALU_DEP_2)
	v_cndmask_b32_e32 v2, v2, v4, vcc_lo
	v_cmp_class_f32_e64 vcc_lo, v0, 0x260
	v_cndmask_b32_e32 v0, v2, v0, vcc_lo
	s_delay_alu instid0(VALU_DEP_1) | instskip(NEXT) | instid1(VALU_DEP_1)
	v_div_scale_f32 v2, null, v0, v0, v1
	v_rcp_f32_e32 v3, v2
	v_nop
	s_delay_alu instid0(TRANS32_DEP_1) | instskip(NEXT) | instid1(VALU_DEP_1)
	v_fma_f32 v4, -v2, v3, 1.0
	v_fmac_f32_e32 v3, v4, v3
	v_div_scale_f32 v4, vcc_lo, v1, v0, v1
	s_delay_alu instid0(VALU_DEP_1) | instskip(NEXT) | instid1(VALU_DEP_1)
	v_mul_f32_e32 v5, v4, v3
	v_fma_f32 v6, -v2, v5, v4
	s_delay_alu instid0(VALU_DEP_1) | instskip(NEXT) | instid1(VALU_DEP_1)
	v_fmac_f32_e32 v5, v6, v3
	v_fma_f32 v2, -v2, v5, v4
	s_delay_alu instid0(VALU_DEP_1) | instskip(NEXT) | instid1(VALU_DEP_1)
	v_div_fmas_f32 v2, v2, v3, v5
	v_div_fixup_f32 v0, v2, v0, v1
.LBB18_22:
	s_or_b32 exec_lo, exec_lo, s16
.LBB18_23:
	s_delay_alu instid0(SALU_CYCLE_1) | instskip(SKIP_2) | instid1(SALU_CYCLE_1)
	s_or_b32 exec_lo, exec_lo, s11
	v_mul_lo_u32 v2, v8, s2
	s_and_b32 s11, s8, 0xff
	s_cmp_lt_i32 s11, 11
	s_delay_alu instid0(VALU_DEP_1) | instskip(NEXT) | instid1(VALU_DEP_1)
	v_ashrrev_i32_e32 v3, 31, v2
	v_add_nc_u64_e32 v[2:3], s[4:5], v[2:3]
	s_cbranch_scc1 .LBB18_31
; %bb.24:
	s_and_b32 s16, 0xffff, s11
	s_delay_alu instid0(SALU_CYCLE_1)
	s_cmp_gt_i32 s16, 25
	s_cbranch_scc0 .LBB18_34
; %bb.25:
	s_cmp_gt_i32 s16, 28
	s_cbranch_scc0 .LBB18_36
; %bb.26:
	;; [unrolled: 3-line block ×4, first 2 shown]
	s_mov_b32 s18, 0
	s_mov_b32 s0, -1
	s_cmp_eq_u32 s16, 46
	s_mov_b32 s17, 0
	s_cbranch_scc0 .LBB18_45
; %bb.29:
	v_bfe_u32 v1, v0, 16, 1
	v_cmp_o_f32_e32 vcc_lo, v0, v0
	s_mov_b32 s17, -1
	s_mov_b32 s0, 0
	s_delay_alu instid0(VALU_DEP_2) | instskip(NEXT) | instid1(VALU_DEP_1)
	v_add3_u32 v1, v0, v1, 0x7fff
	v_lshrrev_b32_e32 v1, 16, v1
	s_delay_alu instid0(VALU_DEP_1)
	v_cndmask_b32_e32 v1, 0x7fc0, v1, vcc_lo
	global_store_b32 v[2:3], v1, off
	s_branch .LBB18_45
.LBB18_30:
                                        ; implicit-def: $vgpr2
	s_cbranch_execnz .LBB18_179
	s_branch .LBB18_213
.LBB18_31:
	s_mov_b32 s0, 0
	s_mov_b32 s17, 0
	s_cbranch_execnz .LBB18_114
.LBB18_32:
	s_and_not1_b32 vcc_lo, exec_lo, s17
	s_cbranch_vccnz .LBB18_262
	s_branch .LBB18_152
.LBB18_33:
	s_mov_b32 s16, -1
                                        ; implicit-def: $vgpr2
	s_branch .LBB18_160
.LBB18_34:
	s_mov_b32 s18, -1
	s_mov_b32 s0, 0
	s_mov_b32 s17, 0
	s_branch .LBB18_72
.LBB18_35:
	s_mov_b32 s16, -1
                                        ; implicit-def: $vgpr2
	s_branch .LBB18_155
.LBB18_36:
	s_mov_b32 s18, -1
	s_mov_b32 s0, 0
	s_mov_b32 s17, 0
	s_branch .LBB18_55
.LBB18_37:
	s_mov_b32 s16, -1
	s_branch .LBB18_40
.LBB18_38:
	s_mov_b32 s18, -1
	s_mov_b32 s0, 0
	s_mov_b32 s17, 0
	s_branch .LBB18_51
.LBB18_39:
	s_mov_b32 s13, -1
.LBB18_40:
                                        ; implicit-def: $vgpr2
.LBB18_41:
	s_and_b32 vcc_lo, exec_lo, s16
	s_cbranch_vccz .LBB18_154
; %bb.42:
	s_cmp_eq_u32 s0, 44
	s_cbranch_scc0 .LBB18_153
; %bb.43:
	global_load_u8 v2, v[0:1], off
	s_mov_b32 s13, 0
	s_mov_b32 s11, -1
	s_wait_loadcnt 0x0
	v_lshlrev_b32_e32 v3, 23, v2
	v_cmp_ne_u32_e32 vcc_lo, 0xff, v2
	s_delay_alu instid0(VALU_DEP_2) | instskip(SKIP_1) | instid1(VALU_DEP_2)
	v_cndmask_b32_e32 v3, 0x7f800001, v3, vcc_lo
	v_cmp_ne_u32_e32 vcc_lo, 0, v2
	v_cndmask_b32_e32 v2, 0x400000, v3, vcc_lo
	s_branch .LBB18_154
.LBB18_44:
	s_mov_b32 s18, -1
	s_mov_b32 s0, 0
	s_mov_b32 s17, 0
.LBB18_45:
	s_and_b32 vcc_lo, exec_lo, s18
	s_cbranch_vccz .LBB18_50
; %bb.46:
	s_cmp_eq_u32 s16, 44
	s_mov_b32 s0, -1
	s_cbranch_scc0 .LBB18_50
; %bb.47:
	v_bfe_u32 v4, v0, 23, 8
	s_wait_xcnt 0x0
	v_mov_b32_e32 v1, 0xff
	s_mov_b32 s17, exec_lo
	s_delay_alu instid0(VALU_DEP_2)
	v_cmpx_ne_u32_e32 0xff, v4
	s_cbranch_execz .LBB18_49
; %bb.48:
	v_and_b32_e32 v1, 0x400000, v0
	v_and_or_b32 v4, 0x3fffff, v0, v4
	s_delay_alu instid0(VALU_DEP_2) | instskip(NEXT) | instid1(VALU_DEP_2)
	v_cmp_ne_u32_e32 vcc_lo, 0, v1
	v_cmp_ne_u32_e64 s0, 0, v4
	v_lshrrev_b32_e32 v1, 23, v0
	s_and_b32 s0, vcc_lo, s0
	s_delay_alu instid0(SALU_CYCLE_1) | instskip(NEXT) | instid1(VALU_DEP_1)
	v_cndmask_b32_e64 v4, 0, 1, s0
	v_add_nc_u32_e32 v1, v1, v4
.LBB18_49:
	s_or_b32 exec_lo, exec_lo, s17
	s_mov_b32 s17, -1
	s_mov_b32 s0, 0
	global_store_b8 v[2:3], v1, off
.LBB18_50:
	s_mov_b32 s18, 0
.LBB18_51:
	s_delay_alu instid0(SALU_CYCLE_1)
	s_and_b32 vcc_lo, exec_lo, s18
	s_cbranch_vccz .LBB18_54
; %bb.52:
	s_cmp_eq_u32 s16, 29
	s_mov_b32 s0, -1
	s_cbranch_scc0 .LBB18_54
; %bb.53:
	s_wait_xcnt 0x0
	v_trunc_f32_e32 v1, v0
	s_mov_b32 s17, -1
	s_mov_b32 s0, 0
	s_mov_b32 s18, 0
	s_delay_alu instid0(VALU_DEP_1) | instskip(NEXT) | instid1(VALU_DEP_1)
	v_mul_f32_e32 v4, 0x2f800000, v1
	v_floor_f32_e32 v4, v4
	s_delay_alu instid0(VALU_DEP_1) | instskip(SKIP_1) | instid1(VALU_DEP_2)
	v_fmamk_f32 v1, v4, 0xcf800000, v1
	v_cvt_u32_f32_e32 v5, v4
	v_cvt_u32_f32_e32 v4, v1
	global_store_b64 v[2:3], v[4:5], off
	s_branch .LBB18_55
.LBB18_54:
	s_mov_b32 s18, 0
.LBB18_55:
	s_delay_alu instid0(SALU_CYCLE_1)
	s_and_b32 vcc_lo, exec_lo, s18
	s_cbranch_vccz .LBB18_71
; %bb.56:
	s_cmp_lt_i32 s16, 27
	s_mov_b32 s17, -1
	s_cbranch_scc1 .LBB18_62
; %bb.57:
	s_wait_xcnt 0x0
	v_cvt_u32_f32_e32 v1, v0
	s_cmp_gt_i32 s16, 27
	s_cbranch_scc0 .LBB18_59
; %bb.58:
	s_mov_b32 s17, 0
	global_store_b32 v[2:3], v1, off
.LBB18_59:
	s_and_not1_b32 vcc_lo, exec_lo, s17
	s_cbranch_vccnz .LBB18_61
; %bb.60:
	global_store_b16 v[2:3], v1, off
.LBB18_61:
	s_mov_b32 s17, 0
.LBB18_62:
	s_delay_alu instid0(SALU_CYCLE_1)
	s_and_not1_b32 vcc_lo, exec_lo, s17
	s_cbranch_vccnz .LBB18_70
; %bb.63:
	s_wait_xcnt 0x0
	v_and_b32_e32 v1, 0x7fffffff, v0
	v_mov_b32_e32 v4, 0x80
	s_mov_b32 s17, exec_lo
	s_delay_alu instid0(VALU_DEP_2)
	v_cmpx_gt_u32_e32 0x43800000, v1
	s_cbranch_execz .LBB18_69
; %bb.64:
	v_cmp_lt_u32_e32 vcc_lo, 0x3bffffff, v1
	s_mov_b32 s18, 0
                                        ; implicit-def: $vgpr1
	s_and_saveexec_b32 s19, vcc_lo
	s_delay_alu instid0(SALU_CYCLE_1)
	s_xor_b32 s19, exec_lo, s19
	s_cbranch_execz .LBB18_303
; %bb.65:
	v_bfe_u32 v1, v0, 20, 1
	s_mov_b32 s18, exec_lo
	s_delay_alu instid0(VALU_DEP_1) | instskip(NEXT) | instid1(VALU_DEP_1)
	v_add3_u32 v1, v0, v1, 0x487ffff
	v_lshrrev_b32_e32 v1, 20, v1
	s_and_not1_saveexec_b32 s19, s19
	s_cbranch_execnz .LBB18_304
.LBB18_66:
	s_or_b32 exec_lo, exec_lo, s19
	v_mov_b32_e32 v4, 0
	s_and_saveexec_b32 s19, s18
.LBB18_67:
	v_lshrrev_b32_e32 v4, 24, v0
	s_delay_alu instid0(VALU_DEP_1)
	v_and_or_b32 v4, 0x80, v4, v1
.LBB18_68:
	s_or_b32 exec_lo, exec_lo, s19
.LBB18_69:
	s_delay_alu instid0(SALU_CYCLE_1)
	s_or_b32 exec_lo, exec_lo, s17
	global_store_b8 v[2:3], v4, off
.LBB18_70:
	s_mov_b32 s17, -1
.LBB18_71:
	s_mov_b32 s18, 0
.LBB18_72:
	s_delay_alu instid0(SALU_CYCLE_1)
	s_and_b32 vcc_lo, exec_lo, s18
	s_cbranch_vccz .LBB18_113
; %bb.73:
	s_cmp_gt_i32 s16, 22
	s_mov_b32 s18, -1
	s_cbranch_scc0 .LBB18_105
; %bb.74:
	s_cmp_lt_i32 s16, 24
	s_mov_b32 s17, -1
	s_cbranch_scc1 .LBB18_94
; %bb.75:
	s_cmp_gt_i32 s16, 24
	s_cbranch_scc0 .LBB18_83
; %bb.76:
	s_wait_xcnt 0x0
	v_and_b32_e32 v1, 0x7fffffff, v0
	v_mov_b32_e32 v4, 0x80
	s_mov_b32 s17, exec_lo
	s_delay_alu instid0(VALU_DEP_2)
	v_cmpx_gt_u32_e32 0x47800000, v1
	s_cbranch_execz .LBB18_82
; %bb.77:
	v_cmp_lt_u32_e32 vcc_lo, 0x37ffffff, v1
	s_mov_b32 s18, 0
                                        ; implicit-def: $vgpr1
	s_and_saveexec_b32 s19, vcc_lo
	s_delay_alu instid0(SALU_CYCLE_1)
	s_xor_b32 s19, exec_lo, s19
	s_cbranch_execz .LBB18_307
; %bb.78:
	v_bfe_u32 v1, v0, 21, 1
	s_mov_b32 s18, exec_lo
	s_delay_alu instid0(VALU_DEP_1) | instskip(NEXT) | instid1(VALU_DEP_1)
	v_add3_u32 v1, v0, v1, 0x88fffff
	v_lshrrev_b32_e32 v1, 21, v1
	s_and_not1_saveexec_b32 s19, s19
	s_cbranch_execnz .LBB18_308
.LBB18_79:
	s_or_b32 exec_lo, exec_lo, s19
	v_mov_b32_e32 v4, 0
	s_and_saveexec_b32 s19, s18
.LBB18_80:
	v_lshrrev_b32_e32 v4, 24, v0
	s_delay_alu instid0(VALU_DEP_1)
	v_and_or_b32 v4, 0x80, v4, v1
.LBB18_81:
	s_or_b32 exec_lo, exec_lo, s19
.LBB18_82:
	s_delay_alu instid0(SALU_CYCLE_1)
	s_or_b32 exec_lo, exec_lo, s17
	s_mov_b32 s17, 0
	global_store_b8 v[2:3], v4, off
.LBB18_83:
	s_and_b32 vcc_lo, exec_lo, s17
	s_cbranch_vccz .LBB18_93
; %bb.84:
	s_wait_xcnt 0x0
	v_and_b32_e32 v4, 0x7fffffff, v0
	s_mov_b32 s17, exec_lo
                                        ; implicit-def: $vgpr1
	s_delay_alu instid0(VALU_DEP_1)
	v_cmpx_gt_u32_e32 0x43f00000, v4
	s_xor_b32 s17, exec_lo, s17
	s_cbranch_execz .LBB18_90
; %bb.85:
	s_mov_b32 s18, exec_lo
                                        ; implicit-def: $vgpr1
	v_cmpx_lt_u32_e32 0x3c7fffff, v4
	s_xor_b32 s18, exec_lo, s18
; %bb.86:
	v_bfe_u32 v1, v0, 20, 1
	s_delay_alu instid0(VALU_DEP_1) | instskip(NEXT) | instid1(VALU_DEP_1)
	v_add3_u32 v1, v0, v1, 0x407ffff
	v_and_b32_e32 v4, 0xff00000, v1
	v_lshrrev_b32_e32 v1, 20, v1
	s_delay_alu instid0(VALU_DEP_2) | instskip(NEXT) | instid1(VALU_DEP_2)
	v_cmp_ne_u32_e32 vcc_lo, 0x7f00000, v4
	v_cndmask_b32_e32 v1, 0x7e, v1, vcc_lo
; %bb.87:
	s_and_not1_saveexec_b32 s18, s18
; %bb.88:
	v_add_f32_e64 v1, 0x46800000, |v0|
; %bb.89:
	s_or_b32 exec_lo, exec_lo, s18
                                        ; implicit-def: $vgpr4
.LBB18_90:
	s_and_not1_saveexec_b32 s17, s17
; %bb.91:
	v_mov_b32_e32 v1, 0x7f
	v_cmp_lt_u32_e32 vcc_lo, 0x7f800000, v4
	s_delay_alu instid0(VALU_DEP_2)
	v_cndmask_b32_e32 v1, 0x7e, v1, vcc_lo
; %bb.92:
	s_or_b32 exec_lo, exec_lo, s17
	v_lshrrev_b32_e32 v4, 24, v0
	s_delay_alu instid0(VALU_DEP_1)
	v_and_or_b32 v1, 0x80, v4, v1
	global_store_b8 v[2:3], v1, off
.LBB18_93:
	s_mov_b32 s17, 0
.LBB18_94:
	s_delay_alu instid0(SALU_CYCLE_1)
	s_and_not1_b32 vcc_lo, exec_lo, s17
	s_cbranch_vccnz .LBB18_104
; %bb.95:
	s_wait_xcnt 0x0
	v_and_b32_e32 v4, 0x7fffffff, v0
	s_mov_b32 s17, exec_lo
                                        ; implicit-def: $vgpr1
	s_delay_alu instid0(VALU_DEP_1)
	v_cmpx_gt_u32_e32 0x47800000, v4
	s_xor_b32 s17, exec_lo, s17
	s_cbranch_execz .LBB18_101
; %bb.96:
	s_mov_b32 s18, exec_lo
                                        ; implicit-def: $vgpr1
	v_cmpx_lt_u32_e32 0x387fffff, v4
	s_xor_b32 s18, exec_lo, s18
; %bb.97:
	v_bfe_u32 v1, v0, 21, 1
	s_delay_alu instid0(VALU_DEP_1) | instskip(NEXT) | instid1(VALU_DEP_1)
	v_add3_u32 v1, v0, v1, 0x80fffff
	v_lshrrev_b32_e32 v1, 21, v1
; %bb.98:
	s_and_not1_saveexec_b32 s18, s18
; %bb.99:
	v_add_f32_e64 v1, 0x43000000, |v0|
; %bb.100:
	s_or_b32 exec_lo, exec_lo, s18
                                        ; implicit-def: $vgpr4
.LBB18_101:
	s_and_not1_saveexec_b32 s17, s17
; %bb.102:
	v_mov_b32_e32 v1, 0x7f
	v_cmp_lt_u32_e32 vcc_lo, 0x7f800000, v4
	s_delay_alu instid0(VALU_DEP_2)
	v_cndmask_b32_e32 v1, 0x7c, v1, vcc_lo
; %bb.103:
	s_or_b32 exec_lo, exec_lo, s17
	v_lshrrev_b32_e32 v4, 24, v0
	s_delay_alu instid0(VALU_DEP_1)
	v_and_or_b32 v1, 0x80, v4, v1
	global_store_b8 v[2:3], v1, off
.LBB18_104:
	s_mov_b32 s18, 0
	s_mov_b32 s17, -1
.LBB18_105:
	s_and_not1_b32 vcc_lo, exec_lo, s18
	s_cbranch_vccnz .LBB18_113
; %bb.106:
	s_cmp_gt_i32 s16, 14
	s_mov_b32 s18, -1
	s_cbranch_scc0 .LBB18_110
; %bb.107:
	s_cmp_eq_u32 s16, 15
	s_mov_b32 s0, -1
	s_cbranch_scc0 .LBB18_109
; %bb.108:
	s_wait_xcnt 0x0
	v_bfe_u32 v1, v0, 16, 1
	v_cmp_o_f32_e32 vcc_lo, v0, v0
	s_mov_b32 s17, -1
	s_mov_b32 s0, 0
	s_delay_alu instid0(VALU_DEP_2) | instskip(NEXT) | instid1(VALU_DEP_1)
	v_add3_u32 v1, v0, v1, 0x7fff
	v_lshrrev_b32_e32 v1, 16, v1
	s_delay_alu instid0(VALU_DEP_1)
	v_cndmask_b32_e32 v1, 0x7fc0, v1, vcc_lo
	global_store_b16 v[2:3], v1, off
.LBB18_109:
	s_mov_b32 s18, 0
.LBB18_110:
	s_delay_alu instid0(SALU_CYCLE_1)
	s_and_b32 vcc_lo, exec_lo, s18
	s_cbranch_vccz .LBB18_113
; %bb.111:
	s_cmp_eq_u32 s16, 11
	s_mov_b32 s0, -1
	s_cbranch_scc0 .LBB18_113
; %bb.112:
	v_cmp_neq_f32_e32 vcc_lo, 0, v0
	s_mov_b32 s0, 0
	s_mov_b32 s17, -1
	s_wait_xcnt 0x0
	v_cndmask_b32_e64 v1, 0, 1, vcc_lo
	global_store_b8 v[2:3], v1, off
.LBB18_113:
	s_branch .LBB18_32
.LBB18_114:
	s_and_b32 s11, 0xffff, s11
	s_mov_b32 s16, -1
	s_cmp_lt_i32 s11, 5
	s_cbranch_scc1 .LBB18_135
; %bb.115:
	s_cmp_lt_i32 s11, 8
	s_cbranch_scc1 .LBB18_125
; %bb.116:
	;; [unrolled: 3-line block ×3, first 2 shown]
	s_cmp_gt_i32 s11, 9
	s_cbranch_scc0 .LBB18_119
; %bb.118:
	s_wait_xcnt 0x0
	v_cvt_f64_f32_e32 v[4:5], v0
	v_mov_b32_e32 v6, 0
	s_mov_b32 s16, 0
	s_delay_alu instid0(VALU_DEP_1)
	v_mov_b32_e32 v7, v6
	global_store_b128 v[2:3], v[4:7], off
.LBB18_119:
	s_and_not1_b32 vcc_lo, exec_lo, s16
	s_cbranch_vccnz .LBB18_121
; %bb.120:
	s_wait_xcnt 0x0
	v_mov_b32_e32 v1, 0
	global_store_b64 v[2:3], v[0:1], off
.LBB18_121:
	s_mov_b32 s16, 0
.LBB18_122:
	s_delay_alu instid0(SALU_CYCLE_1)
	s_and_not1_b32 vcc_lo, exec_lo, s16
	s_cbranch_vccnz .LBB18_124
; %bb.123:
	s_wait_xcnt 0x0
	v_cvt_f16_f32_e32 v1, v0
	s_delay_alu instid0(VALU_DEP_1)
	v_and_b32_e32 v1, 0xffff, v1
	global_store_b32 v[2:3], v1, off
.LBB18_124:
	s_mov_b32 s16, 0
.LBB18_125:
	s_delay_alu instid0(SALU_CYCLE_1)
	s_and_not1_b32 vcc_lo, exec_lo, s16
	s_cbranch_vccnz .LBB18_134
; %bb.126:
	s_cmp_lt_i32 s11, 6
	s_mov_b32 s16, -1
	s_cbranch_scc1 .LBB18_132
; %bb.127:
	s_cmp_gt_i32 s11, 6
	s_cbranch_scc0 .LBB18_129
; %bb.128:
	s_wait_xcnt 0x0
	v_cvt_f64_f32_e32 v[4:5], v0
	s_mov_b32 s16, 0
	global_store_b64 v[2:3], v[4:5], off
.LBB18_129:
	s_and_not1_b32 vcc_lo, exec_lo, s16
	s_cbranch_vccnz .LBB18_131
; %bb.130:
	global_store_b32 v[2:3], v0, off
.LBB18_131:
	s_mov_b32 s16, 0
.LBB18_132:
	s_delay_alu instid0(SALU_CYCLE_1)
	s_and_not1_b32 vcc_lo, exec_lo, s16
	s_cbranch_vccnz .LBB18_134
; %bb.133:
	s_wait_xcnt 0x0
	v_cvt_f16_f32_e32 v1, v0
	global_store_b16 v[2:3], v1, off
.LBB18_134:
	s_mov_b32 s16, 0
.LBB18_135:
	s_delay_alu instid0(SALU_CYCLE_1)
	s_and_not1_b32 vcc_lo, exec_lo, s16
	s_cbranch_vccnz .LBB18_151
; %bb.136:
	s_cmp_lt_i32 s11, 2
	s_mov_b32 s16, -1
	s_cbranch_scc1 .LBB18_146
; %bb.137:
	s_cmp_lt_i32 s11, 3
	s_cbranch_scc1 .LBB18_143
; %bb.138:
	s_cmp_gt_i32 s11, 3
	s_cbranch_scc0 .LBB18_140
; %bb.139:
	s_wait_xcnt 0x0
	v_trunc_f32_e32 v1, v0
	s_mov_b32 s16, 0
	s_delay_alu instid0(VALU_DEP_1) | instskip(NEXT) | instid1(VALU_DEP_1)
	v_mul_f32_e64 v4, 0x2f800000, |v1|
	v_floor_f32_e32 v5, v4
	v_ashrrev_i32_e32 v4, 31, v1
	s_delay_alu instid0(VALU_DEP_2) | instskip(SKIP_1) | instid1(VALU_DEP_3)
	v_fma_f32 v6, 0xcf800000, v5, |v1|
	v_cvt_u32_f32_e32 v1, v5
	v_mov_b32_e32 v5, v4
	s_delay_alu instid0(VALU_DEP_3) | instskip(NEXT) | instid1(VALU_DEP_3)
	v_cvt_u32_f32_e32 v6, v6
	v_xor_b32_e32 v7, v1, v4
	s_delay_alu instid0(VALU_DEP_2) | instskip(NEXT) | instid1(VALU_DEP_1)
	v_xor_b32_e32 v6, v6, v4
	v_sub_nc_u64_e32 v[4:5], v[6:7], v[4:5]
	global_store_b64 v[2:3], v[4:5], off
.LBB18_140:
	s_and_not1_b32 vcc_lo, exec_lo, s16
	s_cbranch_vccnz .LBB18_142
; %bb.141:
	s_wait_xcnt 0x0
	v_cvt_i32_f32_e32 v1, v0
	global_store_b32 v[2:3], v1, off
.LBB18_142:
	s_mov_b32 s16, 0
.LBB18_143:
	s_delay_alu instid0(SALU_CYCLE_1)
	s_and_not1_b32 vcc_lo, exec_lo, s16
	s_cbranch_vccnz .LBB18_145
; %bb.144:
	s_wait_xcnt 0x0
	v_cvt_i32_f32_e32 v1, v0
	global_store_b16 v[2:3], v1, off
.LBB18_145:
	s_mov_b32 s16, 0
.LBB18_146:
	s_delay_alu instid0(SALU_CYCLE_1)
	s_and_not1_b32 vcc_lo, exec_lo, s16
	s_cbranch_vccnz .LBB18_151
; %bb.147:
	s_cmp_gt_i32 s11, 0
	s_mov_b32 s11, -1
	s_cbranch_scc0 .LBB18_149
; %bb.148:
	s_wait_xcnt 0x0
	v_cvt_i32_f32_e32 v1, v0
	s_mov_b32 s11, 0
	global_store_b8 v[2:3], v1, off
.LBB18_149:
	s_and_not1_b32 vcc_lo, exec_lo, s11
	s_cbranch_vccnz .LBB18_151
; %bb.150:
	s_wait_xcnt 0x0
	v_trunc_f32_e32 v0, v0
	s_delay_alu instid0(VALU_DEP_1) | instskip(NEXT) | instid1(VALU_DEP_1)
	v_mul_f32_e64 v1, 0x2f800000, |v0|
	v_floor_f32_e32 v1, v1
	s_delay_alu instid0(VALU_DEP_1) | instskip(SKIP_1) | instid1(VALU_DEP_2)
	v_fma_f32 v1, 0xcf800000, v1, |v0|
	v_ashrrev_i32_e32 v0, 31, v0
	v_cvt_u32_f32_e32 v1, v1
	s_delay_alu instid0(VALU_DEP_1) | instskip(NEXT) | instid1(VALU_DEP_1)
	v_xor_b32_e32 v1, v1, v0
	v_sub_nc_u32_e32 v0, v1, v0
	global_store_b8 v[2:3], v0, off
.LBB18_151:
.LBB18_152:
	v_add_nc_u32_e32 v8, 0x80, v8
	s_mov_b32 s16, -1
	s_branch .LBB18_263
.LBB18_153:
	s_mov_b32 s13, -1
                                        ; implicit-def: $vgpr2
.LBB18_154:
	s_mov_b32 s16, 0
.LBB18_155:
	s_delay_alu instid0(SALU_CYCLE_1)
	s_and_b32 vcc_lo, exec_lo, s16
	s_cbranch_vccz .LBB18_159
; %bb.156:
	s_cmp_eq_u32 s0, 29
	s_cbranch_scc0 .LBB18_158
; %bb.157:
	global_load_b64 v[2:3], v[0:1], off
	s_mov_b32 s11, -1
	s_mov_b32 s13, 0
	s_mov_b32 s16, 0
	s_wait_loadcnt 0x0
	v_clz_i32_u32_e32 v4, v3
	s_delay_alu instid0(VALU_DEP_1) | instskip(NEXT) | instid1(VALU_DEP_1)
	v_min_u32_e32 v4, 32, v4
	v_lshlrev_b64_e32 v[2:3], v4, v[2:3]
	s_delay_alu instid0(VALU_DEP_1) | instskip(NEXT) | instid1(VALU_DEP_1)
	v_min_u32_e32 v2, 1, v2
	v_dual_sub_nc_u32 v3, 32, v4 :: v_dual_bitop2_b32 v2, v3, v2 bitop3:0x54
	s_delay_alu instid0(VALU_DEP_1) | instskip(NEXT) | instid1(VALU_DEP_1)
	v_cvt_f32_u32_e32 v2, v2
	v_ldexp_f32 v2, v2, v3
	s_branch .LBB18_160
.LBB18_158:
	s_mov_b32 s13, -1
                                        ; implicit-def: $vgpr2
.LBB18_159:
	s_mov_b32 s16, 0
.LBB18_160:
	s_delay_alu instid0(SALU_CYCLE_1)
	s_and_b32 vcc_lo, exec_lo, s16
	s_cbranch_vccz .LBB18_178
; %bb.161:
	s_cmp_lt_i32 s0, 27
	s_cbranch_scc1 .LBB18_164
; %bb.162:
	s_cmp_gt_i32 s0, 27
	s_cbranch_scc0 .LBB18_165
; %bb.163:
	global_load_b32 v2, v[0:1], off
	s_mov_b32 s11, 0
	s_wait_loadcnt 0x0
	v_cvt_f32_u32_e32 v2, v2
	s_branch .LBB18_166
.LBB18_164:
	s_mov_b32 s11, -1
                                        ; implicit-def: $vgpr2
	s_branch .LBB18_169
.LBB18_165:
	s_mov_b32 s11, -1
                                        ; implicit-def: $vgpr2
.LBB18_166:
	s_delay_alu instid0(SALU_CYCLE_1)
	s_and_not1_b32 vcc_lo, exec_lo, s11
	s_cbranch_vccnz .LBB18_168
; %bb.167:
	global_load_u16 v2, v[0:1], off
	s_wait_loadcnt 0x0
	v_cvt_f32_u32_e32 v2, v2
.LBB18_168:
	s_mov_b32 s11, 0
.LBB18_169:
	s_delay_alu instid0(SALU_CYCLE_1)
	s_and_not1_b32 vcc_lo, exec_lo, s11
	s_cbranch_vccnz .LBB18_177
; %bb.170:
	global_load_u8 v3, v[0:1], off
	s_mov_b32 s11, 0
	s_mov_b32 s16, exec_lo
	s_wait_loadcnt 0x0
	v_cmpx_lt_i16_e32 0x7f, v3
	s_xor_b32 s16, exec_lo, s16
	s_cbranch_execz .LBB18_190
; %bb.171:
	s_mov_b32 s11, -1
	s_mov_b32 s17, exec_lo
	v_cmpx_eq_u16_e32 0x80, v3
; %bb.172:
	s_xor_b32 s11, exec_lo, -1
; %bb.173:
	s_or_b32 exec_lo, exec_lo, s17
	s_delay_alu instid0(SALU_CYCLE_1)
	s_and_b32 s11, s11, exec_lo
	s_or_saveexec_b32 s16, s16
	v_mov_b32_e32 v2, 0x7f800001
	s_xor_b32 exec_lo, exec_lo, s16
	s_cbranch_execnz .LBB18_191
.LBB18_174:
	s_or_b32 exec_lo, exec_lo, s16
	s_and_saveexec_b32 s16, s11
	s_cbranch_execz .LBB18_176
.LBB18_175:
	v_and_b32_e32 v2, 0xffff, v3
	s_delay_alu instid0(VALU_DEP_1) | instskip(SKIP_1) | instid1(VALU_DEP_2)
	v_and_b32_e32 v4, 7, v2
	v_bfe_u32 v7, v2, 3, 4
	v_clz_i32_u32_e32 v5, v4
	s_delay_alu instid0(VALU_DEP_2) | instskip(NEXT) | instid1(VALU_DEP_2)
	v_cmp_eq_u32_e32 vcc_lo, 0, v7
	v_min_u32_e32 v5, 32, v5
	s_delay_alu instid0(VALU_DEP_1) | instskip(NEXT) | instid1(VALU_DEP_1)
	v_subrev_nc_u32_e32 v6, 28, v5
	v_dual_lshlrev_b32 v2, v6, v2 :: v_dual_sub_nc_u32 v5, 29, v5
	s_delay_alu instid0(VALU_DEP_1) | instskip(NEXT) | instid1(VALU_DEP_1)
	v_dual_lshlrev_b32 v3, 24, v3 :: v_dual_bitop2_b32 v2, 7, v2 bitop3:0x40
	v_dual_cndmask_b32 v5, v7, v5 :: v_dual_cndmask_b32 v2, v4, v2
	s_delay_alu instid0(VALU_DEP_2) | instskip(NEXT) | instid1(VALU_DEP_2)
	v_and_b32_e32 v3, 0x80000000, v3
	v_lshl_add_u32 v4, v5, 23, 0x3b800000
	s_delay_alu instid0(VALU_DEP_3) | instskip(NEXT) | instid1(VALU_DEP_1)
	v_lshlrev_b32_e32 v2, 20, v2
	v_or3_b32 v2, v3, v4, v2
.LBB18_176:
	s_or_b32 exec_lo, exec_lo, s16
.LBB18_177:
	s_mov_b32 s11, -1
.LBB18_178:
	s_branch .LBB18_213
.LBB18_179:
	s_cmp_gt_i32 s0, 22
	s_cbranch_scc0 .LBB18_189
; %bb.180:
	s_cmp_lt_i32 s0, 24
	s_cbranch_scc1 .LBB18_192
; %bb.181:
	s_cmp_gt_i32 s0, 24
	s_cbranch_scc0 .LBB18_193
; %bb.182:
	global_load_u8 v3, v[0:1], off
	s_mov_b32 s11, 0
	s_mov_b32 s16, exec_lo
	s_wait_loadcnt 0x0
	v_cmpx_lt_i16_e32 0x7f, v3
	s_xor_b32 s16, exec_lo, s16
	s_cbranch_execz .LBB18_205
; %bb.183:
	s_mov_b32 s11, -1
	s_mov_b32 s17, exec_lo
	v_cmpx_eq_u16_e32 0x80, v3
; %bb.184:
	s_xor_b32 s11, exec_lo, -1
; %bb.185:
	s_or_b32 exec_lo, exec_lo, s17
	s_delay_alu instid0(SALU_CYCLE_1)
	s_and_b32 s11, s11, exec_lo
	s_or_saveexec_b32 s16, s16
	v_mov_b32_e32 v2, 0x7f800001
	s_xor_b32 exec_lo, exec_lo, s16
	s_cbranch_execnz .LBB18_206
.LBB18_186:
	s_or_b32 exec_lo, exec_lo, s16
	s_and_saveexec_b32 s16, s11
	s_cbranch_execz .LBB18_188
.LBB18_187:
	v_and_b32_e32 v2, 0xffff, v3
	s_delay_alu instid0(VALU_DEP_1) | instskip(SKIP_1) | instid1(VALU_DEP_2)
	v_and_b32_e32 v4, 3, v2
	v_bfe_u32 v7, v2, 2, 5
	v_clz_i32_u32_e32 v5, v4
	s_delay_alu instid0(VALU_DEP_2) | instskip(NEXT) | instid1(VALU_DEP_2)
	v_cmp_eq_u32_e32 vcc_lo, 0, v7
	v_min_u32_e32 v5, 32, v5
	s_delay_alu instid0(VALU_DEP_1) | instskip(NEXT) | instid1(VALU_DEP_1)
	v_subrev_nc_u32_e32 v6, 29, v5
	v_dual_lshlrev_b32 v2, v6, v2 :: v_dual_sub_nc_u32 v5, 30, v5
	s_delay_alu instid0(VALU_DEP_1) | instskip(NEXT) | instid1(VALU_DEP_1)
	v_dual_lshlrev_b32 v3, 24, v3 :: v_dual_bitop2_b32 v2, 3, v2 bitop3:0x40
	v_dual_cndmask_b32 v5, v7, v5 :: v_dual_cndmask_b32 v2, v4, v2
	s_delay_alu instid0(VALU_DEP_2) | instskip(NEXT) | instid1(VALU_DEP_2)
	v_and_b32_e32 v3, 0x80000000, v3
	v_lshl_add_u32 v4, v5, 23, 0x37800000
	s_delay_alu instid0(VALU_DEP_3) | instskip(NEXT) | instid1(VALU_DEP_1)
	v_lshlrev_b32_e32 v2, 21, v2
	v_or3_b32 v2, v3, v4, v2
.LBB18_188:
	s_or_b32 exec_lo, exec_lo, s16
	s_mov_b32 s11, 0
	s_branch .LBB18_194
.LBB18_189:
	s_mov_b32 s16, -1
                                        ; implicit-def: $vgpr2
	s_branch .LBB18_200
.LBB18_190:
	s_or_saveexec_b32 s16, s16
	v_mov_b32_e32 v2, 0x7f800001
	s_xor_b32 exec_lo, exec_lo, s16
	s_cbranch_execz .LBB18_174
.LBB18_191:
	v_cmp_ne_u16_e32 vcc_lo, 0, v3
	v_mov_b32_e32 v2, 0
	s_and_not1_b32 s11, s11, exec_lo
	s_and_b32 s17, vcc_lo, exec_lo
	s_delay_alu instid0(SALU_CYCLE_1)
	s_or_b32 s11, s11, s17
	s_or_b32 exec_lo, exec_lo, s16
	s_and_saveexec_b32 s16, s11
	s_cbranch_execnz .LBB18_175
	s_branch .LBB18_176
.LBB18_192:
	s_mov_b32 s11, -1
                                        ; implicit-def: $vgpr2
	s_branch .LBB18_197
.LBB18_193:
	s_mov_b32 s11, -1
                                        ; implicit-def: $vgpr2
.LBB18_194:
	s_delay_alu instid0(SALU_CYCLE_1)
	s_and_b32 vcc_lo, exec_lo, s11
	s_cbranch_vccz .LBB18_196
; %bb.195:
	global_load_u8 v2, v[0:1], off
	s_wait_loadcnt 0x0
	v_lshlrev_b32_e32 v2, 24, v2
	s_delay_alu instid0(VALU_DEP_1) | instskip(NEXT) | instid1(VALU_DEP_1)
	v_and_b32_e32 v3, 0x7f000000, v2
	v_clz_i32_u32_e32 v4, v3
	v_cmp_ne_u32_e32 vcc_lo, 0, v3
	v_add_nc_u32_e32 v6, 0x1000000, v3
	s_delay_alu instid0(VALU_DEP_3) | instskip(NEXT) | instid1(VALU_DEP_1)
	v_min_u32_e32 v4, 32, v4
	v_sub_nc_u32_e64 v4, v4, 4 clamp
	s_delay_alu instid0(VALU_DEP_1) | instskip(NEXT) | instid1(VALU_DEP_1)
	v_dual_lshlrev_b32 v5, v4, v3 :: v_dual_lshlrev_b32 v4, 23, v4
	v_lshrrev_b32_e32 v5, 4, v5
	s_delay_alu instid0(VALU_DEP_1) | instskip(NEXT) | instid1(VALU_DEP_1)
	v_dual_sub_nc_u32 v4, v5, v4 :: v_dual_ashrrev_i32 v5, 8, v6
	v_add_nc_u32_e32 v4, 0x3c000000, v4
	s_delay_alu instid0(VALU_DEP_1) | instskip(NEXT) | instid1(VALU_DEP_1)
	v_and_or_b32 v4, 0x7f800000, v5, v4
	v_cndmask_b32_e32 v3, 0, v4, vcc_lo
	s_delay_alu instid0(VALU_DEP_1)
	v_and_or_b32 v2, 0x80000000, v2, v3
.LBB18_196:
	s_mov_b32 s11, 0
.LBB18_197:
	s_delay_alu instid0(SALU_CYCLE_1)
	s_and_not1_b32 vcc_lo, exec_lo, s11
	s_cbranch_vccnz .LBB18_199
; %bb.198:
	global_load_u8 v2, v[0:1], off
	s_wait_loadcnt 0x0
	v_lshlrev_b32_e32 v3, 25, v2
	v_lshlrev_b16 v2, 8, v2
	s_delay_alu instid0(VALU_DEP_1) | instskip(SKIP_1) | instid1(VALU_DEP_2)
	v_and_or_b32 v5, 0x7f00, v2, 0.5
	v_bfe_i32 v2, v2, 0, 16
	v_dual_add_f32 v5, -0.5, v5 :: v_dual_lshrrev_b32 v4, 4, v3
	v_cmp_gt_u32_e32 vcc_lo, 0x8000000, v3
	s_delay_alu instid0(VALU_DEP_2) | instskip(NEXT) | instid1(VALU_DEP_1)
	v_or_b32_e32 v4, 0x70000000, v4
	v_mul_f32_e32 v4, 0x7800000, v4
	s_delay_alu instid0(VALU_DEP_1) | instskip(NEXT) | instid1(VALU_DEP_1)
	v_cndmask_b32_e32 v3, v4, v5, vcc_lo
	v_and_or_b32 v2, 0x80000000, v2, v3
.LBB18_199:
	s_mov_b32 s16, 0
	s_mov_b32 s11, -1
.LBB18_200:
	s_and_not1_b32 vcc_lo, exec_lo, s16
	s_cbranch_vccnz .LBB18_213
; %bb.201:
	s_cmp_gt_i32 s0, 14
	s_cbranch_scc0 .LBB18_204
; %bb.202:
	s_cmp_eq_u32 s0, 15
	s_cbranch_scc0 .LBB18_207
; %bb.203:
	global_load_u16 v2, v[0:1], off
	s_mov_b32 s11, -1
	s_mov_b32 s13, 0
	s_wait_loadcnt 0x0
	v_lshlrev_b32_e32 v2, 16, v2
	s_branch .LBB18_208
.LBB18_204:
	s_mov_b32 s16, -1
                                        ; implicit-def: $vgpr2
	s_branch .LBB18_209
.LBB18_205:
	s_or_saveexec_b32 s16, s16
	v_mov_b32_e32 v2, 0x7f800001
	s_xor_b32 exec_lo, exec_lo, s16
	s_cbranch_execz .LBB18_186
.LBB18_206:
	v_cmp_ne_u16_e32 vcc_lo, 0, v3
	v_mov_b32_e32 v2, 0
	s_and_not1_b32 s11, s11, exec_lo
	s_and_b32 s17, vcc_lo, exec_lo
	s_delay_alu instid0(SALU_CYCLE_1)
	s_or_b32 s11, s11, s17
	s_or_b32 exec_lo, exec_lo, s16
	s_and_saveexec_b32 s16, s11
	s_cbranch_execnz .LBB18_187
	s_branch .LBB18_188
.LBB18_207:
	s_mov_b32 s13, -1
                                        ; implicit-def: $vgpr2
.LBB18_208:
	s_mov_b32 s16, 0
.LBB18_209:
	s_delay_alu instid0(SALU_CYCLE_1)
	s_and_b32 vcc_lo, exec_lo, s16
	s_cbranch_vccz .LBB18_213
; %bb.210:
	s_cmp_eq_u32 s0, 11
	s_cbranch_scc0 .LBB18_212
; %bb.211:
	global_load_u8 v2, v[0:1], off
	s_mov_b32 s13, 0
	s_mov_b32 s11, -1
	s_wait_loadcnt 0x0
	v_cmp_ne_u16_e32 vcc_lo, 0, v2
	v_cndmask_b32_e64 v2, 0, 1.0, vcc_lo
	s_branch .LBB18_213
.LBB18_212:
	s_mov_b32 s13, -1
                                        ; implicit-def: $vgpr2
.LBB18_213:
	s_branch .LBB18_10
.LBB18_214:
	s_cmp_lt_i32 s0, 5
	s_cbranch_scc1 .LBB18_219
; %bb.215:
	s_cmp_lt_i32 s0, 8
	s_cbranch_scc1 .LBB18_220
; %bb.216:
	;; [unrolled: 3-line block ×3, first 2 shown]
	s_cmp_gt_i32 s0, 9
	s_cbranch_scc0 .LBB18_222
; %bb.218:
	global_load_b64 v[2:3], v[0:1], off
	s_mov_b32 s11, 0
	s_wait_loadcnt 0x0
	v_cvt_f32_f64_e32 v2, v[2:3]
	s_branch .LBB18_223
.LBB18_219:
                                        ; implicit-def: $vgpr2
	s_branch .LBB18_241
.LBB18_220:
	s_mov_b32 s11, -1
                                        ; implicit-def: $vgpr2
	s_branch .LBB18_229
.LBB18_221:
	s_mov_b32 s11, -1
                                        ; implicit-def: $vgpr2
	s_branch .LBB18_226
.LBB18_222:
	s_mov_b32 s11, -1
                                        ; implicit-def: $vgpr2
.LBB18_223:
	s_delay_alu instid0(SALU_CYCLE_1)
	s_and_not1_b32 vcc_lo, exec_lo, s11
	s_cbranch_vccnz .LBB18_225
; %bb.224:
	global_load_b32 v2, v[0:1], off
.LBB18_225:
	s_mov_b32 s11, 0
.LBB18_226:
	s_delay_alu instid0(SALU_CYCLE_1)
	s_and_not1_b32 vcc_lo, exec_lo, s11
	s_cbranch_vccnz .LBB18_228
; %bb.227:
	s_wait_loadcnt 0x0
	global_load_b32 v2, v[0:1], off
	s_wait_loadcnt 0x0
	v_cvt_f32_f16_e32 v2, v2
.LBB18_228:
	s_mov_b32 s11, 0
.LBB18_229:
	s_delay_alu instid0(SALU_CYCLE_1)
	s_and_not1_b32 vcc_lo, exec_lo, s11
	s_cbranch_vccnz .LBB18_240
; %bb.230:
	s_cmp_lt_i32 s0, 6
	s_cbranch_scc1 .LBB18_233
; %bb.231:
	s_cmp_gt_i32 s0, 6
	s_cbranch_scc0 .LBB18_234
; %bb.232:
	s_wait_loadcnt 0x0
	global_load_b64 v[2:3], v[0:1], off
	s_mov_b32 s11, 0
	s_wait_loadcnt 0x0
	v_cvt_f32_f64_e32 v2, v[2:3]
	s_branch .LBB18_235
.LBB18_233:
	s_mov_b32 s11, -1
                                        ; implicit-def: $vgpr2
	s_branch .LBB18_238
.LBB18_234:
	s_mov_b32 s11, -1
                                        ; implicit-def: $vgpr2
.LBB18_235:
	s_delay_alu instid0(SALU_CYCLE_1)
	s_and_not1_b32 vcc_lo, exec_lo, s11
	s_cbranch_vccnz .LBB18_237
; %bb.236:
	s_wait_loadcnt 0x0
	global_load_b32 v2, v[0:1], off
.LBB18_237:
	s_mov_b32 s11, 0
.LBB18_238:
	s_delay_alu instid0(SALU_CYCLE_1)
	s_and_not1_b32 vcc_lo, exec_lo, s11
	s_cbranch_vccnz .LBB18_240
; %bb.239:
	s_wait_loadcnt 0x0
	global_load_u16 v2, v[0:1], off
	s_wait_loadcnt 0x0
	v_cvt_f32_f16_e32 v2, v2
.LBB18_240:
	s_cbranch_execnz .LBB18_260
.LBB18_241:
	s_cmp_lt_i32 s0, 2
	s_cbranch_scc1 .LBB18_245
; %bb.242:
	s_cmp_lt_i32 s0, 3
	s_cbranch_scc1 .LBB18_246
; %bb.243:
	s_cmp_gt_i32 s0, 3
	s_cbranch_scc0 .LBB18_247
; %bb.244:
	s_wait_loadcnt 0x0
	global_load_b64 v[2:3], v[0:1], off
	s_mov_b32 s11, 0
	s_wait_loadcnt 0x0
	v_xor_b32_e32 v4, v2, v3
	v_cls_i32_e32 v5, v3
	s_delay_alu instid0(VALU_DEP_2) | instskip(NEXT) | instid1(VALU_DEP_1)
	v_ashrrev_i32_e32 v4, 31, v4
	v_add_nc_u32_e32 v4, 32, v4
	s_delay_alu instid0(VALU_DEP_1) | instskip(NEXT) | instid1(VALU_DEP_1)
	v_add_min_u32_e64 v4, v5, -1, v4
	v_lshlrev_b64_e32 v[2:3], v4, v[2:3]
	s_delay_alu instid0(VALU_DEP_1) | instskip(NEXT) | instid1(VALU_DEP_1)
	v_min_u32_e32 v2, 1, v2
	v_dual_sub_nc_u32 v3, 32, v4 :: v_dual_bitop2_b32 v2, v3, v2 bitop3:0x54
	s_delay_alu instid0(VALU_DEP_1) | instskip(NEXT) | instid1(VALU_DEP_1)
	v_cvt_f32_i32_e32 v2, v2
	v_ldexp_f32 v2, v2, v3
	s_branch .LBB18_248
.LBB18_245:
	s_mov_b32 s11, -1
                                        ; implicit-def: $vgpr2
	s_branch .LBB18_254
.LBB18_246:
	s_mov_b32 s11, -1
                                        ; implicit-def: $vgpr2
	s_branch .LBB18_251
.LBB18_247:
	s_mov_b32 s11, -1
                                        ; implicit-def: $vgpr2
.LBB18_248:
	s_delay_alu instid0(SALU_CYCLE_1)
	s_and_not1_b32 vcc_lo, exec_lo, s11
	s_cbranch_vccnz .LBB18_250
; %bb.249:
	s_wait_loadcnt 0x0
	global_load_b32 v2, v[0:1], off
	s_wait_loadcnt 0x0
	v_cvt_f32_i32_e32 v2, v2
.LBB18_250:
	s_mov_b32 s11, 0
.LBB18_251:
	s_delay_alu instid0(SALU_CYCLE_1)
	s_and_not1_b32 vcc_lo, exec_lo, s11
	s_cbranch_vccnz .LBB18_253
; %bb.252:
	s_wait_loadcnt 0x0
	global_load_i16 v2, v[0:1], off
	s_wait_loadcnt 0x0
	v_cvt_f32_i32_e32 v2, v2
.LBB18_253:
	s_mov_b32 s11, 0
.LBB18_254:
	s_delay_alu instid0(SALU_CYCLE_1)
	s_and_not1_b32 vcc_lo, exec_lo, s11
	s_cbranch_vccnz .LBB18_260
; %bb.255:
	s_cmp_gt_i32 s0, 0
	s_mov_b32 s0, 0
	s_cbranch_scc0 .LBB18_257
; %bb.256:
	s_wait_loadcnt 0x0
	global_load_i8 v2, v[0:1], off
	s_wait_loadcnt 0x0
	v_cvt_f32_i32_e32 v2, v2
	s_branch .LBB18_258
.LBB18_257:
	s_mov_b32 s0, -1
                                        ; implicit-def: $vgpr2
.LBB18_258:
	s_delay_alu instid0(SALU_CYCLE_1)
	s_and_not1_b32 vcc_lo, exec_lo, s0
	s_cbranch_vccnz .LBB18_260
; %bb.259:
	global_load_u8 v0, v[0:1], off
	s_wait_loadcnt 0x0
	v_cvt_f32_ubyte0_e32 v2, v0
.LBB18_260:
	s_branch .LBB18_11
.LBB18_261:
	s_mov_b32 s0, 0
.LBB18_262:
	s_mov_b32 s16, 0
                                        ; implicit-def: $vgpr8
.LBB18_263:
	s_and_b32 s11, s0, exec_lo
	s_and_b32 s13, s13, exec_lo
	s_or_not1_b32 s17, s16, exec_lo
.LBB18_264:
	s_wait_xcnt 0x0
	s_or_b32 exec_lo, exec_lo, s14
	s_mov_b32 s16, 0
	s_mov_b32 s0, 0
                                        ; implicit-def: $vgpr0_vgpr1
                                        ; implicit-def: $vgpr4
	s_and_saveexec_b32 s14, s17
	s_cbranch_execz .LBB18_273
; %bb.265:
	s_mov_b32 s0, -1
	s_mov_b32 s15, s13
	s_mov_b32 s16, s11
	s_mov_b32 s17, exec_lo
	v_cmpx_gt_i32_e64 s12, v8
	s_cbranch_execz .LBB18_539
; %bb.266:
	v_mul_lo_u32 v0, v8, s3
	s_and_b32 s0, 0xffff, s9
	s_delay_alu instid0(SALU_CYCLE_1) | instskip(NEXT) | instid1(VALU_DEP_1)
	s_cmp_lt_i32 s0, 11
	v_ashrrev_i32_e32 v1, 31, v0
	s_delay_alu instid0(VALU_DEP_1)
	v_add_nc_u64_e32 v[0:1], s[6:7], v[0:1]
	s_cbranch_scc1 .LBB18_276
; %bb.267:
	s_cmp_gt_i32 s0, 25
	s_cbranch_scc0 .LBB18_297
; %bb.268:
	s_cmp_gt_i32 s0, 28
	s_cbranch_scc0 .LBB18_299
; %bb.269:
	s_cmp_gt_i32 s0, 43
	s_cbranch_scc0 .LBB18_301
; %bb.270:
	s_cmp_gt_i32 s0, 45
	s_cbranch_scc0 .LBB18_305
; %bb.271:
	s_cmp_eq_u32 s0, 46
	s_mov_b32 s18, 0
	s_cbranch_scc0 .LBB18_309
; %bb.272:
	s_wait_loadcnt 0x0
	global_load_b32 v2, v[0:1], off
	s_mov_b32 s16, -1
	s_mov_b32 s15, 0
	s_wait_loadcnt 0x0
	v_lshlrev_b32_e32 v2, 16, v2
	s_branch .LBB18_311
.LBB18_273:
	s_or_b32 exec_lo, exec_lo, s14
	s_mov_b32 s12, 0
	s_and_saveexec_b32 s14, s13
	s_cbranch_execnz .LBB18_899
.LBB18_274:
	s_or_b32 exec_lo, exec_lo, s14
	s_and_saveexec_b32 s13, s15
	s_delay_alu instid0(SALU_CYCLE_1)
	s_xor_b32 s13, exec_lo, s13
	s_cbranch_execz .LBB18_900
.LBB18_275:
	s_wait_loadcnt 0x0
	global_load_u8 v2, v[0:1], off
	s_or_b32 s0, s0, exec_lo
	s_wait_loadcnt 0x0
	v_cmp_ne_u16_e32 vcc_lo, 0, v2
	v_cndmask_b32_e64 v4, 0, 1.0, vcc_lo
	s_wait_xcnt 0x0
	s_or_b32 exec_lo, exec_lo, s13
	s_and_saveexec_b32 s13, s16
	s_cbranch_execz .LBB18_946
	s_branch .LBB18_901
.LBB18_276:
	s_mov_b32 s16, 0
	s_mov_b32 s15, s13
                                        ; implicit-def: $vgpr2
	s_cbranch_execnz .LBB18_488
.LBB18_277:
	s_and_not1_b32 vcc_lo, exec_lo, s16
	s_cbranch_vccnz .LBB18_536
.LBB18_278:
	s_wait_loadcnt 0x0
	s_delay_alu instid0(VALU_DEP_1)
	v_mul_f32_e64 v1, 0x3fb8aa3b, |v2|
	s_mov_b32 s16, exec_lo
                                        ; implicit-def: $vgpr0
	v_cmpx_ge_f32_e64 0x41000000, |v2|
	s_xor_b32 s16, exec_lo, s16
	s_cbranch_execz .LBB18_284
; %bb.279:
	v_fma_f32 v0, |v2|, 0.5, -2.0
	s_mov_b32 s0, 0x224cf950
	v_rndne_f32_e32 v5, v1
	v_fma_f32 v6, 0x3fb8aa3b, |v2|, -v1
	v_cmp_ngt_f32_e64 vcc_lo, 0xc2ce8ed0, |v2|
	v_fmaak_f32 v3, s0, v0, 0xa3c2be86
	v_cmp_nlt_f32_e64 s0, 0x42b17218, |v2|
	v_sub_f32_e32 v1, v1, v5
	v_fma_f32 v6, 0x32a5705f, |v2|, v6
	s_delay_alu instid0(VALU_DEP_1) | instskip(NEXT) | instid1(VALU_DEP_1)
	v_dual_fmaak_f32 v4, v0, v3, 0xa24cf950 :: v_dual_add_f32 v1, v1, v6
	v_add_f32_e32 v4, 0x25331f1f, v4
	s_delay_alu instid0(VALU_DEP_2) | instskip(NEXT) | instid1(VALU_DEP_1)
	v_exp_f32_e32 v1, v1
	v_fma_f32 v3, v0, v4, -v3
	s_delay_alu instid0(VALU_DEP_1) | instskip(NEXT) | instid1(VALU_DEP_1)
	v_add_f32_e32 v3, 0xa69f5554, v3
	v_fma_f32 v4, v0, v3, -v4
	s_delay_alu instid0(VALU_DEP_1) | instskip(NEXT) | instid1(VALU_DEP_1)
	v_add_f32_e32 v4, 0x2808ebf8, v4
	;; [unrolled: 3-line block ×25, first 2 shown]
	v_fma_f32 v0, v0, v3, -v4
	v_cvt_i32_f32_e32 v3, v5
	s_delay_alu instid0(VALU_DEP_2) | instskip(NEXT) | instid1(VALU_DEP_2)
	v_add_f32_e32 v0, 0x3e81531c, v0
	v_ldexp_f32 v1, v1, v3
	s_delay_alu instid0(VALU_DEP_1) | instskip(SKIP_1) | instid1(VALU_DEP_2)
	v_dual_sub_f32 v0, v0, v4 :: v_dual_cndmask_b32 v3, 0, v1
	v_cmp_ngt_f32_e32 vcc_lo, 0, v2
	v_mul_f32_e32 v0, 0.5, v0
	s_delay_alu instid0(VALU_DEP_1) | instskip(NEXT) | instid1(VALU_DEP_4)
	v_mul_f32_e64 v1, |v2|, v0
	v_cndmask_b32_e64 v2, 0x7f800000, v3, s0
                                        ; implicit-def: $vgpr0
	s_and_saveexec_b32 s0, vcc_lo
	s_delay_alu instid0(SALU_CYCLE_1)
	s_xor_b32 s0, exec_lo, s0
; %bb.280:
	s_delay_alu instid0(VALU_DEP_1)
	v_mul_f32_e32 v0, v2, v1
                                        ; implicit-def: $vgpr2
                                        ; implicit-def: $vgpr1
; %bb.281:
	s_and_not1_saveexec_b32 s0, s0
; %bb.282:
	v_mul_f32_e64 v0, v1, -v2
; %bb.283:
	s_or_b32 exec_lo, exec_lo, s0
                                        ; implicit-def: $vgpr2
                                        ; implicit-def: $vgpr1
.LBB18_284:
	s_and_not1_saveexec_b32 s16, s16
	s_cbranch_execz .LBB18_290
; %bb.285:
	v_and_b32_e32 v0, 0x7fffffff, v2
	s_mov_b32 s0, 0x230aab6e
	s_delay_alu instid0(VALU_DEP_1) | instskip(SKIP_1) | instid1(VALU_DEP_2)
	v_div_scale_f32 v3, null, v0, v0, 0x42000000
	v_div_scale_f32 v0, vcc_lo, 0x42000000, v0, 0x42000000
	v_rcp_f32_e32 v4, v3
	v_nop
	s_delay_alu instid0(TRANS32_DEP_1) | instskip(NEXT) | instid1(VALU_DEP_1)
	v_fma_f32 v5, -v3, v4, 1.0
	v_fmac_f32_e32 v4, v5, v4
	s_delay_alu instid0(VALU_DEP_1) | instskip(NEXT) | instid1(VALU_DEP_1)
	v_mul_f32_e32 v5, v0, v4
	v_fma_f32 v6, -v3, v5, v0
	s_delay_alu instid0(VALU_DEP_1) | instskip(SKIP_1) | instid1(VALU_DEP_2)
	v_fmac_f32_e32 v5, v6, v4
	v_fma_f32 v6, 0x3fb8aa3b, |v2|, -v1
	v_fma_f32 v0, -v3, v5, v0
	s_delay_alu instid0(VALU_DEP_2) | instskip(NEXT) | instid1(VALU_DEP_2)
	v_fma_f32 v6, 0x32a5705f, |v2|, v6
	v_div_fmas_f32 v0, v0, v4, v5
	v_rndne_f32_e32 v5, v1
	v_cmp_ngt_f32_e64 vcc_lo, 0xc2ce8ed0, |v2|
	s_delay_alu instid0(VALU_DEP_3) | instskip(NEXT) | instid1(VALU_DEP_3)
	v_div_fixup_f32 v0, v0, |v2|, 0x42000000
	v_sub_f32_e32 v1, v1, v5
	v_cvt_i32_f32_e32 v5, v5
	s_delay_alu instid0(VALU_DEP_2) | instskip(NEXT) | instid1(VALU_DEP_1)
	v_dual_add_f32 v0, -2.0, v0 :: v_dual_add_f32 v1, v1, v6
	v_fmaak_f32 v3, s0, v0, 0x22a2dc57
	v_cmp_nlt_f32_e64 s0, 0x42b17218, |v2|
	s_delay_alu instid0(VALU_DEP_3) | instskip(NEXT) | instid1(VALU_DEP_2)
	v_exp_f32_e32 v1, v1
	v_fmaak_f32 v4, v0, v3, 0xa30aab6e
	s_delay_alu instid0(TRANS32_DEP_1) | instskip(NEXT) | instid1(VALU_DEP_1)
	v_ldexp_f32 v1, v1, v5
	v_dual_add_f32 v4, 0xa456751e, v4 :: v_dual_cndmask_b32 v1, 0, v1
	s_delay_alu instid0(VALU_DEP_1) | instskip(NEXT) | instid1(VALU_DEP_2)
	v_fma_f32 v3, v0, v4, -v3
	v_cndmask_b32_e64 v1, 0x7f800000, v1, s0
	s_delay_alu instid0(VALU_DEP_2) | instskip(SKIP_1) | instid1(VALU_DEP_1)
	v_add_f32_e32 v3, 0xa4140365, v3
	s_mov_b32 s0, exec_lo
	v_fma_f32 v4, v0, v3, -v4
	s_delay_alu instid0(VALU_DEP_1) | instskip(NEXT) | instid1(VALU_DEP_1)
	v_add_f32_e32 v4, 0x25aac8b0, v4
	v_fma_f32 v3, v0, v4, -v3
	s_delay_alu instid0(VALU_DEP_1) | instskip(NEXT) | instid1(VALU_DEP_1)
	v_add_f32_e32 v3, 0x25beb473, v3
	;; [unrolled: 3-line block ×21, first 2 shown]
	v_sub_f32_e32 v3, v0, v4
	v_mul_f32_e64 v4, 0x4f800000, |v2|
                                        ; implicit-def: $vgpr0
	v_cmpx_ngt_f32_e32 0, v2
	s_xor_b32 s18, exec_lo, s0
	s_cbranch_execz .LBB18_287
; %bb.286:
	v_cmp_gt_f32_e64 vcc_lo, 0xf800000, |v2|
	v_mul_f32_e32 v3, 0.5, v3
	s_delay_alu instid0(VALU_DEP_2) | instskip(NEXT) | instid1(VALU_DEP_2)
	v_cndmask_b32_e64 v0, |v2|, v4, vcc_lo
	v_mul_f32_e32 v1, v1, v3
	s_delay_alu instid0(VALU_DEP_2) | instskip(SKIP_1) | instid1(TRANS32_DEP_1)
	v_sqrt_f32_e32 v2, v0
	v_nop
	v_dual_add_nc_u32 v4, -1, v2 :: v_dual_add_nc_u32 v5, 1, v2
	s_delay_alu instid0(VALU_DEP_1) | instskip(NEXT) | instid1(VALU_DEP_1)
	v_dual_fma_f32 v6, -v4, v2, v0 :: v_dual_fma_f32 v7, -v5, v2, v0
	v_cmp_ge_f32_e64 s0, 0, v6
	s_delay_alu instid0(VALU_DEP_1) | instskip(NEXT) | instid1(VALU_DEP_3)
	v_cndmask_b32_e64 v2, v2, v4, s0
	v_cmp_lt_f32_e64 s0, 0, v7
	s_delay_alu instid0(VALU_DEP_1) | instskip(NEXT) | instid1(VALU_DEP_1)
	v_cndmask_b32_e64 v2, v2, v5, s0
	v_mul_f32_e32 v4, 0x37800000, v2
	s_delay_alu instid0(VALU_DEP_1) | instskip(SKIP_1) | instid1(VALU_DEP_2)
	v_cndmask_b32_e32 v2, v2, v4, vcc_lo
	v_cmp_class_f32_e64 vcc_lo, v0, 0x260
	v_cndmask_b32_e32 v0, v2, v0, vcc_lo
	s_delay_alu instid0(VALU_DEP_1) | instskip(NEXT) | instid1(VALU_DEP_1)
	v_div_scale_f32 v2, null, v0, v0, v1
	v_rcp_f32_e32 v3, v2
	v_nop
	s_delay_alu instid0(TRANS32_DEP_1) | instskip(NEXT) | instid1(VALU_DEP_1)
	v_fma_f32 v4, -v2, v3, 1.0
	v_fmac_f32_e32 v3, v4, v3
	v_div_scale_f32 v4, vcc_lo, v1, v0, v1
	s_delay_alu instid0(VALU_DEP_1) | instskip(NEXT) | instid1(VALU_DEP_1)
	v_mul_f32_e32 v5, v4, v3
	v_fma_f32 v6, -v2, v5, v4
	s_delay_alu instid0(VALU_DEP_1) | instskip(NEXT) | instid1(VALU_DEP_1)
	v_fmac_f32_e32 v5, v6, v3
	v_fma_f32 v2, -v2, v5, v4
                                        ; implicit-def: $vgpr4
	s_delay_alu instid0(VALU_DEP_1) | instskip(NEXT) | instid1(VALU_DEP_1)
	v_div_fmas_f32 v2, v2, v3, v5
                                        ; implicit-def: $vgpr3
	v_div_fixup_f32 v0, v2, v0, v1
                                        ; implicit-def: $vgpr2
                                        ; implicit-def: $vgpr1
.LBB18_287:
	s_and_not1_saveexec_b32 s18, s18
	s_cbranch_execz .LBB18_289
; %bb.288:
	v_cmp_gt_f32_e64 vcc_lo, 0xf800000, |v2|
	v_mul_f32_e32 v3, -0.5, v3
	s_delay_alu instid0(VALU_DEP_2) | instskip(NEXT) | instid1(VALU_DEP_2)
	v_cndmask_b32_e64 v0, |v2|, v4, vcc_lo
	v_mul_f32_e32 v1, v1, v3
	s_delay_alu instid0(VALU_DEP_2) | instskip(SKIP_1) | instid1(TRANS32_DEP_1)
	v_sqrt_f32_e32 v2, v0
	v_nop
	v_dual_add_nc_u32 v4, -1, v2 :: v_dual_add_nc_u32 v5, 1, v2
	s_delay_alu instid0(VALU_DEP_1) | instskip(NEXT) | instid1(VALU_DEP_1)
	v_dual_fma_f32 v6, -v4, v2, v0 :: v_dual_fma_f32 v7, -v5, v2, v0
	v_cmp_ge_f32_e64 s0, 0, v6
	s_delay_alu instid0(VALU_DEP_1) | instskip(NEXT) | instid1(VALU_DEP_3)
	v_cndmask_b32_e64 v2, v2, v4, s0
	v_cmp_lt_f32_e64 s0, 0, v7
	s_delay_alu instid0(VALU_DEP_1) | instskip(NEXT) | instid1(VALU_DEP_1)
	v_cndmask_b32_e64 v2, v2, v5, s0
	v_mul_f32_e32 v4, 0x37800000, v2
	s_delay_alu instid0(VALU_DEP_1) | instskip(SKIP_1) | instid1(VALU_DEP_2)
	v_cndmask_b32_e32 v2, v2, v4, vcc_lo
	v_cmp_class_f32_e64 vcc_lo, v0, 0x260
	v_cndmask_b32_e32 v0, v2, v0, vcc_lo
	s_delay_alu instid0(VALU_DEP_1) | instskip(NEXT) | instid1(VALU_DEP_1)
	v_div_scale_f32 v2, null, v0, v0, v1
	v_rcp_f32_e32 v3, v2
	v_nop
	s_delay_alu instid0(TRANS32_DEP_1) | instskip(NEXT) | instid1(VALU_DEP_1)
	v_fma_f32 v4, -v2, v3, 1.0
	v_fmac_f32_e32 v3, v4, v3
	v_div_scale_f32 v4, vcc_lo, v1, v0, v1
	s_delay_alu instid0(VALU_DEP_1) | instskip(NEXT) | instid1(VALU_DEP_1)
	v_mul_f32_e32 v5, v4, v3
	v_fma_f32 v6, -v2, v5, v4
	s_delay_alu instid0(VALU_DEP_1) | instskip(NEXT) | instid1(VALU_DEP_1)
	v_fmac_f32_e32 v5, v6, v3
	v_fma_f32 v2, -v2, v5, v4
	s_delay_alu instid0(VALU_DEP_1) | instskip(NEXT) | instid1(VALU_DEP_1)
	v_div_fmas_f32 v2, v2, v3, v5
	v_div_fixup_f32 v0, v2, v0, v1
.LBB18_289:
	s_or_b32 exec_lo, exec_lo, s18
.LBB18_290:
	s_delay_alu instid0(SALU_CYCLE_1) | instskip(SKIP_2) | instid1(SALU_CYCLE_1)
	s_or_b32 exec_lo, exec_lo, s16
	v_mul_lo_u32 v2, v8, s2
	s_and_b32 s16, s8, 0xff
	s_cmp_lt_i32 s16, 11
	s_delay_alu instid0(VALU_DEP_1) | instskip(NEXT) | instid1(VALU_DEP_1)
	v_ashrrev_i32_e32 v3, 31, v2
	v_add_nc_u64_e32 v[2:3], s[4:5], v[2:3]
	s_cbranch_scc1 .LBB18_298
; %bb.291:
	s_and_b32 s18, 0xffff, s16
	s_delay_alu instid0(SALU_CYCLE_1)
	s_cmp_gt_i32 s18, 25
	s_cbranch_scc0 .LBB18_300
; %bb.292:
	s_cmp_gt_i32 s18, 28
	s_cbranch_scc0 .LBB18_302
; %bb.293:
	;; [unrolled: 3-line block ×4, first 2 shown]
	s_mov_b32 s20, 0
	s_mov_b32 s0, -1
	s_cmp_eq_u32 s18, 46
	s_mov_b32 s19, 0
	s_cbranch_scc0 .LBB18_315
; %bb.296:
	v_bfe_u32 v1, v0, 16, 1
	v_cmp_o_f32_e32 vcc_lo, v0, v0
	s_mov_b32 s19, -1
	s_mov_b32 s0, 0
	s_delay_alu instid0(VALU_DEP_2) | instskip(NEXT) | instid1(VALU_DEP_1)
	v_add3_u32 v1, v0, v1, 0x7fff
	v_lshrrev_b32_e32 v1, 16, v1
	s_delay_alu instid0(VALU_DEP_1)
	v_cndmask_b32_e32 v1, 0x7fc0, v1, vcc_lo
	global_store_b32 v[2:3], v1, off
	s_branch .LBB18_315
.LBB18_297:
	s_mov_b32 s18, -1
	s_mov_b32 s16, 0
	s_mov_b32 s15, s13
                                        ; implicit-def: $vgpr2
	s_branch .LBB18_452
.LBB18_298:
	s_mov_b32 s18, -1
	s_mov_b32 s19, 0
	s_mov_b32 s0, s11
	s_branch .LBB18_384
.LBB18_299:
	s_mov_b32 s18, -1
	s_mov_b32 s16, 0
	s_mov_b32 s15, s13
                                        ; implicit-def: $vgpr2
	s_branch .LBB18_433
.LBB18_300:
	s_mov_b32 s20, -1
	s_mov_b32 s19, 0
	s_mov_b32 s0, s11
	s_branch .LBB18_342
.LBB18_301:
	s_mov_b32 s18, -1
	s_mov_b32 s16, 0
	s_mov_b32 s15, s13
                                        ; implicit-def: $vgpr2
	s_branch .LBB18_428
.LBB18_302:
	s_mov_b32 s20, -1
	s_mov_b32 s19, 0
	s_mov_b32 s0, s11
	s_branch .LBB18_325
.LBB18_303:
	s_and_not1_saveexec_b32 s19, s19
	s_cbranch_execz .LBB18_66
.LBB18_304:
	v_add_f32_e64 v1, 0x46000000, |v0|
	s_and_not1_b32 s18, s18, exec_lo
	s_delay_alu instid0(VALU_DEP_1) | instskip(NEXT) | instid1(VALU_DEP_1)
	v_and_b32_e32 v1, 0xff, v1
	v_cmp_ne_u32_e32 vcc_lo, 0, v1
	s_and_b32 s20, vcc_lo, exec_lo
	s_delay_alu instid0(SALU_CYCLE_1)
	s_or_b32 s18, s18, s20
	s_or_b32 exec_lo, exec_lo, s19
	v_mov_b32_e32 v4, 0
	s_and_saveexec_b32 s19, s18
	s_cbranch_execnz .LBB18_67
	s_branch .LBB18_68
.LBB18_305:
	s_mov_b32 s18, -1
	s_mov_b32 s16, 0
	s_mov_b32 s15, s13
	s_branch .LBB18_310
.LBB18_306:
	s_mov_b32 s20, -1
	s_mov_b32 s19, 0
	s_mov_b32 s0, s11
	s_branch .LBB18_321
.LBB18_307:
	s_and_not1_saveexec_b32 s19, s19
	s_cbranch_execz .LBB18_79
.LBB18_308:
	v_add_f32_e64 v1, 0x42800000, |v0|
	s_and_not1_b32 s18, s18, exec_lo
	s_delay_alu instid0(VALU_DEP_1) | instskip(NEXT) | instid1(VALU_DEP_1)
	v_and_b32_e32 v1, 0xff, v1
	v_cmp_ne_u32_e32 vcc_lo, 0, v1
	s_and_b32 s20, vcc_lo, exec_lo
	s_delay_alu instid0(SALU_CYCLE_1)
	s_or_b32 s18, s18, s20
	s_or_b32 exec_lo, exec_lo, s19
	v_mov_b32_e32 v4, 0
	s_and_saveexec_b32 s19, s18
	s_cbranch_execnz .LBB18_80
	s_branch .LBB18_81
.LBB18_309:
	s_mov_b32 s15, -1
	s_mov_b32 s16, 0
.LBB18_310:
                                        ; implicit-def: $vgpr2
.LBB18_311:
	s_and_b32 vcc_lo, exec_lo, s18
	s_cbranch_vccz .LBB18_427
; %bb.312:
	s_cmp_eq_u32 s0, 44
	s_cbranch_scc0 .LBB18_426
; %bb.313:
	s_wait_loadcnt 0x0
	global_load_u8 v2, v[0:1], off
	s_mov_b32 s15, 0
	s_mov_b32 s16, -1
	s_wait_loadcnt 0x0
	v_lshlrev_b32_e32 v3, 23, v2
	v_cmp_ne_u32_e32 vcc_lo, 0xff, v2
	s_delay_alu instid0(VALU_DEP_2) | instskip(SKIP_1) | instid1(VALU_DEP_2)
	v_cndmask_b32_e32 v3, 0x7f800001, v3, vcc_lo
	v_cmp_ne_u32_e32 vcc_lo, 0, v2
	v_cndmask_b32_e32 v2, 0x400000, v3, vcc_lo
	s_branch .LBB18_427
.LBB18_314:
	s_mov_b32 s20, -1
	s_mov_b32 s19, 0
	s_mov_b32 s0, s11
.LBB18_315:
	s_and_b32 vcc_lo, exec_lo, s20
	s_cbranch_vccz .LBB18_320
; %bb.316:
	s_cmp_eq_u32 s18, 44
	s_mov_b32 s0, -1
	s_cbranch_scc0 .LBB18_320
; %bb.317:
	v_bfe_u32 v4, v0, 23, 8
	s_wait_xcnt 0x0
	v_mov_b32_e32 v1, 0xff
	s_mov_b32 s19, exec_lo
	s_delay_alu instid0(VALU_DEP_2)
	v_cmpx_ne_u32_e32 0xff, v4
	s_cbranch_execz .LBB18_319
; %bb.318:
	v_and_b32_e32 v1, 0x400000, v0
	v_and_or_b32 v4, 0x3fffff, v0, v4
	s_delay_alu instid0(VALU_DEP_2) | instskip(NEXT) | instid1(VALU_DEP_2)
	v_cmp_ne_u32_e32 vcc_lo, 0, v1
	v_cmp_ne_u32_e64 s0, 0, v4
	v_lshrrev_b32_e32 v1, 23, v0
	s_and_b32 s0, vcc_lo, s0
	s_delay_alu instid0(SALU_CYCLE_1) | instskip(NEXT) | instid1(VALU_DEP_1)
	v_cndmask_b32_e64 v4, 0, 1, s0
	v_add_nc_u32_e32 v1, v1, v4
.LBB18_319:
	s_or_b32 exec_lo, exec_lo, s19
	s_mov_b32 s19, -1
	s_mov_b32 s0, 0
	global_store_b8 v[2:3], v1, off
.LBB18_320:
	s_mov_b32 s20, 0
.LBB18_321:
	s_delay_alu instid0(SALU_CYCLE_1)
	s_and_b32 vcc_lo, exec_lo, s20
	s_cbranch_vccz .LBB18_324
; %bb.322:
	s_cmp_eq_u32 s18, 29
	s_mov_b32 s0, -1
	s_cbranch_scc0 .LBB18_324
; %bb.323:
	s_wait_xcnt 0x0
	v_trunc_f32_e32 v1, v0
	s_mov_b32 s19, -1
	s_mov_b32 s0, 0
	s_mov_b32 s20, 0
	s_delay_alu instid0(VALU_DEP_1) | instskip(NEXT) | instid1(VALU_DEP_1)
	v_mul_f32_e32 v4, 0x2f800000, v1
	v_floor_f32_e32 v4, v4
	s_delay_alu instid0(VALU_DEP_1) | instskip(SKIP_1) | instid1(VALU_DEP_2)
	v_fmamk_f32 v1, v4, 0xcf800000, v1
	v_cvt_u32_f32_e32 v5, v4
	v_cvt_u32_f32_e32 v4, v1
	global_store_b64 v[2:3], v[4:5], off
	s_branch .LBB18_325
.LBB18_324:
	s_mov_b32 s20, 0
.LBB18_325:
	s_delay_alu instid0(SALU_CYCLE_1)
	s_and_b32 vcc_lo, exec_lo, s20
	s_cbranch_vccz .LBB18_341
; %bb.326:
	s_cmp_lt_i32 s18, 27
	s_mov_b32 s19, -1
	s_cbranch_scc1 .LBB18_332
; %bb.327:
	s_wait_xcnt 0x0
	v_cvt_u32_f32_e32 v1, v0
	s_cmp_gt_i32 s18, 27
	s_cbranch_scc0 .LBB18_329
; %bb.328:
	s_mov_b32 s19, 0
	global_store_b32 v[2:3], v1, off
.LBB18_329:
	s_and_not1_b32 vcc_lo, exec_lo, s19
	s_cbranch_vccnz .LBB18_331
; %bb.330:
	global_store_b16 v[2:3], v1, off
.LBB18_331:
	s_mov_b32 s19, 0
.LBB18_332:
	s_delay_alu instid0(SALU_CYCLE_1)
	s_and_not1_b32 vcc_lo, exec_lo, s19
	s_cbranch_vccnz .LBB18_340
; %bb.333:
	s_wait_xcnt 0x0
	v_and_b32_e32 v1, 0x7fffffff, v0
	v_mov_b32_e32 v4, 0x80
	s_mov_b32 s19, exec_lo
	s_delay_alu instid0(VALU_DEP_2)
	v_cmpx_gt_u32_e32 0x43800000, v1
	s_cbranch_execz .LBB18_339
; %bb.334:
	v_cmp_lt_u32_e32 vcc_lo, 0x3bffffff, v1
	s_mov_b32 s20, 0
                                        ; implicit-def: $vgpr1
	s_and_saveexec_b32 s21, vcc_lo
	s_delay_alu instid0(SALU_CYCLE_1)
	s_xor_b32 s21, exec_lo, s21
	s_cbranch_execz .LBB18_552
; %bb.335:
	v_bfe_u32 v1, v0, 20, 1
	s_mov_b32 s20, exec_lo
	s_delay_alu instid0(VALU_DEP_1) | instskip(NEXT) | instid1(VALU_DEP_1)
	v_add3_u32 v1, v0, v1, 0x487ffff
	v_lshrrev_b32_e32 v1, 20, v1
	s_and_not1_saveexec_b32 s21, s21
	s_cbranch_execnz .LBB18_553
.LBB18_336:
	s_or_b32 exec_lo, exec_lo, s21
	v_mov_b32_e32 v4, 0
	s_and_saveexec_b32 s21, s20
.LBB18_337:
	v_lshrrev_b32_e32 v4, 24, v0
	s_delay_alu instid0(VALU_DEP_1)
	v_and_or_b32 v4, 0x80, v4, v1
.LBB18_338:
	s_or_b32 exec_lo, exec_lo, s21
.LBB18_339:
	s_delay_alu instid0(SALU_CYCLE_1)
	s_or_b32 exec_lo, exec_lo, s19
	global_store_b8 v[2:3], v4, off
.LBB18_340:
	s_mov_b32 s19, -1
.LBB18_341:
	s_mov_b32 s20, 0
.LBB18_342:
	s_delay_alu instid0(SALU_CYCLE_1)
	s_and_b32 vcc_lo, exec_lo, s20
	s_cbranch_vccz .LBB18_383
; %bb.343:
	s_cmp_gt_i32 s18, 22
	s_mov_b32 s20, -1
	s_cbranch_scc0 .LBB18_375
; %bb.344:
	s_cmp_lt_i32 s18, 24
	s_mov_b32 s19, -1
	s_cbranch_scc1 .LBB18_364
; %bb.345:
	s_cmp_gt_i32 s18, 24
	s_cbranch_scc0 .LBB18_353
; %bb.346:
	s_wait_xcnt 0x0
	v_and_b32_e32 v1, 0x7fffffff, v0
	v_mov_b32_e32 v4, 0x80
	s_mov_b32 s19, exec_lo
	s_delay_alu instid0(VALU_DEP_2)
	v_cmpx_gt_u32_e32 0x47800000, v1
	s_cbranch_execz .LBB18_352
; %bb.347:
	v_cmp_lt_u32_e32 vcc_lo, 0x37ffffff, v1
	s_mov_b32 s20, 0
                                        ; implicit-def: $vgpr1
	s_and_saveexec_b32 s21, vcc_lo
	s_delay_alu instid0(SALU_CYCLE_1)
	s_xor_b32 s21, exec_lo, s21
	s_cbranch_execz .LBB18_555
; %bb.348:
	v_bfe_u32 v1, v0, 21, 1
	s_mov_b32 s20, exec_lo
	s_delay_alu instid0(VALU_DEP_1) | instskip(NEXT) | instid1(VALU_DEP_1)
	v_add3_u32 v1, v0, v1, 0x88fffff
	v_lshrrev_b32_e32 v1, 21, v1
	s_and_not1_saveexec_b32 s21, s21
	s_cbranch_execnz .LBB18_556
.LBB18_349:
	s_or_b32 exec_lo, exec_lo, s21
	v_mov_b32_e32 v4, 0
	s_and_saveexec_b32 s21, s20
.LBB18_350:
	v_lshrrev_b32_e32 v4, 24, v0
	s_delay_alu instid0(VALU_DEP_1)
	v_and_or_b32 v4, 0x80, v4, v1
.LBB18_351:
	s_or_b32 exec_lo, exec_lo, s21
.LBB18_352:
	s_delay_alu instid0(SALU_CYCLE_1)
	s_or_b32 exec_lo, exec_lo, s19
	s_mov_b32 s19, 0
	global_store_b8 v[2:3], v4, off
.LBB18_353:
	s_and_b32 vcc_lo, exec_lo, s19
	s_cbranch_vccz .LBB18_363
; %bb.354:
	s_wait_xcnt 0x0
	v_and_b32_e32 v4, 0x7fffffff, v0
	s_mov_b32 s19, exec_lo
                                        ; implicit-def: $vgpr1
	s_delay_alu instid0(VALU_DEP_1)
	v_cmpx_gt_u32_e32 0x43f00000, v4
	s_xor_b32 s19, exec_lo, s19
	s_cbranch_execz .LBB18_360
; %bb.355:
	s_mov_b32 s20, exec_lo
                                        ; implicit-def: $vgpr1
	v_cmpx_lt_u32_e32 0x3c7fffff, v4
	s_xor_b32 s20, exec_lo, s20
; %bb.356:
	v_bfe_u32 v1, v0, 20, 1
	s_delay_alu instid0(VALU_DEP_1) | instskip(NEXT) | instid1(VALU_DEP_1)
	v_add3_u32 v1, v0, v1, 0x407ffff
	v_and_b32_e32 v4, 0xff00000, v1
	v_lshrrev_b32_e32 v1, 20, v1
	s_delay_alu instid0(VALU_DEP_2) | instskip(NEXT) | instid1(VALU_DEP_2)
	v_cmp_ne_u32_e32 vcc_lo, 0x7f00000, v4
	v_cndmask_b32_e32 v1, 0x7e, v1, vcc_lo
; %bb.357:
	s_and_not1_saveexec_b32 s20, s20
; %bb.358:
	v_add_f32_e64 v1, 0x46800000, |v0|
; %bb.359:
	s_or_b32 exec_lo, exec_lo, s20
                                        ; implicit-def: $vgpr4
.LBB18_360:
	s_and_not1_saveexec_b32 s19, s19
; %bb.361:
	v_mov_b32_e32 v1, 0x7f
	v_cmp_lt_u32_e32 vcc_lo, 0x7f800000, v4
	s_delay_alu instid0(VALU_DEP_2)
	v_cndmask_b32_e32 v1, 0x7e, v1, vcc_lo
; %bb.362:
	s_or_b32 exec_lo, exec_lo, s19
	v_lshrrev_b32_e32 v4, 24, v0
	s_delay_alu instid0(VALU_DEP_1)
	v_and_or_b32 v1, 0x80, v4, v1
	global_store_b8 v[2:3], v1, off
.LBB18_363:
	s_mov_b32 s19, 0
.LBB18_364:
	s_delay_alu instid0(SALU_CYCLE_1)
	s_and_not1_b32 vcc_lo, exec_lo, s19
	s_cbranch_vccnz .LBB18_374
; %bb.365:
	s_wait_xcnt 0x0
	v_and_b32_e32 v4, 0x7fffffff, v0
	s_mov_b32 s19, exec_lo
                                        ; implicit-def: $vgpr1
	s_delay_alu instid0(VALU_DEP_1)
	v_cmpx_gt_u32_e32 0x47800000, v4
	s_xor_b32 s19, exec_lo, s19
	s_cbranch_execz .LBB18_371
; %bb.366:
	s_mov_b32 s20, exec_lo
                                        ; implicit-def: $vgpr1
	v_cmpx_lt_u32_e32 0x387fffff, v4
	s_xor_b32 s20, exec_lo, s20
; %bb.367:
	v_bfe_u32 v1, v0, 21, 1
	s_delay_alu instid0(VALU_DEP_1) | instskip(NEXT) | instid1(VALU_DEP_1)
	v_add3_u32 v1, v0, v1, 0x80fffff
	v_lshrrev_b32_e32 v1, 21, v1
; %bb.368:
	s_and_not1_saveexec_b32 s20, s20
; %bb.369:
	v_add_f32_e64 v1, 0x43000000, |v0|
; %bb.370:
	s_or_b32 exec_lo, exec_lo, s20
                                        ; implicit-def: $vgpr4
.LBB18_371:
	s_and_not1_saveexec_b32 s19, s19
; %bb.372:
	v_mov_b32_e32 v1, 0x7f
	v_cmp_lt_u32_e32 vcc_lo, 0x7f800000, v4
	s_delay_alu instid0(VALU_DEP_2)
	v_cndmask_b32_e32 v1, 0x7c, v1, vcc_lo
; %bb.373:
	s_or_b32 exec_lo, exec_lo, s19
	v_lshrrev_b32_e32 v4, 24, v0
	s_delay_alu instid0(VALU_DEP_1)
	v_and_or_b32 v1, 0x80, v4, v1
	global_store_b8 v[2:3], v1, off
.LBB18_374:
	s_mov_b32 s20, 0
	s_mov_b32 s19, -1
.LBB18_375:
	s_and_not1_b32 vcc_lo, exec_lo, s20
	s_cbranch_vccnz .LBB18_383
; %bb.376:
	s_cmp_gt_i32 s18, 14
	s_mov_b32 s20, -1
	s_cbranch_scc0 .LBB18_380
; %bb.377:
	s_cmp_eq_u32 s18, 15
	s_mov_b32 s0, -1
	s_cbranch_scc0 .LBB18_379
; %bb.378:
	s_wait_xcnt 0x0
	v_bfe_u32 v1, v0, 16, 1
	v_cmp_o_f32_e32 vcc_lo, v0, v0
	s_mov_b32 s19, -1
	s_mov_b32 s0, 0
	s_delay_alu instid0(VALU_DEP_2) | instskip(NEXT) | instid1(VALU_DEP_1)
	v_add3_u32 v1, v0, v1, 0x7fff
	v_lshrrev_b32_e32 v1, 16, v1
	s_delay_alu instid0(VALU_DEP_1)
	v_cndmask_b32_e32 v1, 0x7fc0, v1, vcc_lo
	global_store_b16 v[2:3], v1, off
.LBB18_379:
	s_mov_b32 s20, 0
.LBB18_380:
	s_delay_alu instid0(SALU_CYCLE_1)
	s_and_b32 vcc_lo, exec_lo, s20
	s_cbranch_vccz .LBB18_383
; %bb.381:
	s_cmp_eq_u32 s18, 11
	s_mov_b32 s0, -1
	s_cbranch_scc0 .LBB18_383
; %bb.382:
	v_cmp_neq_f32_e32 vcc_lo, 0, v0
	s_mov_b32 s0, 0
	s_mov_b32 s19, -1
	s_wait_xcnt 0x0
	v_cndmask_b32_e64 v1, 0, 1, vcc_lo
	global_store_b8 v[2:3], v1, off
.LBB18_383:
	s_mov_b32 s18, 0
.LBB18_384:
	s_delay_alu instid0(SALU_CYCLE_1)
	s_and_b32 vcc_lo, exec_lo, s18
	s_cbranch_vccz .LBB18_423
; %bb.385:
	s_and_b32 s16, 0xffff, s16
	s_mov_b32 s18, -1
	s_cmp_lt_i32 s16, 5
	s_cbranch_scc1 .LBB18_406
; %bb.386:
	s_cmp_lt_i32 s16, 8
	s_cbranch_scc1 .LBB18_396
; %bb.387:
	;; [unrolled: 3-line block ×3, first 2 shown]
	s_cmp_gt_i32 s16, 9
	s_cbranch_scc0 .LBB18_390
; %bb.389:
	s_wait_xcnt 0x0
	v_cvt_f64_f32_e32 v[4:5], v0
	v_mov_b32_e32 v6, 0
	s_mov_b32 s18, 0
	s_delay_alu instid0(VALU_DEP_1)
	v_mov_b32_e32 v7, v6
	global_store_b128 v[2:3], v[4:7], off
.LBB18_390:
	s_and_not1_b32 vcc_lo, exec_lo, s18
	s_cbranch_vccnz .LBB18_392
; %bb.391:
	s_wait_xcnt 0x0
	v_mov_b32_e32 v1, 0
	global_store_b64 v[2:3], v[0:1], off
.LBB18_392:
	s_mov_b32 s18, 0
.LBB18_393:
	s_delay_alu instid0(SALU_CYCLE_1)
	s_and_not1_b32 vcc_lo, exec_lo, s18
	s_cbranch_vccnz .LBB18_395
; %bb.394:
	s_wait_xcnt 0x0
	v_cvt_f16_f32_e32 v1, v0
	s_delay_alu instid0(VALU_DEP_1)
	v_and_b32_e32 v1, 0xffff, v1
	global_store_b32 v[2:3], v1, off
.LBB18_395:
	s_mov_b32 s18, 0
.LBB18_396:
	s_delay_alu instid0(SALU_CYCLE_1)
	s_and_not1_b32 vcc_lo, exec_lo, s18
	s_cbranch_vccnz .LBB18_405
; %bb.397:
	s_cmp_lt_i32 s16, 6
	s_mov_b32 s18, -1
	s_cbranch_scc1 .LBB18_403
; %bb.398:
	s_cmp_gt_i32 s16, 6
	s_cbranch_scc0 .LBB18_400
; %bb.399:
	s_wait_xcnt 0x0
	v_cvt_f64_f32_e32 v[4:5], v0
	s_mov_b32 s18, 0
	global_store_b64 v[2:3], v[4:5], off
.LBB18_400:
	s_and_not1_b32 vcc_lo, exec_lo, s18
	s_cbranch_vccnz .LBB18_402
; %bb.401:
	global_store_b32 v[2:3], v0, off
.LBB18_402:
	s_mov_b32 s18, 0
.LBB18_403:
	s_delay_alu instid0(SALU_CYCLE_1)
	s_and_not1_b32 vcc_lo, exec_lo, s18
	s_cbranch_vccnz .LBB18_405
; %bb.404:
	s_wait_xcnt 0x0
	v_cvt_f16_f32_e32 v1, v0
	global_store_b16 v[2:3], v1, off
.LBB18_405:
	s_mov_b32 s18, 0
.LBB18_406:
	s_delay_alu instid0(SALU_CYCLE_1)
	s_and_not1_b32 vcc_lo, exec_lo, s18
	s_cbranch_vccnz .LBB18_422
; %bb.407:
	s_cmp_lt_i32 s16, 2
	s_mov_b32 s18, -1
	s_cbranch_scc1 .LBB18_417
; %bb.408:
	s_cmp_lt_i32 s16, 3
	s_cbranch_scc1 .LBB18_414
; %bb.409:
	s_cmp_gt_i32 s16, 3
	s_cbranch_scc0 .LBB18_411
; %bb.410:
	s_wait_xcnt 0x0
	v_trunc_f32_e32 v1, v0
	s_mov_b32 s18, 0
	s_delay_alu instid0(VALU_DEP_1) | instskip(NEXT) | instid1(VALU_DEP_1)
	v_mul_f32_e64 v4, 0x2f800000, |v1|
	v_floor_f32_e32 v5, v4
	v_ashrrev_i32_e32 v4, 31, v1
	s_delay_alu instid0(VALU_DEP_2) | instskip(SKIP_1) | instid1(VALU_DEP_3)
	v_fma_f32 v6, 0xcf800000, v5, |v1|
	v_cvt_u32_f32_e32 v1, v5
	v_mov_b32_e32 v5, v4
	s_delay_alu instid0(VALU_DEP_3) | instskip(NEXT) | instid1(VALU_DEP_3)
	v_cvt_u32_f32_e32 v6, v6
	v_xor_b32_e32 v7, v1, v4
	s_delay_alu instid0(VALU_DEP_2) | instskip(NEXT) | instid1(VALU_DEP_1)
	v_xor_b32_e32 v6, v6, v4
	v_sub_nc_u64_e32 v[4:5], v[6:7], v[4:5]
	global_store_b64 v[2:3], v[4:5], off
.LBB18_411:
	s_and_not1_b32 vcc_lo, exec_lo, s18
	s_cbranch_vccnz .LBB18_413
; %bb.412:
	s_wait_xcnt 0x0
	v_cvt_i32_f32_e32 v1, v0
	global_store_b32 v[2:3], v1, off
.LBB18_413:
	s_mov_b32 s18, 0
.LBB18_414:
	s_delay_alu instid0(SALU_CYCLE_1)
	s_and_not1_b32 vcc_lo, exec_lo, s18
	s_cbranch_vccnz .LBB18_416
; %bb.415:
	s_wait_xcnt 0x0
	v_cvt_i32_f32_e32 v1, v0
	global_store_b16 v[2:3], v1, off
.LBB18_416:
	s_mov_b32 s18, 0
.LBB18_417:
	s_delay_alu instid0(SALU_CYCLE_1)
	s_and_not1_b32 vcc_lo, exec_lo, s18
	s_cbranch_vccnz .LBB18_422
; %bb.418:
	s_cmp_gt_i32 s16, 0
	s_mov_b32 s16, -1
	s_cbranch_scc0 .LBB18_420
; %bb.419:
	s_wait_xcnt 0x0
	v_cvt_i32_f32_e32 v1, v0
	s_mov_b32 s16, 0
	global_store_b8 v[2:3], v1, off
.LBB18_420:
	s_and_not1_b32 vcc_lo, exec_lo, s16
	s_cbranch_vccnz .LBB18_422
; %bb.421:
	s_wait_xcnt 0x0
	v_trunc_f32_e32 v0, v0
	s_delay_alu instid0(VALU_DEP_1) | instskip(NEXT) | instid1(VALU_DEP_1)
	v_mul_f32_e64 v1, 0x2f800000, |v0|
	v_floor_f32_e32 v1, v1
	s_delay_alu instid0(VALU_DEP_1) | instskip(SKIP_1) | instid1(VALU_DEP_2)
	v_fma_f32 v1, 0xcf800000, v1, |v0|
	v_ashrrev_i32_e32 v0, 31, v0
	v_cvt_u32_f32_e32 v1, v1
	s_delay_alu instid0(VALU_DEP_1) | instskip(NEXT) | instid1(VALU_DEP_1)
	v_xor_b32_e32 v1, v1, v0
	v_sub_nc_u32_e32 v0, v1, v0
	global_store_b8 v[2:3], v0, off
.LBB18_422:
	s_mov_b32 s19, -1
.LBB18_423:
	s_delay_alu instid0(SALU_CYCLE_1)
	s_and_not1_b32 vcc_lo, exec_lo, s19
	s_cbranch_vccnz .LBB18_425
; %bb.424:
	v_add_nc_u32_e32 v8, 0x80, v8
	s_mov_b32 s18, -1
	s_branch .LBB18_538
.LBB18_425:
	s_mov_b32 s18, 0
	s_branch .LBB18_537
.LBB18_426:
	s_mov_b32 s15, -1
                                        ; implicit-def: $vgpr2
.LBB18_427:
	s_mov_b32 s18, 0
.LBB18_428:
	s_delay_alu instid0(SALU_CYCLE_1)
	s_and_b32 vcc_lo, exec_lo, s18
	s_cbranch_vccz .LBB18_432
; %bb.429:
	s_cmp_eq_u32 s0, 29
	s_cbranch_scc0 .LBB18_431
; %bb.430:
	s_wait_loadcnt 0x0
	global_load_b64 v[2:3], v[0:1], off
	s_mov_b32 s16, -1
	s_mov_b32 s15, 0
	s_mov_b32 s18, 0
	s_wait_loadcnt 0x0
	v_clz_i32_u32_e32 v4, v3
	s_delay_alu instid0(VALU_DEP_1) | instskip(NEXT) | instid1(VALU_DEP_1)
	v_min_u32_e32 v4, 32, v4
	v_lshlrev_b64_e32 v[2:3], v4, v[2:3]
	s_delay_alu instid0(VALU_DEP_1) | instskip(NEXT) | instid1(VALU_DEP_1)
	v_min_u32_e32 v2, 1, v2
	v_dual_sub_nc_u32 v3, 32, v4 :: v_dual_bitop2_b32 v2, v3, v2 bitop3:0x54
	s_delay_alu instid0(VALU_DEP_1) | instskip(NEXT) | instid1(VALU_DEP_1)
	v_cvt_f32_u32_e32 v2, v2
	v_ldexp_f32 v2, v2, v3
	s_branch .LBB18_433
.LBB18_431:
	s_mov_b32 s15, -1
                                        ; implicit-def: $vgpr2
.LBB18_432:
	s_mov_b32 s18, 0
.LBB18_433:
	s_delay_alu instid0(SALU_CYCLE_1)
	s_and_b32 vcc_lo, exec_lo, s18
	s_cbranch_vccz .LBB18_451
; %bb.434:
	s_cmp_lt_i32 s0, 27
	s_cbranch_scc1 .LBB18_437
; %bb.435:
	s_cmp_gt_i32 s0, 27
	s_cbranch_scc0 .LBB18_438
; %bb.436:
	s_wait_loadcnt 0x0
	global_load_b32 v2, v[0:1], off
	s_mov_b32 s16, 0
	s_wait_loadcnt 0x0
	v_cvt_f32_u32_e32 v2, v2
	s_branch .LBB18_439
.LBB18_437:
	s_mov_b32 s16, -1
                                        ; implicit-def: $vgpr2
	s_branch .LBB18_442
.LBB18_438:
	s_mov_b32 s16, -1
                                        ; implicit-def: $vgpr2
.LBB18_439:
	s_delay_alu instid0(SALU_CYCLE_1)
	s_and_not1_b32 vcc_lo, exec_lo, s16
	s_cbranch_vccnz .LBB18_441
; %bb.440:
	s_wait_loadcnt 0x0
	global_load_u16 v2, v[0:1], off
	s_wait_loadcnt 0x0
	v_cvt_f32_u32_e32 v2, v2
.LBB18_441:
	s_mov_b32 s16, 0
.LBB18_442:
	s_delay_alu instid0(SALU_CYCLE_1)
	s_and_not1_b32 vcc_lo, exec_lo, s16
	s_cbranch_vccnz .LBB18_450
; %bb.443:
	global_load_u8 v3, v[0:1], off
	s_mov_b32 s16, 0
	s_mov_b32 s18, exec_lo
	s_wait_loadcnt 0x0
	v_cmpx_lt_i16_e32 0x7f, v3
	s_xor_b32 s18, exec_lo, s18
	s_cbranch_execz .LBB18_464
; %bb.444:
	s_mov_b32 s16, -1
	s_mov_b32 s19, exec_lo
	v_cmpx_eq_u16_e32 0x80, v3
; %bb.445:
	s_xor_b32 s16, exec_lo, -1
; %bb.446:
	s_or_b32 exec_lo, exec_lo, s19
	s_delay_alu instid0(SALU_CYCLE_1)
	s_and_b32 s16, s16, exec_lo
	s_or_saveexec_b32 s18, s18
	v_mov_b32_e32 v2, 0x7f800001
	s_xor_b32 exec_lo, exec_lo, s18
	s_cbranch_execnz .LBB18_465
.LBB18_447:
	s_or_b32 exec_lo, exec_lo, s18
	s_and_saveexec_b32 s18, s16
	s_cbranch_execz .LBB18_449
.LBB18_448:
	v_and_b32_e32 v2, 0xffff, v3
	s_delay_alu instid0(VALU_DEP_1) | instskip(SKIP_1) | instid1(VALU_DEP_2)
	v_and_b32_e32 v4, 7, v2
	v_bfe_u32 v7, v2, 3, 4
	v_clz_i32_u32_e32 v5, v4
	s_delay_alu instid0(VALU_DEP_2) | instskip(NEXT) | instid1(VALU_DEP_2)
	v_cmp_eq_u32_e32 vcc_lo, 0, v7
	v_min_u32_e32 v5, 32, v5
	s_delay_alu instid0(VALU_DEP_1) | instskip(NEXT) | instid1(VALU_DEP_1)
	v_subrev_nc_u32_e32 v6, 28, v5
	v_dual_lshlrev_b32 v2, v6, v2 :: v_dual_sub_nc_u32 v5, 29, v5
	s_delay_alu instid0(VALU_DEP_1) | instskip(NEXT) | instid1(VALU_DEP_1)
	v_dual_lshlrev_b32 v3, 24, v3 :: v_dual_bitop2_b32 v2, 7, v2 bitop3:0x40
	v_dual_cndmask_b32 v5, v7, v5 :: v_dual_cndmask_b32 v2, v4, v2
	s_delay_alu instid0(VALU_DEP_2) | instskip(NEXT) | instid1(VALU_DEP_2)
	v_and_b32_e32 v3, 0x80000000, v3
	v_lshl_add_u32 v4, v5, 23, 0x3b800000
	s_delay_alu instid0(VALU_DEP_3) | instskip(NEXT) | instid1(VALU_DEP_1)
	v_lshlrev_b32_e32 v2, 20, v2
	v_or3_b32 v2, v3, v4, v2
.LBB18_449:
	s_or_b32 exec_lo, exec_lo, s18
.LBB18_450:
	s_mov_b32 s16, -1
.LBB18_451:
	s_mov_b32 s18, 0
.LBB18_452:
	s_delay_alu instid0(SALU_CYCLE_1)
	s_and_b32 vcc_lo, exec_lo, s18
	s_cbranch_vccz .LBB18_487
; %bb.453:
	s_cmp_gt_i32 s0, 22
	s_cbranch_scc0 .LBB18_463
; %bb.454:
	s_cmp_lt_i32 s0, 24
	s_cbranch_scc1 .LBB18_466
; %bb.455:
	s_cmp_gt_i32 s0, 24
	s_cbranch_scc0 .LBB18_467
; %bb.456:
	global_load_u8 v3, v[0:1], off
	s_mov_b32 s16, 0
	s_mov_b32 s18, exec_lo
	s_wait_loadcnt 0x0
	v_cmpx_lt_i16_e32 0x7f, v3
	s_xor_b32 s18, exec_lo, s18
	s_cbranch_execz .LBB18_479
; %bb.457:
	s_mov_b32 s16, -1
	s_mov_b32 s19, exec_lo
	v_cmpx_eq_u16_e32 0x80, v3
; %bb.458:
	s_xor_b32 s16, exec_lo, -1
; %bb.459:
	s_or_b32 exec_lo, exec_lo, s19
	s_delay_alu instid0(SALU_CYCLE_1)
	s_and_b32 s16, s16, exec_lo
	s_or_saveexec_b32 s18, s18
	v_mov_b32_e32 v2, 0x7f800001
	s_xor_b32 exec_lo, exec_lo, s18
	s_cbranch_execnz .LBB18_480
.LBB18_460:
	s_or_b32 exec_lo, exec_lo, s18
	s_and_saveexec_b32 s18, s16
	s_cbranch_execz .LBB18_462
.LBB18_461:
	v_and_b32_e32 v2, 0xffff, v3
	s_delay_alu instid0(VALU_DEP_1) | instskip(SKIP_1) | instid1(VALU_DEP_2)
	v_and_b32_e32 v4, 3, v2
	v_bfe_u32 v7, v2, 2, 5
	v_clz_i32_u32_e32 v5, v4
	s_delay_alu instid0(VALU_DEP_2) | instskip(NEXT) | instid1(VALU_DEP_2)
	v_cmp_eq_u32_e32 vcc_lo, 0, v7
	v_min_u32_e32 v5, 32, v5
	s_delay_alu instid0(VALU_DEP_1) | instskip(NEXT) | instid1(VALU_DEP_1)
	v_subrev_nc_u32_e32 v6, 29, v5
	v_dual_lshlrev_b32 v2, v6, v2 :: v_dual_sub_nc_u32 v5, 30, v5
	s_delay_alu instid0(VALU_DEP_1) | instskip(NEXT) | instid1(VALU_DEP_1)
	v_dual_lshlrev_b32 v3, 24, v3 :: v_dual_bitop2_b32 v2, 3, v2 bitop3:0x40
	v_dual_cndmask_b32 v5, v7, v5 :: v_dual_cndmask_b32 v2, v4, v2
	s_delay_alu instid0(VALU_DEP_2) | instskip(NEXT) | instid1(VALU_DEP_2)
	v_and_b32_e32 v3, 0x80000000, v3
	v_lshl_add_u32 v4, v5, 23, 0x37800000
	s_delay_alu instid0(VALU_DEP_3) | instskip(NEXT) | instid1(VALU_DEP_1)
	v_lshlrev_b32_e32 v2, 21, v2
	v_or3_b32 v2, v3, v4, v2
.LBB18_462:
	s_or_b32 exec_lo, exec_lo, s18
	s_mov_b32 s16, 0
	s_branch .LBB18_468
.LBB18_463:
	s_mov_b32 s18, -1
                                        ; implicit-def: $vgpr2
	s_branch .LBB18_474
.LBB18_464:
	s_or_saveexec_b32 s18, s18
	v_mov_b32_e32 v2, 0x7f800001
	s_xor_b32 exec_lo, exec_lo, s18
	s_cbranch_execz .LBB18_447
.LBB18_465:
	v_cmp_ne_u16_e32 vcc_lo, 0, v3
	v_mov_b32_e32 v2, 0
	s_and_not1_b32 s16, s16, exec_lo
	s_and_b32 s19, vcc_lo, exec_lo
	s_delay_alu instid0(SALU_CYCLE_1)
	s_or_b32 s16, s16, s19
	s_or_b32 exec_lo, exec_lo, s18
	s_and_saveexec_b32 s18, s16
	s_cbranch_execnz .LBB18_448
	s_branch .LBB18_449
.LBB18_466:
	s_mov_b32 s16, -1
                                        ; implicit-def: $vgpr2
	s_branch .LBB18_471
.LBB18_467:
	s_mov_b32 s16, -1
                                        ; implicit-def: $vgpr2
.LBB18_468:
	s_delay_alu instid0(SALU_CYCLE_1)
	s_and_b32 vcc_lo, exec_lo, s16
	s_cbranch_vccz .LBB18_470
; %bb.469:
	s_wait_loadcnt 0x0
	global_load_u8 v2, v[0:1], off
	s_wait_loadcnt 0x0
	v_lshlrev_b32_e32 v2, 24, v2
	s_delay_alu instid0(VALU_DEP_1) | instskip(NEXT) | instid1(VALU_DEP_1)
	v_and_b32_e32 v3, 0x7f000000, v2
	v_clz_i32_u32_e32 v4, v3
	v_cmp_ne_u32_e32 vcc_lo, 0, v3
	v_add_nc_u32_e32 v6, 0x1000000, v3
	s_delay_alu instid0(VALU_DEP_3) | instskip(NEXT) | instid1(VALU_DEP_1)
	v_min_u32_e32 v4, 32, v4
	v_sub_nc_u32_e64 v4, v4, 4 clamp
	s_delay_alu instid0(VALU_DEP_1) | instskip(NEXT) | instid1(VALU_DEP_1)
	v_dual_lshlrev_b32 v5, v4, v3 :: v_dual_lshlrev_b32 v4, 23, v4
	v_lshrrev_b32_e32 v5, 4, v5
	s_delay_alu instid0(VALU_DEP_1) | instskip(NEXT) | instid1(VALU_DEP_1)
	v_dual_sub_nc_u32 v4, v5, v4 :: v_dual_ashrrev_i32 v5, 8, v6
	v_add_nc_u32_e32 v4, 0x3c000000, v4
	s_delay_alu instid0(VALU_DEP_1) | instskip(NEXT) | instid1(VALU_DEP_1)
	v_and_or_b32 v4, 0x7f800000, v5, v4
	v_cndmask_b32_e32 v3, 0, v4, vcc_lo
	s_delay_alu instid0(VALU_DEP_1)
	v_and_or_b32 v2, 0x80000000, v2, v3
.LBB18_470:
	s_mov_b32 s16, 0
.LBB18_471:
	s_delay_alu instid0(SALU_CYCLE_1)
	s_and_not1_b32 vcc_lo, exec_lo, s16
	s_cbranch_vccnz .LBB18_473
; %bb.472:
	s_wait_loadcnt 0x0
	global_load_u8 v2, v[0:1], off
	s_wait_loadcnt 0x0
	v_lshlrev_b32_e32 v3, 25, v2
	v_lshlrev_b16 v2, 8, v2
	s_delay_alu instid0(VALU_DEP_1) | instskip(SKIP_1) | instid1(VALU_DEP_2)
	v_and_or_b32 v5, 0x7f00, v2, 0.5
	v_bfe_i32 v2, v2, 0, 16
	v_dual_add_f32 v5, -0.5, v5 :: v_dual_lshrrev_b32 v4, 4, v3
	v_cmp_gt_u32_e32 vcc_lo, 0x8000000, v3
	s_delay_alu instid0(VALU_DEP_2) | instskip(NEXT) | instid1(VALU_DEP_1)
	v_or_b32_e32 v4, 0x70000000, v4
	v_mul_f32_e32 v4, 0x7800000, v4
	s_delay_alu instid0(VALU_DEP_1) | instskip(NEXT) | instid1(VALU_DEP_1)
	v_cndmask_b32_e32 v3, v4, v5, vcc_lo
	v_and_or_b32 v2, 0x80000000, v2, v3
.LBB18_473:
	s_mov_b32 s18, 0
	s_mov_b32 s16, -1
.LBB18_474:
	s_and_not1_b32 vcc_lo, exec_lo, s18
	s_cbranch_vccnz .LBB18_487
; %bb.475:
	s_cmp_gt_i32 s0, 14
	s_cbranch_scc0 .LBB18_478
; %bb.476:
	s_cmp_eq_u32 s0, 15
	s_cbranch_scc0 .LBB18_481
; %bb.477:
	s_wait_loadcnt 0x0
	global_load_u16 v2, v[0:1], off
	s_mov_b32 s16, -1
	s_mov_b32 s15, 0
	s_wait_loadcnt 0x0
	v_lshlrev_b32_e32 v2, 16, v2
	s_branch .LBB18_482
.LBB18_478:
	s_mov_b32 s18, -1
                                        ; implicit-def: $vgpr2
	s_branch .LBB18_483
.LBB18_479:
	s_or_saveexec_b32 s18, s18
	v_mov_b32_e32 v2, 0x7f800001
	s_xor_b32 exec_lo, exec_lo, s18
	s_cbranch_execz .LBB18_460
.LBB18_480:
	v_cmp_ne_u16_e32 vcc_lo, 0, v3
	v_mov_b32_e32 v2, 0
	s_and_not1_b32 s16, s16, exec_lo
	s_and_b32 s19, vcc_lo, exec_lo
	s_delay_alu instid0(SALU_CYCLE_1)
	s_or_b32 s16, s16, s19
	s_or_b32 exec_lo, exec_lo, s18
	s_and_saveexec_b32 s18, s16
	s_cbranch_execnz .LBB18_461
	s_branch .LBB18_462
.LBB18_481:
	s_mov_b32 s15, -1
                                        ; implicit-def: $vgpr2
.LBB18_482:
	s_mov_b32 s18, 0
.LBB18_483:
	s_delay_alu instid0(SALU_CYCLE_1)
	s_and_b32 vcc_lo, exec_lo, s18
	s_cbranch_vccz .LBB18_487
; %bb.484:
	s_cmp_eq_u32 s0, 11
	s_cbranch_scc0 .LBB18_486
; %bb.485:
	s_wait_loadcnt 0x0
	global_load_u8 v2, v[0:1], off
	s_mov_b32 s15, 0
	s_mov_b32 s16, -1
	s_wait_loadcnt 0x0
	v_cmp_ne_u16_e32 vcc_lo, 0, v2
	v_cndmask_b32_e64 v2, 0, 1.0, vcc_lo
	s_branch .LBB18_487
.LBB18_486:
	s_mov_b32 s15, -1
                                        ; implicit-def: $vgpr2
.LBB18_487:
	s_branch .LBB18_277
.LBB18_488:
	s_cmp_lt_i32 s0, 5
	s_cbranch_scc1 .LBB18_493
; %bb.489:
	s_cmp_lt_i32 s0, 8
	s_cbranch_scc1 .LBB18_494
; %bb.490:
	;; [unrolled: 3-line block ×3, first 2 shown]
	s_cmp_gt_i32 s0, 9
	s_cbranch_scc0 .LBB18_496
; %bb.492:
	s_wait_loadcnt 0x0
	global_load_b64 v[2:3], v[0:1], off
	s_mov_b32 s16, 0
	s_wait_loadcnt 0x0
	v_cvt_f32_f64_e32 v2, v[2:3]
	s_branch .LBB18_497
.LBB18_493:
	s_mov_b32 s16, -1
                                        ; implicit-def: $vgpr2
	s_branch .LBB18_515
.LBB18_494:
	s_mov_b32 s16, -1
                                        ; implicit-def: $vgpr2
	s_branch .LBB18_503
.LBB18_495:
	s_mov_b32 s16, -1
                                        ; implicit-def: $vgpr2
	s_branch .LBB18_500
.LBB18_496:
	s_mov_b32 s16, -1
                                        ; implicit-def: $vgpr2
.LBB18_497:
	s_delay_alu instid0(SALU_CYCLE_1)
	s_and_not1_b32 vcc_lo, exec_lo, s16
	s_cbranch_vccnz .LBB18_499
; %bb.498:
	s_wait_loadcnt 0x0
	global_load_b32 v2, v[0:1], off
.LBB18_499:
	s_mov_b32 s16, 0
.LBB18_500:
	s_delay_alu instid0(SALU_CYCLE_1)
	s_and_not1_b32 vcc_lo, exec_lo, s16
	s_cbranch_vccnz .LBB18_502
; %bb.501:
	s_wait_loadcnt 0x0
	global_load_b32 v2, v[0:1], off
	s_wait_loadcnt 0x0
	v_cvt_f32_f16_e32 v2, v2
.LBB18_502:
	s_mov_b32 s16, 0
.LBB18_503:
	s_delay_alu instid0(SALU_CYCLE_1)
	s_and_not1_b32 vcc_lo, exec_lo, s16
	s_cbranch_vccnz .LBB18_514
; %bb.504:
	s_cmp_lt_i32 s0, 6
	s_cbranch_scc1 .LBB18_507
; %bb.505:
	s_cmp_gt_i32 s0, 6
	s_cbranch_scc0 .LBB18_508
; %bb.506:
	s_wait_loadcnt 0x0
	global_load_b64 v[2:3], v[0:1], off
	s_mov_b32 s16, 0
	s_wait_loadcnt 0x0
	v_cvt_f32_f64_e32 v2, v[2:3]
	s_branch .LBB18_509
.LBB18_507:
	s_mov_b32 s16, -1
                                        ; implicit-def: $vgpr2
	s_branch .LBB18_512
.LBB18_508:
	s_mov_b32 s16, -1
                                        ; implicit-def: $vgpr2
.LBB18_509:
	s_delay_alu instid0(SALU_CYCLE_1)
	s_and_not1_b32 vcc_lo, exec_lo, s16
	s_cbranch_vccnz .LBB18_511
; %bb.510:
	s_wait_loadcnt 0x0
	global_load_b32 v2, v[0:1], off
.LBB18_511:
	s_mov_b32 s16, 0
.LBB18_512:
	s_delay_alu instid0(SALU_CYCLE_1)
	s_and_not1_b32 vcc_lo, exec_lo, s16
	s_cbranch_vccnz .LBB18_514
; %bb.513:
	s_wait_loadcnt 0x0
	global_load_u16 v2, v[0:1], off
	s_wait_loadcnt 0x0
	v_cvt_f32_f16_e32 v2, v2
.LBB18_514:
	s_mov_b32 s16, 0
.LBB18_515:
	s_delay_alu instid0(SALU_CYCLE_1)
	s_and_not1_b32 vcc_lo, exec_lo, s16
	s_cbranch_vccnz .LBB18_535
; %bb.516:
	s_cmp_lt_i32 s0, 2
	s_cbranch_scc1 .LBB18_520
; %bb.517:
	s_cmp_lt_i32 s0, 3
	s_cbranch_scc1 .LBB18_521
; %bb.518:
	s_cmp_gt_i32 s0, 3
	s_cbranch_scc0 .LBB18_522
; %bb.519:
	s_wait_loadcnt 0x0
	global_load_b64 v[2:3], v[0:1], off
	s_mov_b32 s16, 0
	s_wait_loadcnt 0x0
	v_xor_b32_e32 v4, v2, v3
	v_cls_i32_e32 v5, v3
	s_delay_alu instid0(VALU_DEP_2) | instskip(NEXT) | instid1(VALU_DEP_1)
	v_ashrrev_i32_e32 v4, 31, v4
	v_add_nc_u32_e32 v4, 32, v4
	s_delay_alu instid0(VALU_DEP_1) | instskip(NEXT) | instid1(VALU_DEP_1)
	v_add_min_u32_e64 v4, v5, -1, v4
	v_lshlrev_b64_e32 v[2:3], v4, v[2:3]
	s_delay_alu instid0(VALU_DEP_1) | instskip(NEXT) | instid1(VALU_DEP_1)
	v_min_u32_e32 v2, 1, v2
	v_dual_sub_nc_u32 v3, 32, v4 :: v_dual_bitop2_b32 v2, v3, v2 bitop3:0x54
	s_delay_alu instid0(VALU_DEP_1) | instskip(NEXT) | instid1(VALU_DEP_1)
	v_cvt_f32_i32_e32 v2, v2
	v_ldexp_f32 v2, v2, v3
	s_branch .LBB18_523
.LBB18_520:
	s_mov_b32 s16, -1
                                        ; implicit-def: $vgpr2
	s_branch .LBB18_529
.LBB18_521:
	s_mov_b32 s16, -1
                                        ; implicit-def: $vgpr2
	s_branch .LBB18_526
.LBB18_522:
	s_mov_b32 s16, -1
                                        ; implicit-def: $vgpr2
.LBB18_523:
	s_delay_alu instid0(SALU_CYCLE_1)
	s_and_not1_b32 vcc_lo, exec_lo, s16
	s_cbranch_vccnz .LBB18_525
; %bb.524:
	s_wait_loadcnt 0x0
	global_load_b32 v2, v[0:1], off
	s_wait_loadcnt 0x0
	v_cvt_f32_i32_e32 v2, v2
.LBB18_525:
	s_mov_b32 s16, 0
.LBB18_526:
	s_delay_alu instid0(SALU_CYCLE_1)
	s_and_not1_b32 vcc_lo, exec_lo, s16
	s_cbranch_vccnz .LBB18_528
; %bb.527:
	s_wait_loadcnt 0x0
	global_load_i16 v2, v[0:1], off
	s_wait_loadcnt 0x0
	v_cvt_f32_i32_e32 v2, v2
.LBB18_528:
	s_mov_b32 s16, 0
.LBB18_529:
	s_delay_alu instid0(SALU_CYCLE_1)
	s_and_not1_b32 vcc_lo, exec_lo, s16
	s_cbranch_vccnz .LBB18_535
; %bb.530:
	s_cmp_gt_i32 s0, 0
	s_mov_b32 s0, 0
	s_cbranch_scc0 .LBB18_532
; %bb.531:
	s_wait_loadcnt 0x0
	global_load_i8 v2, v[0:1], off
	s_wait_loadcnt 0x0
	v_cvt_f32_i32_e32 v2, v2
	s_branch .LBB18_533
.LBB18_532:
	s_mov_b32 s0, -1
                                        ; implicit-def: $vgpr2
.LBB18_533:
	s_delay_alu instid0(SALU_CYCLE_1)
	s_and_not1_b32 vcc_lo, exec_lo, s0
	s_cbranch_vccnz .LBB18_535
; %bb.534:
	global_load_u8 v0, v[0:1], off
	s_wait_loadcnt 0x0
	v_cvt_f32_ubyte0_e32 v2, v0
.LBB18_535:
	s_branch .LBB18_278
.LBB18_536:
	s_mov_b32 s18, 0
	s_mov_b32 s0, s11
.LBB18_537:
                                        ; implicit-def: $vgpr8
.LBB18_538:
	s_and_not1_b32 s16, s11, exec_lo
	s_and_b32 s0, s0, exec_lo
	s_and_not1_b32 s19, s13, exec_lo
	s_and_b32 s15, s15, exec_lo
	s_or_b32 s16, s16, s0
	s_or_b32 s15, s19, s15
	s_or_not1_b32 s0, s18, exec_lo
.LBB18_539:
	s_wait_xcnt 0x0
	s_or_b32 exec_lo, exec_lo, s17
	s_mov_b32 s18, 0
	s_mov_b32 s19, 0
	;; [unrolled: 1-line block ×3, first 2 shown]
                                        ; implicit-def: $vgpr0_vgpr1
                                        ; implicit-def: $vgpr4
	s_and_saveexec_b32 s17, s0
	s_cbranch_execz .LBB18_898
; %bb.540:
	s_mov_b32 s20, -1
	s_mov_b32 s0, s15
	s_mov_b32 s19, s16
	s_mov_b32 s18, exec_lo
	v_cmpx_gt_i32_e64 s12, v8
	s_cbranch_execz .LBB18_812
; %bb.541:
	v_mul_lo_u32 v0, v8, s3
	s_and_b32 s0, 0xffff, s9
	s_delay_alu instid0(SALU_CYCLE_1) | instskip(NEXT) | instid1(VALU_DEP_1)
	s_cmp_lt_i32 s0, 11
	v_ashrrev_i32_e32 v1, 31, v0
	s_delay_alu instid0(VALU_DEP_1)
	v_add_nc_u64_e32 v[0:1], s[6:7], v[0:1]
	s_cbranch_scc1 .LBB18_548
; %bb.542:
	s_cmp_gt_i32 s0, 25
	s_cbranch_scc0 .LBB18_549
; %bb.543:
	s_cmp_gt_i32 s0, 28
	s_cbranch_scc0 .LBB18_550
; %bb.544:
	s_cmp_gt_i32 s0, 43
	s_cbranch_scc0 .LBB18_551
; %bb.545:
	s_cmp_gt_i32 s0, 45
	s_cbranch_scc0 .LBB18_554
; %bb.546:
	s_cmp_eq_u32 s0, 46
	s_mov_b32 s21, 0
	s_cbranch_scc0 .LBB18_557
; %bb.547:
	s_wait_loadcnt 0x0
	global_load_b32 v2, v[0:1], off
	s_mov_b32 s19, 0
	s_wait_loadcnt 0x0
	v_lshlrev_b32_e32 v2, 16, v2
	s_branch .LBB18_559
.LBB18_548:
	s_mov_b32 s21, -1
	s_mov_b32 s20, 0
	s_mov_b32 s19, s15
                                        ; implicit-def: $vgpr2
	s_branch .LBB18_624
.LBB18_549:
	s_mov_b32 s21, -1
	s_mov_b32 s20, 0
	s_mov_b32 s19, s15
                                        ; implicit-def: $vgpr2
	s_branch .LBB18_588
.LBB18_550:
	s_mov_b32 s21, -1
	s_mov_b32 s20, 0
	s_mov_b32 s19, s15
                                        ; implicit-def: $vgpr2
	s_branch .LBB18_569
.LBB18_551:
	s_mov_b32 s21, -1
	s_mov_b32 s20, 0
	s_mov_b32 s19, s15
                                        ; implicit-def: $vgpr2
	s_branch .LBB18_564
.LBB18_552:
	s_and_not1_saveexec_b32 s21, s21
	s_cbranch_execz .LBB18_336
.LBB18_553:
	v_add_f32_e64 v1, 0x46000000, |v0|
	s_and_not1_b32 s20, s20, exec_lo
	s_delay_alu instid0(VALU_DEP_1) | instskip(NEXT) | instid1(VALU_DEP_1)
	v_and_b32_e32 v1, 0xff, v1
	v_cmp_ne_u32_e32 vcc_lo, 0, v1
	s_and_b32 s22, vcc_lo, exec_lo
	s_delay_alu instid0(SALU_CYCLE_1)
	s_or_b32 s20, s20, s22
	s_or_b32 exec_lo, exec_lo, s21
	v_mov_b32_e32 v4, 0
	s_and_saveexec_b32 s21, s20
	s_cbranch_execnz .LBB18_337
	s_branch .LBB18_338
.LBB18_554:
	s_mov_b32 s21, -1
	s_mov_b32 s20, 0
	s_mov_b32 s19, s15
	s_branch .LBB18_558
.LBB18_555:
	s_and_not1_saveexec_b32 s21, s21
	s_cbranch_execz .LBB18_349
.LBB18_556:
	v_add_f32_e64 v1, 0x42800000, |v0|
	s_and_not1_b32 s20, s20, exec_lo
	s_delay_alu instid0(VALU_DEP_1) | instskip(NEXT) | instid1(VALU_DEP_1)
	v_and_b32_e32 v1, 0xff, v1
	v_cmp_ne_u32_e32 vcc_lo, 0, v1
	s_and_b32 s22, vcc_lo, exec_lo
	s_delay_alu instid0(SALU_CYCLE_1)
	s_or_b32 s20, s20, s22
	s_or_b32 exec_lo, exec_lo, s21
	v_mov_b32_e32 v4, 0
	s_and_saveexec_b32 s21, s20
	s_cbranch_execnz .LBB18_350
	s_branch .LBB18_351
.LBB18_557:
	s_mov_b32 s19, -1
	s_mov_b32 s20, 0
.LBB18_558:
                                        ; implicit-def: $vgpr2
.LBB18_559:
	s_and_b32 vcc_lo, exec_lo, s21
	s_cbranch_vccz .LBB18_563
; %bb.560:
	s_cmp_eq_u32 s0, 44
	s_cbranch_scc0 .LBB18_562
; %bb.561:
	s_wait_loadcnt 0x0
	global_load_u8 v2, v[0:1], off
	s_mov_b32 s19, 0
	s_mov_b32 s20, -1
	s_wait_loadcnt 0x0
	v_lshlrev_b32_e32 v3, 23, v2
	v_cmp_ne_u32_e32 vcc_lo, 0xff, v2
	s_delay_alu instid0(VALU_DEP_2) | instskip(SKIP_1) | instid1(VALU_DEP_2)
	v_cndmask_b32_e32 v3, 0x7f800001, v3, vcc_lo
	v_cmp_ne_u32_e32 vcc_lo, 0, v2
	v_cndmask_b32_e32 v2, 0x400000, v3, vcc_lo
	s_branch .LBB18_563
.LBB18_562:
	s_mov_b32 s19, -1
                                        ; implicit-def: $vgpr2
.LBB18_563:
	s_mov_b32 s21, 0
.LBB18_564:
	s_delay_alu instid0(SALU_CYCLE_1)
	s_and_b32 vcc_lo, exec_lo, s21
	s_cbranch_vccz .LBB18_568
; %bb.565:
	s_cmp_eq_u32 s0, 29
	s_cbranch_scc0 .LBB18_567
; %bb.566:
	s_wait_loadcnt 0x0
	global_load_b64 v[2:3], v[0:1], off
	s_mov_b32 s20, -1
	s_mov_b32 s19, 0
	s_mov_b32 s21, 0
	s_wait_loadcnt 0x0
	v_clz_i32_u32_e32 v4, v3
	s_delay_alu instid0(VALU_DEP_1) | instskip(NEXT) | instid1(VALU_DEP_1)
	v_min_u32_e32 v4, 32, v4
	v_lshlrev_b64_e32 v[2:3], v4, v[2:3]
	s_delay_alu instid0(VALU_DEP_1) | instskip(NEXT) | instid1(VALU_DEP_1)
	v_min_u32_e32 v2, 1, v2
	v_dual_sub_nc_u32 v3, 32, v4 :: v_dual_bitop2_b32 v2, v3, v2 bitop3:0x54
	s_delay_alu instid0(VALU_DEP_1) | instskip(NEXT) | instid1(VALU_DEP_1)
	v_cvt_f32_u32_e32 v2, v2
	v_ldexp_f32 v2, v2, v3
	s_branch .LBB18_569
.LBB18_567:
	s_mov_b32 s19, -1
                                        ; implicit-def: $vgpr2
.LBB18_568:
	s_mov_b32 s21, 0
.LBB18_569:
	s_delay_alu instid0(SALU_CYCLE_1)
	s_and_b32 vcc_lo, exec_lo, s21
	s_cbranch_vccz .LBB18_587
; %bb.570:
	s_cmp_lt_i32 s0, 27
	s_cbranch_scc1 .LBB18_573
; %bb.571:
	s_cmp_gt_i32 s0, 27
	s_cbranch_scc0 .LBB18_574
; %bb.572:
	s_wait_loadcnt 0x0
	global_load_b32 v2, v[0:1], off
	s_mov_b32 s20, 0
	s_wait_loadcnt 0x0
	v_cvt_f32_u32_e32 v2, v2
	s_branch .LBB18_575
.LBB18_573:
	s_mov_b32 s20, -1
                                        ; implicit-def: $vgpr2
	s_branch .LBB18_578
.LBB18_574:
	s_mov_b32 s20, -1
                                        ; implicit-def: $vgpr2
.LBB18_575:
	s_delay_alu instid0(SALU_CYCLE_1)
	s_and_not1_b32 vcc_lo, exec_lo, s20
	s_cbranch_vccnz .LBB18_577
; %bb.576:
	s_wait_loadcnt 0x0
	global_load_u16 v2, v[0:1], off
	s_wait_loadcnt 0x0
	v_cvt_f32_u32_e32 v2, v2
.LBB18_577:
	s_mov_b32 s20, 0
.LBB18_578:
	s_delay_alu instid0(SALU_CYCLE_1)
	s_and_not1_b32 vcc_lo, exec_lo, s20
	s_cbranch_vccnz .LBB18_586
; %bb.579:
	global_load_u8 v3, v[0:1], off
	s_mov_b32 s20, 0
	s_mov_b32 s21, exec_lo
	s_wait_loadcnt 0x0
	v_cmpx_lt_i16_e32 0x7f, v3
	s_xor_b32 s21, exec_lo, s21
	s_cbranch_execz .LBB18_600
; %bb.580:
	s_mov_b32 s20, -1
	s_mov_b32 s22, exec_lo
	v_cmpx_eq_u16_e32 0x80, v3
; %bb.581:
	s_xor_b32 s20, exec_lo, -1
; %bb.582:
	s_or_b32 exec_lo, exec_lo, s22
	s_delay_alu instid0(SALU_CYCLE_1)
	s_and_b32 s20, s20, exec_lo
	s_or_saveexec_b32 s21, s21
	v_mov_b32_e32 v2, 0x7f800001
	s_xor_b32 exec_lo, exec_lo, s21
	s_cbranch_execnz .LBB18_601
.LBB18_583:
	s_or_b32 exec_lo, exec_lo, s21
	s_and_saveexec_b32 s21, s20
	s_cbranch_execz .LBB18_585
.LBB18_584:
	v_and_b32_e32 v2, 0xffff, v3
	s_delay_alu instid0(VALU_DEP_1) | instskip(SKIP_1) | instid1(VALU_DEP_2)
	v_and_b32_e32 v4, 7, v2
	v_bfe_u32 v7, v2, 3, 4
	v_clz_i32_u32_e32 v5, v4
	s_delay_alu instid0(VALU_DEP_2) | instskip(NEXT) | instid1(VALU_DEP_2)
	v_cmp_eq_u32_e32 vcc_lo, 0, v7
	v_min_u32_e32 v5, 32, v5
	s_delay_alu instid0(VALU_DEP_1) | instskip(NEXT) | instid1(VALU_DEP_1)
	v_subrev_nc_u32_e32 v6, 28, v5
	v_dual_lshlrev_b32 v2, v6, v2 :: v_dual_sub_nc_u32 v5, 29, v5
	s_delay_alu instid0(VALU_DEP_1) | instskip(NEXT) | instid1(VALU_DEP_1)
	v_dual_lshlrev_b32 v3, 24, v3 :: v_dual_bitop2_b32 v2, 7, v2 bitop3:0x40
	v_dual_cndmask_b32 v5, v7, v5 :: v_dual_cndmask_b32 v2, v4, v2
	s_delay_alu instid0(VALU_DEP_2) | instskip(NEXT) | instid1(VALU_DEP_2)
	v_and_b32_e32 v3, 0x80000000, v3
	v_lshl_add_u32 v4, v5, 23, 0x3b800000
	s_delay_alu instid0(VALU_DEP_3) | instskip(NEXT) | instid1(VALU_DEP_1)
	v_lshlrev_b32_e32 v2, 20, v2
	v_or3_b32 v2, v3, v4, v2
.LBB18_585:
	s_or_b32 exec_lo, exec_lo, s21
.LBB18_586:
	s_mov_b32 s20, -1
.LBB18_587:
	s_mov_b32 s21, 0
.LBB18_588:
	s_delay_alu instid0(SALU_CYCLE_1)
	s_and_b32 vcc_lo, exec_lo, s21
	s_cbranch_vccz .LBB18_623
; %bb.589:
	s_cmp_gt_i32 s0, 22
	s_cbranch_scc0 .LBB18_599
; %bb.590:
	s_cmp_lt_i32 s0, 24
	s_cbranch_scc1 .LBB18_602
; %bb.591:
	s_cmp_gt_i32 s0, 24
	s_cbranch_scc0 .LBB18_603
; %bb.592:
	global_load_u8 v3, v[0:1], off
	s_mov_b32 s20, 0
	s_mov_b32 s21, exec_lo
	s_wait_loadcnt 0x0
	v_cmpx_lt_i16_e32 0x7f, v3
	s_xor_b32 s21, exec_lo, s21
	s_cbranch_execz .LBB18_615
; %bb.593:
	s_mov_b32 s20, -1
	s_mov_b32 s22, exec_lo
	v_cmpx_eq_u16_e32 0x80, v3
; %bb.594:
	s_xor_b32 s20, exec_lo, -1
; %bb.595:
	s_or_b32 exec_lo, exec_lo, s22
	s_delay_alu instid0(SALU_CYCLE_1)
	s_and_b32 s20, s20, exec_lo
	s_or_saveexec_b32 s21, s21
	v_mov_b32_e32 v2, 0x7f800001
	s_xor_b32 exec_lo, exec_lo, s21
	s_cbranch_execnz .LBB18_616
.LBB18_596:
	s_or_b32 exec_lo, exec_lo, s21
	s_and_saveexec_b32 s21, s20
	s_cbranch_execz .LBB18_598
.LBB18_597:
	v_and_b32_e32 v2, 0xffff, v3
	s_delay_alu instid0(VALU_DEP_1) | instskip(SKIP_1) | instid1(VALU_DEP_2)
	v_and_b32_e32 v4, 3, v2
	v_bfe_u32 v7, v2, 2, 5
	v_clz_i32_u32_e32 v5, v4
	s_delay_alu instid0(VALU_DEP_2) | instskip(NEXT) | instid1(VALU_DEP_2)
	v_cmp_eq_u32_e32 vcc_lo, 0, v7
	v_min_u32_e32 v5, 32, v5
	s_delay_alu instid0(VALU_DEP_1) | instskip(NEXT) | instid1(VALU_DEP_1)
	v_subrev_nc_u32_e32 v6, 29, v5
	v_dual_lshlrev_b32 v2, v6, v2 :: v_dual_sub_nc_u32 v5, 30, v5
	s_delay_alu instid0(VALU_DEP_1) | instskip(NEXT) | instid1(VALU_DEP_1)
	v_dual_lshlrev_b32 v3, 24, v3 :: v_dual_bitop2_b32 v2, 3, v2 bitop3:0x40
	v_dual_cndmask_b32 v5, v7, v5 :: v_dual_cndmask_b32 v2, v4, v2
	s_delay_alu instid0(VALU_DEP_2) | instskip(NEXT) | instid1(VALU_DEP_2)
	v_and_b32_e32 v3, 0x80000000, v3
	v_lshl_add_u32 v4, v5, 23, 0x37800000
	s_delay_alu instid0(VALU_DEP_3) | instskip(NEXT) | instid1(VALU_DEP_1)
	v_lshlrev_b32_e32 v2, 21, v2
	v_or3_b32 v2, v3, v4, v2
.LBB18_598:
	s_or_b32 exec_lo, exec_lo, s21
	s_mov_b32 s20, 0
	s_branch .LBB18_604
.LBB18_599:
	s_mov_b32 s21, -1
                                        ; implicit-def: $vgpr2
	s_branch .LBB18_610
.LBB18_600:
	s_or_saveexec_b32 s21, s21
	v_mov_b32_e32 v2, 0x7f800001
	s_xor_b32 exec_lo, exec_lo, s21
	s_cbranch_execz .LBB18_583
.LBB18_601:
	v_cmp_ne_u16_e32 vcc_lo, 0, v3
	v_mov_b32_e32 v2, 0
	s_and_not1_b32 s20, s20, exec_lo
	s_and_b32 s22, vcc_lo, exec_lo
	s_delay_alu instid0(SALU_CYCLE_1)
	s_or_b32 s20, s20, s22
	s_or_b32 exec_lo, exec_lo, s21
	s_and_saveexec_b32 s21, s20
	s_cbranch_execnz .LBB18_584
	s_branch .LBB18_585
.LBB18_602:
	s_mov_b32 s20, -1
                                        ; implicit-def: $vgpr2
	s_branch .LBB18_607
.LBB18_603:
	s_mov_b32 s20, -1
                                        ; implicit-def: $vgpr2
.LBB18_604:
	s_delay_alu instid0(SALU_CYCLE_1)
	s_and_b32 vcc_lo, exec_lo, s20
	s_cbranch_vccz .LBB18_606
; %bb.605:
	s_wait_loadcnt 0x0
	global_load_u8 v2, v[0:1], off
	s_wait_loadcnt 0x0
	v_lshlrev_b32_e32 v2, 24, v2
	s_delay_alu instid0(VALU_DEP_1) | instskip(NEXT) | instid1(VALU_DEP_1)
	v_and_b32_e32 v3, 0x7f000000, v2
	v_clz_i32_u32_e32 v4, v3
	v_cmp_ne_u32_e32 vcc_lo, 0, v3
	v_add_nc_u32_e32 v6, 0x1000000, v3
	s_delay_alu instid0(VALU_DEP_3) | instskip(NEXT) | instid1(VALU_DEP_1)
	v_min_u32_e32 v4, 32, v4
	v_sub_nc_u32_e64 v4, v4, 4 clamp
	s_delay_alu instid0(VALU_DEP_1) | instskip(NEXT) | instid1(VALU_DEP_1)
	v_dual_lshlrev_b32 v5, v4, v3 :: v_dual_lshlrev_b32 v4, 23, v4
	v_lshrrev_b32_e32 v5, 4, v5
	s_delay_alu instid0(VALU_DEP_1) | instskip(NEXT) | instid1(VALU_DEP_1)
	v_dual_sub_nc_u32 v4, v5, v4 :: v_dual_ashrrev_i32 v5, 8, v6
	v_add_nc_u32_e32 v4, 0x3c000000, v4
	s_delay_alu instid0(VALU_DEP_1) | instskip(NEXT) | instid1(VALU_DEP_1)
	v_and_or_b32 v4, 0x7f800000, v5, v4
	v_cndmask_b32_e32 v3, 0, v4, vcc_lo
	s_delay_alu instid0(VALU_DEP_1)
	v_and_or_b32 v2, 0x80000000, v2, v3
.LBB18_606:
	s_mov_b32 s20, 0
.LBB18_607:
	s_delay_alu instid0(SALU_CYCLE_1)
	s_and_not1_b32 vcc_lo, exec_lo, s20
	s_cbranch_vccnz .LBB18_609
; %bb.608:
	s_wait_loadcnt 0x0
	global_load_u8 v2, v[0:1], off
	s_wait_loadcnt 0x0
	v_lshlrev_b32_e32 v3, 25, v2
	v_lshlrev_b16 v2, 8, v2
	s_delay_alu instid0(VALU_DEP_1) | instskip(SKIP_1) | instid1(VALU_DEP_2)
	v_and_or_b32 v5, 0x7f00, v2, 0.5
	v_bfe_i32 v2, v2, 0, 16
	v_dual_add_f32 v5, -0.5, v5 :: v_dual_lshrrev_b32 v4, 4, v3
	v_cmp_gt_u32_e32 vcc_lo, 0x8000000, v3
	s_delay_alu instid0(VALU_DEP_2) | instskip(NEXT) | instid1(VALU_DEP_1)
	v_or_b32_e32 v4, 0x70000000, v4
	v_mul_f32_e32 v4, 0x7800000, v4
	s_delay_alu instid0(VALU_DEP_1) | instskip(NEXT) | instid1(VALU_DEP_1)
	v_cndmask_b32_e32 v3, v4, v5, vcc_lo
	v_and_or_b32 v2, 0x80000000, v2, v3
.LBB18_609:
	s_mov_b32 s21, 0
	s_mov_b32 s20, -1
.LBB18_610:
	s_and_not1_b32 vcc_lo, exec_lo, s21
	s_cbranch_vccnz .LBB18_623
; %bb.611:
	s_cmp_gt_i32 s0, 14
	s_cbranch_scc0 .LBB18_614
; %bb.612:
	s_cmp_eq_u32 s0, 15
	s_cbranch_scc0 .LBB18_617
; %bb.613:
	s_wait_loadcnt 0x0
	global_load_u16 v2, v[0:1], off
	s_mov_b32 s20, -1
	s_mov_b32 s19, 0
	s_wait_loadcnt 0x0
	v_lshlrev_b32_e32 v2, 16, v2
	s_branch .LBB18_618
.LBB18_614:
	s_mov_b32 s21, -1
                                        ; implicit-def: $vgpr2
	s_branch .LBB18_619
.LBB18_615:
	s_or_saveexec_b32 s21, s21
	v_mov_b32_e32 v2, 0x7f800001
	s_xor_b32 exec_lo, exec_lo, s21
	s_cbranch_execz .LBB18_596
.LBB18_616:
	v_cmp_ne_u16_e32 vcc_lo, 0, v3
	v_mov_b32_e32 v2, 0
	s_and_not1_b32 s20, s20, exec_lo
	s_and_b32 s22, vcc_lo, exec_lo
	s_delay_alu instid0(SALU_CYCLE_1)
	s_or_b32 s20, s20, s22
	s_or_b32 exec_lo, exec_lo, s21
	s_and_saveexec_b32 s21, s20
	s_cbranch_execnz .LBB18_597
	s_branch .LBB18_598
.LBB18_617:
	s_mov_b32 s19, -1
                                        ; implicit-def: $vgpr2
.LBB18_618:
	s_mov_b32 s21, 0
.LBB18_619:
	s_delay_alu instid0(SALU_CYCLE_1)
	s_and_b32 vcc_lo, exec_lo, s21
	s_cbranch_vccz .LBB18_623
; %bb.620:
	s_cmp_eq_u32 s0, 11
	s_cbranch_scc0 .LBB18_622
; %bb.621:
	s_wait_loadcnt 0x0
	global_load_u8 v2, v[0:1], off
	s_mov_b32 s19, 0
	s_mov_b32 s20, -1
	s_wait_loadcnt 0x0
	v_cmp_ne_u16_e32 vcc_lo, 0, v2
	v_cndmask_b32_e64 v2, 0, 1.0, vcc_lo
	s_branch .LBB18_623
.LBB18_622:
	s_mov_b32 s19, -1
                                        ; implicit-def: $vgpr2
.LBB18_623:
	s_mov_b32 s21, 0
.LBB18_624:
	s_delay_alu instid0(SALU_CYCLE_1)
	s_and_b32 vcc_lo, exec_lo, s21
	s_cbranch_vccz .LBB18_673
; %bb.625:
	s_cmp_lt_i32 s0, 5
	s_cbranch_scc1 .LBB18_630
; %bb.626:
	s_cmp_lt_i32 s0, 8
	s_cbranch_scc1 .LBB18_631
	;; [unrolled: 3-line block ×3, first 2 shown]
; %bb.628:
	s_cmp_gt_i32 s0, 9
	s_cbranch_scc0 .LBB18_633
; %bb.629:
	s_wait_loadcnt 0x0
	global_load_b64 v[2:3], v[0:1], off
	s_mov_b32 s20, 0
	s_wait_loadcnt 0x0
	v_cvt_f32_f64_e32 v2, v[2:3]
	s_branch .LBB18_634
.LBB18_630:
	s_mov_b32 s20, -1
                                        ; implicit-def: $vgpr2
	s_branch .LBB18_652
.LBB18_631:
	s_mov_b32 s20, -1
                                        ; implicit-def: $vgpr2
	s_branch .LBB18_640
.LBB18_632:
	s_mov_b32 s20, -1
                                        ; implicit-def: $vgpr2
	s_branch .LBB18_637
.LBB18_633:
	s_mov_b32 s20, -1
                                        ; implicit-def: $vgpr2
.LBB18_634:
	s_delay_alu instid0(SALU_CYCLE_1)
	s_and_not1_b32 vcc_lo, exec_lo, s20
	s_cbranch_vccnz .LBB18_636
; %bb.635:
	s_wait_loadcnt 0x0
	global_load_b32 v2, v[0:1], off
.LBB18_636:
	s_mov_b32 s20, 0
.LBB18_637:
	s_delay_alu instid0(SALU_CYCLE_1)
	s_and_not1_b32 vcc_lo, exec_lo, s20
	s_cbranch_vccnz .LBB18_639
; %bb.638:
	s_wait_loadcnt 0x0
	global_load_b32 v2, v[0:1], off
	s_wait_loadcnt 0x0
	v_cvt_f32_f16_e32 v2, v2
.LBB18_639:
	s_mov_b32 s20, 0
.LBB18_640:
	s_delay_alu instid0(SALU_CYCLE_1)
	s_and_not1_b32 vcc_lo, exec_lo, s20
	s_cbranch_vccnz .LBB18_651
; %bb.641:
	s_cmp_lt_i32 s0, 6
	s_cbranch_scc1 .LBB18_644
; %bb.642:
	s_cmp_gt_i32 s0, 6
	s_cbranch_scc0 .LBB18_645
; %bb.643:
	s_wait_loadcnt 0x0
	global_load_b64 v[2:3], v[0:1], off
	s_mov_b32 s20, 0
	s_wait_loadcnt 0x0
	v_cvt_f32_f64_e32 v2, v[2:3]
	s_branch .LBB18_646
.LBB18_644:
	s_mov_b32 s20, -1
                                        ; implicit-def: $vgpr2
	s_branch .LBB18_649
.LBB18_645:
	s_mov_b32 s20, -1
                                        ; implicit-def: $vgpr2
.LBB18_646:
	s_delay_alu instid0(SALU_CYCLE_1)
	s_and_not1_b32 vcc_lo, exec_lo, s20
	s_cbranch_vccnz .LBB18_648
; %bb.647:
	s_wait_loadcnt 0x0
	global_load_b32 v2, v[0:1], off
.LBB18_648:
	s_mov_b32 s20, 0
.LBB18_649:
	s_delay_alu instid0(SALU_CYCLE_1)
	s_and_not1_b32 vcc_lo, exec_lo, s20
	s_cbranch_vccnz .LBB18_651
; %bb.650:
	s_wait_loadcnt 0x0
	global_load_u16 v2, v[0:1], off
	s_wait_loadcnt 0x0
	v_cvt_f32_f16_e32 v2, v2
.LBB18_651:
	s_mov_b32 s20, 0
.LBB18_652:
	s_delay_alu instid0(SALU_CYCLE_1)
	s_and_not1_b32 vcc_lo, exec_lo, s20
	s_cbranch_vccnz .LBB18_672
; %bb.653:
	s_cmp_lt_i32 s0, 2
	s_cbranch_scc1 .LBB18_657
; %bb.654:
	s_cmp_lt_i32 s0, 3
	s_cbranch_scc1 .LBB18_658
; %bb.655:
	s_cmp_gt_i32 s0, 3
	s_cbranch_scc0 .LBB18_659
; %bb.656:
	s_wait_loadcnt 0x0
	global_load_b64 v[2:3], v[0:1], off
	s_mov_b32 s20, 0
	s_wait_loadcnt 0x0
	v_xor_b32_e32 v4, v2, v3
	v_cls_i32_e32 v5, v3
	s_delay_alu instid0(VALU_DEP_2) | instskip(NEXT) | instid1(VALU_DEP_1)
	v_ashrrev_i32_e32 v4, 31, v4
	v_add_nc_u32_e32 v4, 32, v4
	s_delay_alu instid0(VALU_DEP_1) | instskip(NEXT) | instid1(VALU_DEP_1)
	v_add_min_u32_e64 v4, v5, -1, v4
	v_lshlrev_b64_e32 v[2:3], v4, v[2:3]
	s_delay_alu instid0(VALU_DEP_1) | instskip(NEXT) | instid1(VALU_DEP_1)
	v_min_u32_e32 v2, 1, v2
	v_dual_sub_nc_u32 v3, 32, v4 :: v_dual_bitop2_b32 v2, v3, v2 bitop3:0x54
	s_delay_alu instid0(VALU_DEP_1) | instskip(NEXT) | instid1(VALU_DEP_1)
	v_cvt_f32_i32_e32 v2, v2
	v_ldexp_f32 v2, v2, v3
	s_branch .LBB18_660
.LBB18_657:
	s_mov_b32 s20, -1
                                        ; implicit-def: $vgpr2
	s_branch .LBB18_666
.LBB18_658:
	s_mov_b32 s20, -1
                                        ; implicit-def: $vgpr2
	s_branch .LBB18_663
.LBB18_659:
	s_mov_b32 s20, -1
                                        ; implicit-def: $vgpr2
.LBB18_660:
	s_delay_alu instid0(SALU_CYCLE_1)
	s_and_not1_b32 vcc_lo, exec_lo, s20
	s_cbranch_vccnz .LBB18_662
; %bb.661:
	s_wait_loadcnt 0x0
	global_load_b32 v2, v[0:1], off
	s_wait_loadcnt 0x0
	v_cvt_f32_i32_e32 v2, v2
.LBB18_662:
	s_mov_b32 s20, 0
.LBB18_663:
	s_delay_alu instid0(SALU_CYCLE_1)
	s_and_not1_b32 vcc_lo, exec_lo, s20
	s_cbranch_vccnz .LBB18_665
; %bb.664:
	s_wait_loadcnt 0x0
	global_load_i16 v2, v[0:1], off
	s_wait_loadcnt 0x0
	v_cvt_f32_i32_e32 v2, v2
.LBB18_665:
	s_mov_b32 s20, 0
.LBB18_666:
	s_delay_alu instid0(SALU_CYCLE_1)
	s_and_not1_b32 vcc_lo, exec_lo, s20
	s_cbranch_vccnz .LBB18_672
; %bb.667:
	s_cmp_gt_i32 s0, 0
	s_mov_b32 s0, 0
	s_cbranch_scc0 .LBB18_669
; %bb.668:
	s_wait_loadcnt 0x0
	global_load_i8 v2, v[0:1], off
	s_wait_loadcnt 0x0
	v_cvt_f32_i32_e32 v2, v2
	s_branch .LBB18_670
.LBB18_669:
	s_mov_b32 s0, -1
                                        ; implicit-def: $vgpr2
.LBB18_670:
	s_delay_alu instid0(SALU_CYCLE_1)
	s_and_not1_b32 vcc_lo, exec_lo, s0
	s_cbranch_vccnz .LBB18_672
; %bb.671:
	global_load_u8 v0, v[0:1], off
	s_wait_loadcnt 0x0
	v_cvt_f32_ubyte0_e32 v2, v0
.LBB18_672:
	s_mov_b32 s20, -1
.LBB18_673:
	s_delay_alu instid0(SALU_CYCLE_1)
	s_and_not1_b32 vcc_lo, exec_lo, s20
	s_cbranch_vccnz .LBB18_693
; %bb.674:
	s_wait_loadcnt 0x0
	s_delay_alu instid0(VALU_DEP_1)
	v_mul_f32_e64 v1, 0x3fb8aa3b, |v2|
	s_mov_b32 s20, exec_lo
                                        ; implicit-def: $vgpr0
	v_cmpx_ge_f32_e64 0x41000000, |v2|
	s_xor_b32 s20, exec_lo, s20
	s_cbranch_execz .LBB18_680
; %bb.675:
	v_fma_f32 v0, |v2|, 0.5, -2.0
	s_mov_b32 s0, 0x224cf950
	v_rndne_f32_e32 v5, v1
	v_fma_f32 v6, 0x3fb8aa3b, |v2|, -v1
	v_cmp_ngt_f32_e64 vcc_lo, 0xc2ce8ed0, |v2|
	v_fmaak_f32 v3, s0, v0, 0xa3c2be86
	v_cmp_nlt_f32_e64 s0, 0x42b17218, |v2|
	v_sub_f32_e32 v1, v1, v5
	v_fma_f32 v6, 0x32a5705f, |v2|, v6
	s_delay_alu instid0(VALU_DEP_1) | instskip(NEXT) | instid1(VALU_DEP_1)
	v_dual_fmaak_f32 v4, v0, v3, 0xa24cf950 :: v_dual_add_f32 v1, v1, v6
	v_add_f32_e32 v4, 0x25331f1f, v4
	s_delay_alu instid0(VALU_DEP_2) | instskip(NEXT) | instid1(VALU_DEP_1)
	v_exp_f32_e32 v1, v1
	v_fma_f32 v3, v0, v4, -v3
	s_delay_alu instid0(VALU_DEP_1) | instskip(NEXT) | instid1(VALU_DEP_1)
	v_add_f32_e32 v3, 0xa69f5554, v3
	v_fma_f32 v4, v0, v3, -v4
	s_delay_alu instid0(VALU_DEP_1) | instskip(NEXT) | instid1(VALU_DEP_1)
	v_add_f32_e32 v4, 0x2808ebf8, v4
	;; [unrolled: 3-line block ×25, first 2 shown]
	v_fma_f32 v0, v0, v3, -v4
	v_cvt_i32_f32_e32 v3, v5
	s_delay_alu instid0(VALU_DEP_2) | instskip(NEXT) | instid1(VALU_DEP_2)
	v_add_f32_e32 v0, 0x3e81531c, v0
	v_ldexp_f32 v1, v1, v3
	s_delay_alu instid0(VALU_DEP_1) | instskip(SKIP_1) | instid1(VALU_DEP_2)
	v_dual_sub_f32 v0, v0, v4 :: v_dual_cndmask_b32 v3, 0, v1
	v_cmp_ngt_f32_e32 vcc_lo, 0, v2
	v_mul_f32_e32 v0, 0.5, v0
	s_delay_alu instid0(VALU_DEP_1) | instskip(NEXT) | instid1(VALU_DEP_4)
	v_mul_f32_e64 v1, |v2|, v0
	v_cndmask_b32_e64 v2, 0x7f800000, v3, s0
                                        ; implicit-def: $vgpr0
	s_and_saveexec_b32 s0, vcc_lo
	s_delay_alu instid0(SALU_CYCLE_1)
	s_xor_b32 s0, exec_lo, s0
; %bb.676:
	s_delay_alu instid0(VALU_DEP_1)
	v_mul_f32_e32 v0, v2, v1
                                        ; implicit-def: $vgpr2
                                        ; implicit-def: $vgpr1
; %bb.677:
	s_and_not1_saveexec_b32 s0, s0
; %bb.678:
	v_mul_f32_e64 v0, v1, -v2
; %bb.679:
	s_or_b32 exec_lo, exec_lo, s0
                                        ; implicit-def: $vgpr2
                                        ; implicit-def: $vgpr1
.LBB18_680:
	s_and_not1_saveexec_b32 s20, s20
	s_cbranch_execz .LBB18_686
; %bb.681:
	v_and_b32_e32 v0, 0x7fffffff, v2
	s_mov_b32 s0, 0x230aab6e
	s_delay_alu instid0(VALU_DEP_1) | instskip(SKIP_1) | instid1(VALU_DEP_2)
	v_div_scale_f32 v3, null, v0, v0, 0x42000000
	v_div_scale_f32 v0, vcc_lo, 0x42000000, v0, 0x42000000
	v_rcp_f32_e32 v4, v3
	v_nop
	s_delay_alu instid0(TRANS32_DEP_1) | instskip(NEXT) | instid1(VALU_DEP_1)
	v_fma_f32 v5, -v3, v4, 1.0
	v_fmac_f32_e32 v4, v5, v4
	s_delay_alu instid0(VALU_DEP_1) | instskip(NEXT) | instid1(VALU_DEP_1)
	v_mul_f32_e32 v5, v0, v4
	v_fma_f32 v6, -v3, v5, v0
	s_delay_alu instid0(VALU_DEP_1) | instskip(SKIP_1) | instid1(VALU_DEP_2)
	v_fmac_f32_e32 v5, v6, v4
	v_fma_f32 v6, 0x3fb8aa3b, |v2|, -v1
	v_fma_f32 v0, -v3, v5, v0
	s_delay_alu instid0(VALU_DEP_2) | instskip(NEXT) | instid1(VALU_DEP_2)
	v_fma_f32 v6, 0x32a5705f, |v2|, v6
	v_div_fmas_f32 v0, v0, v4, v5
	v_rndne_f32_e32 v5, v1
	v_cmp_ngt_f32_e64 vcc_lo, 0xc2ce8ed0, |v2|
	s_delay_alu instid0(VALU_DEP_3) | instskip(NEXT) | instid1(VALU_DEP_3)
	v_div_fixup_f32 v0, v0, |v2|, 0x42000000
	v_sub_f32_e32 v1, v1, v5
	v_cvt_i32_f32_e32 v5, v5
	s_delay_alu instid0(VALU_DEP_2) | instskip(NEXT) | instid1(VALU_DEP_1)
	v_dual_add_f32 v0, -2.0, v0 :: v_dual_add_f32 v1, v1, v6
	v_fmaak_f32 v3, s0, v0, 0x22a2dc57
	v_cmp_nlt_f32_e64 s0, 0x42b17218, |v2|
	s_delay_alu instid0(VALU_DEP_3) | instskip(NEXT) | instid1(VALU_DEP_2)
	v_exp_f32_e32 v1, v1
	v_fmaak_f32 v4, v0, v3, 0xa30aab6e
	s_delay_alu instid0(TRANS32_DEP_1) | instskip(NEXT) | instid1(VALU_DEP_1)
	v_ldexp_f32 v1, v1, v5
	v_dual_add_f32 v4, 0xa456751e, v4 :: v_dual_cndmask_b32 v1, 0, v1
	s_delay_alu instid0(VALU_DEP_1) | instskip(NEXT) | instid1(VALU_DEP_2)
	v_fma_f32 v3, v0, v4, -v3
	v_cndmask_b32_e64 v1, 0x7f800000, v1, s0
	s_delay_alu instid0(VALU_DEP_2) | instskip(SKIP_1) | instid1(VALU_DEP_1)
	v_add_f32_e32 v3, 0xa4140365, v3
	s_mov_b32 s0, exec_lo
	v_fma_f32 v4, v0, v3, -v4
	s_delay_alu instid0(VALU_DEP_1) | instskip(NEXT) | instid1(VALU_DEP_1)
	v_add_f32_e32 v4, 0x25aac8b0, v4
	v_fma_f32 v3, v0, v4, -v3
	s_delay_alu instid0(VALU_DEP_1) | instskip(NEXT) | instid1(VALU_DEP_1)
	v_add_f32_e32 v3, 0x25beb473, v3
	;; [unrolled: 3-line block ×21, first 2 shown]
	v_sub_f32_e32 v3, v0, v4
	v_mul_f32_e64 v4, 0x4f800000, |v2|
                                        ; implicit-def: $vgpr0
	v_cmpx_ngt_f32_e32 0, v2
	s_xor_b32 s21, exec_lo, s0
	s_cbranch_execz .LBB18_683
; %bb.682:
	v_cmp_gt_f32_e64 vcc_lo, 0xf800000, |v2|
	v_mul_f32_e32 v3, 0.5, v3
	s_delay_alu instid0(VALU_DEP_2) | instskip(NEXT) | instid1(VALU_DEP_2)
	v_cndmask_b32_e64 v0, |v2|, v4, vcc_lo
	v_mul_f32_e32 v1, v1, v3
	s_delay_alu instid0(VALU_DEP_2) | instskip(SKIP_1) | instid1(TRANS32_DEP_1)
	v_sqrt_f32_e32 v2, v0
	v_nop
	v_dual_add_nc_u32 v4, -1, v2 :: v_dual_add_nc_u32 v5, 1, v2
	s_delay_alu instid0(VALU_DEP_1) | instskip(NEXT) | instid1(VALU_DEP_1)
	v_dual_fma_f32 v6, -v4, v2, v0 :: v_dual_fma_f32 v7, -v5, v2, v0
	v_cmp_ge_f32_e64 s0, 0, v6
	s_delay_alu instid0(VALU_DEP_1) | instskip(NEXT) | instid1(VALU_DEP_3)
	v_cndmask_b32_e64 v2, v2, v4, s0
	v_cmp_lt_f32_e64 s0, 0, v7
	s_delay_alu instid0(VALU_DEP_1) | instskip(NEXT) | instid1(VALU_DEP_1)
	v_cndmask_b32_e64 v2, v2, v5, s0
	v_mul_f32_e32 v4, 0x37800000, v2
	s_delay_alu instid0(VALU_DEP_1) | instskip(SKIP_1) | instid1(VALU_DEP_2)
	v_cndmask_b32_e32 v2, v2, v4, vcc_lo
	v_cmp_class_f32_e64 vcc_lo, v0, 0x260
	v_cndmask_b32_e32 v0, v2, v0, vcc_lo
	s_delay_alu instid0(VALU_DEP_1) | instskip(NEXT) | instid1(VALU_DEP_1)
	v_div_scale_f32 v2, null, v0, v0, v1
	v_rcp_f32_e32 v3, v2
	v_nop
	s_delay_alu instid0(TRANS32_DEP_1) | instskip(NEXT) | instid1(VALU_DEP_1)
	v_fma_f32 v4, -v2, v3, 1.0
	v_fmac_f32_e32 v3, v4, v3
	v_div_scale_f32 v4, vcc_lo, v1, v0, v1
	s_delay_alu instid0(VALU_DEP_1) | instskip(NEXT) | instid1(VALU_DEP_1)
	v_mul_f32_e32 v5, v4, v3
	v_fma_f32 v6, -v2, v5, v4
	s_delay_alu instid0(VALU_DEP_1) | instskip(NEXT) | instid1(VALU_DEP_1)
	v_fmac_f32_e32 v5, v6, v3
	v_fma_f32 v2, -v2, v5, v4
                                        ; implicit-def: $vgpr4
	s_delay_alu instid0(VALU_DEP_1) | instskip(NEXT) | instid1(VALU_DEP_1)
	v_div_fmas_f32 v2, v2, v3, v5
                                        ; implicit-def: $vgpr3
	v_div_fixup_f32 v0, v2, v0, v1
                                        ; implicit-def: $vgpr2
                                        ; implicit-def: $vgpr1
.LBB18_683:
	s_and_not1_saveexec_b32 s21, s21
	s_cbranch_execz .LBB18_685
; %bb.684:
	v_cmp_gt_f32_e64 vcc_lo, 0xf800000, |v2|
	v_mul_f32_e32 v3, -0.5, v3
	s_delay_alu instid0(VALU_DEP_2) | instskip(NEXT) | instid1(VALU_DEP_2)
	v_cndmask_b32_e64 v0, |v2|, v4, vcc_lo
	v_mul_f32_e32 v1, v1, v3
	s_delay_alu instid0(VALU_DEP_2) | instskip(SKIP_1) | instid1(TRANS32_DEP_1)
	v_sqrt_f32_e32 v2, v0
	v_nop
	v_dual_add_nc_u32 v4, -1, v2 :: v_dual_add_nc_u32 v5, 1, v2
	s_delay_alu instid0(VALU_DEP_1) | instskip(NEXT) | instid1(VALU_DEP_1)
	v_dual_fma_f32 v6, -v4, v2, v0 :: v_dual_fma_f32 v7, -v5, v2, v0
	v_cmp_ge_f32_e64 s0, 0, v6
	s_delay_alu instid0(VALU_DEP_1) | instskip(NEXT) | instid1(VALU_DEP_3)
	v_cndmask_b32_e64 v2, v2, v4, s0
	v_cmp_lt_f32_e64 s0, 0, v7
	s_delay_alu instid0(VALU_DEP_1) | instskip(NEXT) | instid1(VALU_DEP_1)
	v_cndmask_b32_e64 v2, v2, v5, s0
	v_mul_f32_e32 v4, 0x37800000, v2
	s_delay_alu instid0(VALU_DEP_1) | instskip(SKIP_1) | instid1(VALU_DEP_2)
	v_cndmask_b32_e32 v2, v2, v4, vcc_lo
	v_cmp_class_f32_e64 vcc_lo, v0, 0x260
	v_cndmask_b32_e32 v0, v2, v0, vcc_lo
	s_delay_alu instid0(VALU_DEP_1) | instskip(NEXT) | instid1(VALU_DEP_1)
	v_div_scale_f32 v2, null, v0, v0, v1
	v_rcp_f32_e32 v3, v2
	v_nop
	s_delay_alu instid0(TRANS32_DEP_1) | instskip(NEXT) | instid1(VALU_DEP_1)
	v_fma_f32 v4, -v2, v3, 1.0
	v_fmac_f32_e32 v3, v4, v3
	v_div_scale_f32 v4, vcc_lo, v1, v0, v1
	s_delay_alu instid0(VALU_DEP_1) | instskip(NEXT) | instid1(VALU_DEP_1)
	v_mul_f32_e32 v5, v4, v3
	v_fma_f32 v6, -v2, v5, v4
	s_delay_alu instid0(VALU_DEP_1) | instskip(NEXT) | instid1(VALU_DEP_1)
	v_fmac_f32_e32 v5, v6, v3
	v_fma_f32 v2, -v2, v5, v4
	s_delay_alu instid0(VALU_DEP_1) | instskip(NEXT) | instid1(VALU_DEP_1)
	v_div_fmas_f32 v2, v2, v3, v5
	v_div_fixup_f32 v0, v2, v0, v1
.LBB18_685:
	s_or_b32 exec_lo, exec_lo, s21
.LBB18_686:
	s_delay_alu instid0(SALU_CYCLE_1) | instskip(SKIP_2) | instid1(SALU_CYCLE_1)
	s_or_b32 exec_lo, exec_lo, s20
	v_mul_lo_u32 v2, v8, s2
	s_and_b32 s20, s8, 0xff
	s_cmp_lt_i32 s20, 11
	s_delay_alu instid0(VALU_DEP_1) | instskip(NEXT) | instid1(VALU_DEP_1)
	v_ashrrev_i32_e32 v3, 31, v2
	v_add_nc_u64_e32 v[2:3], s[4:5], v[2:3]
	s_cbranch_scc1 .LBB18_694
; %bb.687:
	s_and_b32 s21, 0xffff, s20
	s_delay_alu instid0(SALU_CYCLE_1)
	s_cmp_gt_i32 s21, 25
	s_cbranch_scc0 .LBB18_695
; %bb.688:
	s_cmp_gt_i32 s21, 28
	s_cbranch_scc0 .LBB18_696
; %bb.689:
	;; [unrolled: 3-line block ×4, first 2 shown]
	s_mov_b32 s23, 0
	s_mov_b32 s0, -1
	s_cmp_eq_u32 s21, 46
	s_mov_b32 s22, 0
	s_cbranch_scc0 .LBB18_699
; %bb.692:
	v_bfe_u32 v1, v0, 16, 1
	v_cmp_o_f32_e32 vcc_lo, v0, v0
	s_mov_b32 s22, -1
	s_mov_b32 s0, 0
	s_delay_alu instid0(VALU_DEP_2) | instskip(NEXT) | instid1(VALU_DEP_1)
	v_add3_u32 v1, v0, v1, 0x7fff
	v_lshrrev_b32_e32 v1, 16, v1
	s_delay_alu instid0(VALU_DEP_1)
	v_cndmask_b32_e32 v1, 0x7fc0, v1, vcc_lo
	global_store_b32 v[2:3], v1, off
	s_branch .LBB18_699
.LBB18_693:
	s_mov_b32 s20, 0
	s_mov_b32 s0, s16
	s_branch .LBB18_810
.LBB18_694:
	s_mov_b32 s21, -1
	s_mov_b32 s22, 0
	s_mov_b32 s0, s16
	s_branch .LBB18_768
.LBB18_695:
	s_mov_b32 s23, -1
	s_mov_b32 s22, 0
	s_mov_b32 s0, s16
	s_branch .LBB18_726
.LBB18_696:
	s_mov_b32 s23, -1
	s_mov_b32 s22, 0
	s_mov_b32 s0, s16
	s_branch .LBB18_709
.LBB18_697:
	s_mov_b32 s23, -1
	s_mov_b32 s22, 0
	s_mov_b32 s0, s16
	s_branch .LBB18_705
.LBB18_698:
	s_mov_b32 s23, -1
	s_mov_b32 s22, 0
	s_mov_b32 s0, s16
.LBB18_699:
	s_and_b32 vcc_lo, exec_lo, s23
	s_cbranch_vccz .LBB18_704
; %bb.700:
	s_cmp_eq_u32 s21, 44
	s_mov_b32 s0, -1
	s_cbranch_scc0 .LBB18_704
; %bb.701:
	v_bfe_u32 v4, v0, 23, 8
	s_wait_xcnt 0x0
	v_mov_b32_e32 v1, 0xff
	s_mov_b32 s22, exec_lo
	s_delay_alu instid0(VALU_DEP_2)
	v_cmpx_ne_u32_e32 0xff, v4
	s_cbranch_execz .LBB18_703
; %bb.702:
	v_and_b32_e32 v1, 0x400000, v0
	v_and_or_b32 v4, 0x3fffff, v0, v4
	s_delay_alu instid0(VALU_DEP_2) | instskip(NEXT) | instid1(VALU_DEP_2)
	v_cmp_ne_u32_e32 vcc_lo, 0, v1
	v_cmp_ne_u32_e64 s0, 0, v4
	v_lshrrev_b32_e32 v1, 23, v0
	s_and_b32 s0, vcc_lo, s0
	s_delay_alu instid0(SALU_CYCLE_1) | instskip(NEXT) | instid1(VALU_DEP_1)
	v_cndmask_b32_e64 v4, 0, 1, s0
	v_add_nc_u32_e32 v1, v1, v4
.LBB18_703:
	s_or_b32 exec_lo, exec_lo, s22
	s_mov_b32 s22, -1
	s_mov_b32 s0, 0
	global_store_b8 v[2:3], v1, off
.LBB18_704:
	s_mov_b32 s23, 0
.LBB18_705:
	s_delay_alu instid0(SALU_CYCLE_1)
	s_and_b32 vcc_lo, exec_lo, s23
	s_cbranch_vccz .LBB18_708
; %bb.706:
	s_cmp_eq_u32 s21, 29
	s_mov_b32 s0, -1
	s_cbranch_scc0 .LBB18_708
; %bb.707:
	s_wait_xcnt 0x0
	v_trunc_f32_e32 v1, v0
	s_mov_b32 s22, -1
	s_mov_b32 s0, 0
	s_mov_b32 s23, 0
	s_delay_alu instid0(VALU_DEP_1) | instskip(NEXT) | instid1(VALU_DEP_1)
	v_mul_f32_e32 v4, 0x2f800000, v1
	v_floor_f32_e32 v4, v4
	s_delay_alu instid0(VALU_DEP_1) | instskip(SKIP_1) | instid1(VALU_DEP_2)
	v_fmamk_f32 v1, v4, 0xcf800000, v1
	v_cvt_u32_f32_e32 v5, v4
	v_cvt_u32_f32_e32 v4, v1
	global_store_b64 v[2:3], v[4:5], off
	s_branch .LBB18_709
.LBB18_708:
	s_mov_b32 s23, 0
.LBB18_709:
	s_delay_alu instid0(SALU_CYCLE_1)
	s_and_b32 vcc_lo, exec_lo, s23
	s_cbranch_vccz .LBB18_725
; %bb.710:
	s_cmp_lt_i32 s21, 27
	s_mov_b32 s22, -1
	s_cbranch_scc1 .LBB18_716
; %bb.711:
	s_wait_xcnt 0x0
	v_cvt_u32_f32_e32 v1, v0
	s_cmp_gt_i32 s21, 27
	s_cbranch_scc0 .LBB18_713
; %bb.712:
	s_mov_b32 s22, 0
	global_store_b32 v[2:3], v1, off
.LBB18_713:
	s_and_not1_b32 vcc_lo, exec_lo, s22
	s_cbranch_vccnz .LBB18_715
; %bb.714:
	global_store_b16 v[2:3], v1, off
.LBB18_715:
	s_mov_b32 s22, 0
.LBB18_716:
	s_delay_alu instid0(SALU_CYCLE_1)
	s_and_not1_b32 vcc_lo, exec_lo, s22
	s_cbranch_vccnz .LBB18_724
; %bb.717:
	s_wait_xcnt 0x0
	v_and_b32_e32 v1, 0x7fffffff, v0
	v_mov_b32_e32 v4, 0x80
	s_mov_b32 s22, exec_lo
	s_delay_alu instid0(VALU_DEP_2)
	v_cmpx_gt_u32_e32 0x43800000, v1
	s_cbranch_execz .LBB18_723
; %bb.718:
	v_cmp_lt_u32_e32 vcc_lo, 0x3bffffff, v1
	s_mov_b32 s23, 0
                                        ; implicit-def: $vgpr1
	s_and_saveexec_b32 s24, vcc_lo
	s_delay_alu instid0(SALU_CYCLE_1)
	s_xor_b32 s24, exec_lo, s24
	s_cbranch_execz .LBB18_825
; %bb.719:
	v_bfe_u32 v1, v0, 20, 1
	s_mov_b32 s23, exec_lo
	s_delay_alu instid0(VALU_DEP_1) | instskip(NEXT) | instid1(VALU_DEP_1)
	v_add3_u32 v1, v0, v1, 0x487ffff
	v_lshrrev_b32_e32 v1, 20, v1
	s_and_not1_saveexec_b32 s24, s24
	s_cbranch_execnz .LBB18_826
.LBB18_720:
	s_or_b32 exec_lo, exec_lo, s24
	v_mov_b32_e32 v4, 0
	s_and_saveexec_b32 s24, s23
.LBB18_721:
	v_lshrrev_b32_e32 v4, 24, v0
	s_delay_alu instid0(VALU_DEP_1)
	v_and_or_b32 v4, 0x80, v4, v1
.LBB18_722:
	s_or_b32 exec_lo, exec_lo, s24
.LBB18_723:
	s_delay_alu instid0(SALU_CYCLE_1)
	s_or_b32 exec_lo, exec_lo, s22
	global_store_b8 v[2:3], v4, off
.LBB18_724:
	s_mov_b32 s22, -1
.LBB18_725:
	s_mov_b32 s23, 0
.LBB18_726:
	s_delay_alu instid0(SALU_CYCLE_1)
	s_and_b32 vcc_lo, exec_lo, s23
	s_cbranch_vccz .LBB18_767
; %bb.727:
	s_cmp_gt_i32 s21, 22
	s_mov_b32 s23, -1
	s_cbranch_scc0 .LBB18_759
; %bb.728:
	s_cmp_lt_i32 s21, 24
	s_mov_b32 s22, -1
	s_cbranch_scc1 .LBB18_748
; %bb.729:
	s_cmp_gt_i32 s21, 24
	s_cbranch_scc0 .LBB18_737
; %bb.730:
	s_wait_xcnt 0x0
	v_and_b32_e32 v1, 0x7fffffff, v0
	v_mov_b32_e32 v4, 0x80
	s_mov_b32 s22, exec_lo
	s_delay_alu instid0(VALU_DEP_2)
	v_cmpx_gt_u32_e32 0x47800000, v1
	s_cbranch_execz .LBB18_736
; %bb.731:
	v_cmp_lt_u32_e32 vcc_lo, 0x37ffffff, v1
	s_mov_b32 s23, 0
                                        ; implicit-def: $vgpr1
	s_and_saveexec_b32 s24, vcc_lo
	s_delay_alu instid0(SALU_CYCLE_1)
	s_xor_b32 s24, exec_lo, s24
	s_cbranch_execz .LBB18_828
; %bb.732:
	v_bfe_u32 v1, v0, 21, 1
	s_mov_b32 s23, exec_lo
	s_delay_alu instid0(VALU_DEP_1) | instskip(NEXT) | instid1(VALU_DEP_1)
	v_add3_u32 v1, v0, v1, 0x88fffff
	v_lshrrev_b32_e32 v1, 21, v1
	s_and_not1_saveexec_b32 s24, s24
	s_cbranch_execnz .LBB18_829
.LBB18_733:
	s_or_b32 exec_lo, exec_lo, s24
	v_mov_b32_e32 v4, 0
	s_and_saveexec_b32 s24, s23
.LBB18_734:
	v_lshrrev_b32_e32 v4, 24, v0
	s_delay_alu instid0(VALU_DEP_1)
	v_and_or_b32 v4, 0x80, v4, v1
.LBB18_735:
	s_or_b32 exec_lo, exec_lo, s24
.LBB18_736:
	s_delay_alu instid0(SALU_CYCLE_1)
	s_or_b32 exec_lo, exec_lo, s22
	s_mov_b32 s22, 0
	global_store_b8 v[2:3], v4, off
.LBB18_737:
	s_and_b32 vcc_lo, exec_lo, s22
	s_cbranch_vccz .LBB18_747
; %bb.738:
	s_wait_xcnt 0x0
	v_and_b32_e32 v4, 0x7fffffff, v0
	s_mov_b32 s22, exec_lo
                                        ; implicit-def: $vgpr1
	s_delay_alu instid0(VALU_DEP_1)
	v_cmpx_gt_u32_e32 0x43f00000, v4
	s_xor_b32 s22, exec_lo, s22
	s_cbranch_execz .LBB18_744
; %bb.739:
	s_mov_b32 s23, exec_lo
                                        ; implicit-def: $vgpr1
	v_cmpx_lt_u32_e32 0x3c7fffff, v4
	s_xor_b32 s23, exec_lo, s23
; %bb.740:
	v_bfe_u32 v1, v0, 20, 1
	s_delay_alu instid0(VALU_DEP_1) | instskip(NEXT) | instid1(VALU_DEP_1)
	v_add3_u32 v1, v0, v1, 0x407ffff
	v_and_b32_e32 v4, 0xff00000, v1
	v_lshrrev_b32_e32 v1, 20, v1
	s_delay_alu instid0(VALU_DEP_2) | instskip(NEXT) | instid1(VALU_DEP_2)
	v_cmp_ne_u32_e32 vcc_lo, 0x7f00000, v4
	v_cndmask_b32_e32 v1, 0x7e, v1, vcc_lo
; %bb.741:
	s_and_not1_saveexec_b32 s23, s23
; %bb.742:
	v_add_f32_e64 v1, 0x46800000, |v0|
; %bb.743:
	s_or_b32 exec_lo, exec_lo, s23
                                        ; implicit-def: $vgpr4
.LBB18_744:
	s_and_not1_saveexec_b32 s22, s22
; %bb.745:
	v_mov_b32_e32 v1, 0x7f
	v_cmp_lt_u32_e32 vcc_lo, 0x7f800000, v4
	s_delay_alu instid0(VALU_DEP_2)
	v_cndmask_b32_e32 v1, 0x7e, v1, vcc_lo
; %bb.746:
	s_or_b32 exec_lo, exec_lo, s22
	v_lshrrev_b32_e32 v4, 24, v0
	s_delay_alu instid0(VALU_DEP_1)
	v_and_or_b32 v1, 0x80, v4, v1
	global_store_b8 v[2:3], v1, off
.LBB18_747:
	s_mov_b32 s22, 0
.LBB18_748:
	s_delay_alu instid0(SALU_CYCLE_1)
	s_and_not1_b32 vcc_lo, exec_lo, s22
	s_cbranch_vccnz .LBB18_758
; %bb.749:
	s_wait_xcnt 0x0
	v_and_b32_e32 v4, 0x7fffffff, v0
	s_mov_b32 s22, exec_lo
                                        ; implicit-def: $vgpr1
	s_delay_alu instid0(VALU_DEP_1)
	v_cmpx_gt_u32_e32 0x47800000, v4
	s_xor_b32 s22, exec_lo, s22
	s_cbranch_execz .LBB18_755
; %bb.750:
	s_mov_b32 s23, exec_lo
                                        ; implicit-def: $vgpr1
	v_cmpx_lt_u32_e32 0x387fffff, v4
	s_xor_b32 s23, exec_lo, s23
; %bb.751:
	v_bfe_u32 v1, v0, 21, 1
	s_delay_alu instid0(VALU_DEP_1) | instskip(NEXT) | instid1(VALU_DEP_1)
	v_add3_u32 v1, v0, v1, 0x80fffff
	v_lshrrev_b32_e32 v1, 21, v1
; %bb.752:
	s_and_not1_saveexec_b32 s23, s23
; %bb.753:
	v_add_f32_e64 v1, 0x43000000, |v0|
; %bb.754:
	s_or_b32 exec_lo, exec_lo, s23
                                        ; implicit-def: $vgpr4
.LBB18_755:
	s_and_not1_saveexec_b32 s22, s22
; %bb.756:
	v_mov_b32_e32 v1, 0x7f
	v_cmp_lt_u32_e32 vcc_lo, 0x7f800000, v4
	s_delay_alu instid0(VALU_DEP_2)
	v_cndmask_b32_e32 v1, 0x7c, v1, vcc_lo
; %bb.757:
	s_or_b32 exec_lo, exec_lo, s22
	v_lshrrev_b32_e32 v4, 24, v0
	s_delay_alu instid0(VALU_DEP_1)
	v_and_or_b32 v1, 0x80, v4, v1
	global_store_b8 v[2:3], v1, off
.LBB18_758:
	s_mov_b32 s23, 0
	s_mov_b32 s22, -1
.LBB18_759:
	s_and_not1_b32 vcc_lo, exec_lo, s23
	s_cbranch_vccnz .LBB18_767
; %bb.760:
	s_cmp_gt_i32 s21, 14
	s_mov_b32 s23, -1
	s_cbranch_scc0 .LBB18_764
; %bb.761:
	s_cmp_eq_u32 s21, 15
	s_mov_b32 s0, -1
	s_cbranch_scc0 .LBB18_763
; %bb.762:
	s_wait_xcnt 0x0
	v_bfe_u32 v1, v0, 16, 1
	v_cmp_o_f32_e32 vcc_lo, v0, v0
	s_mov_b32 s22, -1
	s_mov_b32 s0, 0
	s_delay_alu instid0(VALU_DEP_2) | instskip(NEXT) | instid1(VALU_DEP_1)
	v_add3_u32 v1, v0, v1, 0x7fff
	v_lshrrev_b32_e32 v1, 16, v1
	s_delay_alu instid0(VALU_DEP_1)
	v_cndmask_b32_e32 v1, 0x7fc0, v1, vcc_lo
	global_store_b16 v[2:3], v1, off
.LBB18_763:
	s_mov_b32 s23, 0
.LBB18_764:
	s_delay_alu instid0(SALU_CYCLE_1)
	s_and_b32 vcc_lo, exec_lo, s23
	s_cbranch_vccz .LBB18_767
; %bb.765:
	s_cmp_eq_u32 s21, 11
	s_mov_b32 s0, -1
	s_cbranch_scc0 .LBB18_767
; %bb.766:
	v_cmp_neq_f32_e32 vcc_lo, 0, v0
	s_mov_b32 s0, 0
	s_mov_b32 s22, -1
	s_wait_xcnt 0x0
	v_cndmask_b32_e64 v1, 0, 1, vcc_lo
	global_store_b8 v[2:3], v1, off
.LBB18_767:
	s_mov_b32 s21, 0
.LBB18_768:
	s_delay_alu instid0(SALU_CYCLE_1)
	s_and_b32 vcc_lo, exec_lo, s21
	s_cbranch_vccz .LBB18_807
; %bb.769:
	s_and_b32 s20, 0xffff, s20
	s_mov_b32 s21, -1
	s_cmp_lt_i32 s20, 5
	s_cbranch_scc1 .LBB18_790
; %bb.770:
	s_cmp_lt_i32 s20, 8
	s_cbranch_scc1 .LBB18_780
; %bb.771:
	;; [unrolled: 3-line block ×3, first 2 shown]
	s_cmp_gt_i32 s20, 9
	s_cbranch_scc0 .LBB18_774
; %bb.773:
	s_wait_xcnt 0x0
	v_cvt_f64_f32_e32 v[4:5], v0
	v_mov_b32_e32 v6, 0
	s_mov_b32 s21, 0
	s_delay_alu instid0(VALU_DEP_1)
	v_mov_b32_e32 v7, v6
	global_store_b128 v[2:3], v[4:7], off
.LBB18_774:
	s_and_not1_b32 vcc_lo, exec_lo, s21
	s_cbranch_vccnz .LBB18_776
; %bb.775:
	s_wait_xcnt 0x0
	v_mov_b32_e32 v1, 0
	global_store_b64 v[2:3], v[0:1], off
.LBB18_776:
	s_mov_b32 s21, 0
.LBB18_777:
	s_delay_alu instid0(SALU_CYCLE_1)
	s_and_not1_b32 vcc_lo, exec_lo, s21
	s_cbranch_vccnz .LBB18_779
; %bb.778:
	s_wait_xcnt 0x0
	v_cvt_f16_f32_e32 v1, v0
	s_delay_alu instid0(VALU_DEP_1)
	v_and_b32_e32 v1, 0xffff, v1
	global_store_b32 v[2:3], v1, off
.LBB18_779:
	s_mov_b32 s21, 0
.LBB18_780:
	s_delay_alu instid0(SALU_CYCLE_1)
	s_and_not1_b32 vcc_lo, exec_lo, s21
	s_cbranch_vccnz .LBB18_789
; %bb.781:
	s_cmp_lt_i32 s20, 6
	s_mov_b32 s21, -1
	s_cbranch_scc1 .LBB18_787
; %bb.782:
	s_cmp_gt_i32 s20, 6
	s_cbranch_scc0 .LBB18_784
; %bb.783:
	s_wait_xcnt 0x0
	v_cvt_f64_f32_e32 v[4:5], v0
	s_mov_b32 s21, 0
	global_store_b64 v[2:3], v[4:5], off
.LBB18_784:
	s_and_not1_b32 vcc_lo, exec_lo, s21
	s_cbranch_vccnz .LBB18_786
; %bb.785:
	global_store_b32 v[2:3], v0, off
.LBB18_786:
	s_mov_b32 s21, 0
.LBB18_787:
	s_delay_alu instid0(SALU_CYCLE_1)
	s_and_not1_b32 vcc_lo, exec_lo, s21
	s_cbranch_vccnz .LBB18_789
; %bb.788:
	s_wait_xcnt 0x0
	v_cvt_f16_f32_e32 v1, v0
	global_store_b16 v[2:3], v1, off
.LBB18_789:
	s_mov_b32 s21, 0
.LBB18_790:
	s_delay_alu instid0(SALU_CYCLE_1)
	s_and_not1_b32 vcc_lo, exec_lo, s21
	s_cbranch_vccnz .LBB18_806
; %bb.791:
	s_cmp_lt_i32 s20, 2
	s_mov_b32 s21, -1
	s_cbranch_scc1 .LBB18_801
; %bb.792:
	s_cmp_lt_i32 s20, 3
	s_cbranch_scc1 .LBB18_798
; %bb.793:
	s_cmp_gt_i32 s20, 3
	s_cbranch_scc0 .LBB18_795
; %bb.794:
	s_wait_xcnt 0x0
	v_trunc_f32_e32 v1, v0
	s_mov_b32 s21, 0
	s_delay_alu instid0(VALU_DEP_1) | instskip(NEXT) | instid1(VALU_DEP_1)
	v_mul_f32_e64 v4, 0x2f800000, |v1|
	v_floor_f32_e32 v5, v4
	v_ashrrev_i32_e32 v4, 31, v1
	s_delay_alu instid0(VALU_DEP_2) | instskip(SKIP_1) | instid1(VALU_DEP_3)
	v_fma_f32 v6, 0xcf800000, v5, |v1|
	v_cvt_u32_f32_e32 v1, v5
	v_mov_b32_e32 v5, v4
	s_delay_alu instid0(VALU_DEP_3) | instskip(NEXT) | instid1(VALU_DEP_3)
	v_cvt_u32_f32_e32 v6, v6
	v_xor_b32_e32 v7, v1, v4
	s_delay_alu instid0(VALU_DEP_2) | instskip(NEXT) | instid1(VALU_DEP_1)
	v_xor_b32_e32 v6, v6, v4
	v_sub_nc_u64_e32 v[4:5], v[6:7], v[4:5]
	global_store_b64 v[2:3], v[4:5], off
.LBB18_795:
	s_and_not1_b32 vcc_lo, exec_lo, s21
	s_cbranch_vccnz .LBB18_797
; %bb.796:
	s_wait_xcnt 0x0
	v_cvt_i32_f32_e32 v1, v0
	global_store_b32 v[2:3], v1, off
.LBB18_797:
	s_mov_b32 s21, 0
.LBB18_798:
	s_delay_alu instid0(SALU_CYCLE_1)
	s_and_not1_b32 vcc_lo, exec_lo, s21
	s_cbranch_vccnz .LBB18_800
; %bb.799:
	s_wait_xcnt 0x0
	v_cvt_i32_f32_e32 v1, v0
	global_store_b16 v[2:3], v1, off
.LBB18_800:
	s_mov_b32 s21, 0
.LBB18_801:
	s_delay_alu instid0(SALU_CYCLE_1)
	s_and_not1_b32 vcc_lo, exec_lo, s21
	s_cbranch_vccnz .LBB18_806
; %bb.802:
	s_cmp_gt_i32 s20, 0
	s_mov_b32 s20, -1
	s_cbranch_scc0 .LBB18_804
; %bb.803:
	s_wait_xcnt 0x0
	v_cvt_i32_f32_e32 v1, v0
	s_mov_b32 s20, 0
	global_store_b8 v[2:3], v1, off
.LBB18_804:
	s_and_not1_b32 vcc_lo, exec_lo, s20
	s_cbranch_vccnz .LBB18_806
; %bb.805:
	s_wait_xcnt 0x0
	v_trunc_f32_e32 v0, v0
	s_delay_alu instid0(VALU_DEP_1) | instskip(NEXT) | instid1(VALU_DEP_1)
	v_mul_f32_e64 v1, 0x2f800000, |v0|
	v_floor_f32_e32 v1, v1
	s_delay_alu instid0(VALU_DEP_1) | instskip(SKIP_1) | instid1(VALU_DEP_2)
	v_fma_f32 v1, 0xcf800000, v1, |v0|
	v_ashrrev_i32_e32 v0, 31, v0
	v_cvt_u32_f32_e32 v1, v1
	s_delay_alu instid0(VALU_DEP_1) | instskip(NEXT) | instid1(VALU_DEP_1)
	v_xor_b32_e32 v1, v1, v0
	v_sub_nc_u32_e32 v0, v1, v0
	global_store_b8 v[2:3], v0, off
.LBB18_806:
	s_mov_b32 s22, -1
.LBB18_807:
	s_delay_alu instid0(SALU_CYCLE_1)
	s_and_not1_b32 vcc_lo, exec_lo, s22
	s_cbranch_vccnz .LBB18_809
; %bb.808:
	v_add_nc_u32_e32 v8, 0x80, v8
	s_mov_b32 s20, -1
	s_branch .LBB18_811
.LBB18_809:
	s_mov_b32 s20, 0
.LBB18_810:
                                        ; implicit-def: $vgpr8
.LBB18_811:
	s_and_not1_b32 s21, s16, exec_lo
	s_and_b32 s0, s0, exec_lo
	s_and_not1_b32 s22, s15, exec_lo
	s_and_b32 s23, s19, exec_lo
	s_or_b32 s19, s21, s0
	s_or_b32 s0, s22, s23
	s_or_not1_b32 s20, s20, exec_lo
.LBB18_812:
	s_wait_xcnt 0x0
	s_or_b32 exec_lo, exec_lo, s18
	s_mov_b32 s21, 0
	s_mov_b32 s22, 0
	;; [unrolled: 1-line block ×3, first 2 shown]
                                        ; implicit-def: $vgpr0_vgpr1
                                        ; implicit-def: $vgpr4
	s_and_saveexec_b32 s18, s20
	s_cbranch_execz .LBB18_897
; %bb.813:
	v_cmp_gt_i32_e32 vcc_lo, s12, v8
	s_mov_b32 s20, 0
	s_mov_b32 s21, s0
	;; [unrolled: 1-line block ×3, first 2 shown]
                                        ; implicit-def: $vgpr0_vgpr1
                                        ; implicit-def: $vgpr4
	s_and_saveexec_b32 s12, vcc_lo
	s_cbranch_execz .LBB18_896
; %bb.814:
	v_mul_lo_u32 v0, v8, s3
	s_and_b32 s20, 0xffff, s9
	s_delay_alu instid0(SALU_CYCLE_1) | instskip(NEXT) | instid1(VALU_DEP_1)
	s_cmp_lt_i32 s20, 11
	v_ashrrev_i32_e32 v1, 31, v0
	s_delay_alu instid0(VALU_DEP_1)
	v_add_nc_u64_e32 v[0:1], s[6:7], v[0:1]
	s_cbranch_scc1 .LBB18_821
; %bb.815:
	s_cmp_gt_i32 s20, 25
	s_cbranch_scc0 .LBB18_822
; %bb.816:
	s_cmp_gt_i32 s20, 28
	s_cbranch_scc0 .LBB18_823
	;; [unrolled: 3-line block ×4, first 2 shown]
; %bb.819:
	s_cmp_eq_u32 s20, 46
	s_cbranch_scc0 .LBB18_830
; %bb.820:
	s_wait_loadcnt 0x0
	global_load_b32 v2, v[0:1], off
	s_mov_b32 s21, 0
	s_mov_b32 s23, -1
	s_wait_loadcnt 0x0
	v_lshlrev_b32_e32 v4, 16, v2
	s_branch .LBB18_832
.LBB18_821:
	s_mov_b32 s20, -1
	s_mov_b32 s21, s0
                                        ; implicit-def: $vgpr4
	s_branch .LBB18_895
.LBB18_822:
	s_mov_b32 s24, -1
	s_mov_b32 s21, s0
                                        ; implicit-def: $vgpr4
	s_branch .LBB18_861
.LBB18_823:
	s_mov_b32 s24, -1
	s_mov_b32 s21, s0
                                        ; implicit-def: $vgpr4
	s_branch .LBB18_842
.LBB18_824:
	s_mov_b32 s24, -1
	s_mov_b32 s21, s0
                                        ; implicit-def: $vgpr4
	s_branch .LBB18_837
.LBB18_825:
	s_and_not1_saveexec_b32 s24, s24
	s_cbranch_execz .LBB18_720
.LBB18_826:
	v_add_f32_e64 v1, 0x46000000, |v0|
	s_and_not1_b32 s23, s23, exec_lo
	s_delay_alu instid0(VALU_DEP_1) | instskip(NEXT) | instid1(VALU_DEP_1)
	v_and_b32_e32 v1, 0xff, v1
	v_cmp_ne_u32_e32 vcc_lo, 0, v1
	s_and_b32 s25, vcc_lo, exec_lo
	s_delay_alu instid0(SALU_CYCLE_1)
	s_or_b32 s23, s23, s25
	s_or_b32 exec_lo, exec_lo, s24
	v_mov_b32_e32 v4, 0
	s_and_saveexec_b32 s24, s23
	s_cbranch_execnz .LBB18_721
	s_branch .LBB18_722
.LBB18_827:
	s_mov_b32 s24, -1
	s_mov_b32 s21, s0
	s_branch .LBB18_831
.LBB18_828:
	s_and_not1_saveexec_b32 s24, s24
	s_cbranch_execz .LBB18_733
.LBB18_829:
	v_add_f32_e64 v1, 0x42800000, |v0|
	s_and_not1_b32 s23, s23, exec_lo
	s_delay_alu instid0(VALU_DEP_1) | instskip(NEXT) | instid1(VALU_DEP_1)
	v_and_b32_e32 v1, 0xff, v1
	v_cmp_ne_u32_e32 vcc_lo, 0, v1
	s_and_b32 s25, vcc_lo, exec_lo
	s_delay_alu instid0(SALU_CYCLE_1)
	s_or_b32 s23, s23, s25
	s_or_b32 exec_lo, exec_lo, s24
	v_mov_b32_e32 v4, 0
	s_and_saveexec_b32 s24, s23
	s_cbranch_execnz .LBB18_734
	s_branch .LBB18_735
.LBB18_830:
	s_mov_b32 s21, -1
.LBB18_831:
                                        ; implicit-def: $vgpr4
.LBB18_832:
	s_and_b32 vcc_lo, exec_lo, s24
	s_cbranch_vccz .LBB18_836
; %bb.833:
	s_cmp_eq_u32 s20, 44
	s_cbranch_scc0 .LBB18_835
; %bb.834:
	s_wait_loadcnt 0x0
	global_load_u8 v2, v[0:1], off
	s_mov_b32 s21, 0
	s_mov_b32 s23, -1
	s_wait_loadcnt 0x0
	v_lshlrev_b32_e32 v3, 23, v2
	v_cmp_ne_u32_e32 vcc_lo, 0xff, v2
	s_delay_alu instid0(VALU_DEP_2) | instskip(SKIP_1) | instid1(VALU_DEP_2)
	v_cndmask_b32_e32 v3, 0x7f800001, v3, vcc_lo
	v_cmp_ne_u32_e32 vcc_lo, 0, v2
	v_cndmask_b32_e32 v4, 0x400000, v3, vcc_lo
	s_branch .LBB18_836
.LBB18_835:
	s_mov_b32 s21, -1
                                        ; implicit-def: $vgpr4
.LBB18_836:
	s_mov_b32 s24, 0
.LBB18_837:
	s_delay_alu instid0(SALU_CYCLE_1)
	s_and_b32 vcc_lo, exec_lo, s24
	s_cbranch_vccz .LBB18_841
; %bb.838:
	s_cmp_eq_u32 s20, 29
	s_cbranch_scc0 .LBB18_840
; %bb.839:
	s_wait_loadcnt 0x0
	global_load_b64 v[2:3], v[0:1], off
	s_mov_b32 s21, 0
	s_mov_b32 s23, -1
	s_mov_b32 s24, 0
	s_wait_loadcnt 0x0
	v_clz_i32_u32_e32 v4, v3
	s_delay_alu instid0(VALU_DEP_1) | instskip(NEXT) | instid1(VALU_DEP_1)
	v_min_u32_e32 v4, 32, v4
	v_lshlrev_b64_e32 v[2:3], v4, v[2:3]
	s_delay_alu instid0(VALU_DEP_1) | instskip(NEXT) | instid1(VALU_DEP_1)
	v_min_u32_e32 v2, 1, v2
	v_dual_sub_nc_u32 v3, 32, v4 :: v_dual_bitop2_b32 v2, v3, v2 bitop3:0x54
	s_delay_alu instid0(VALU_DEP_1) | instskip(NEXT) | instid1(VALU_DEP_1)
	v_cvt_f32_u32_e32 v2, v2
	v_ldexp_f32 v4, v2, v3
	s_branch .LBB18_842
.LBB18_840:
	s_mov_b32 s21, -1
                                        ; implicit-def: $vgpr4
.LBB18_841:
	s_mov_b32 s24, 0
.LBB18_842:
	s_delay_alu instid0(SALU_CYCLE_1)
	s_and_b32 vcc_lo, exec_lo, s24
	s_cbranch_vccz .LBB18_860
; %bb.843:
	s_cmp_lt_i32 s20, 27
	s_cbranch_scc1 .LBB18_846
; %bb.844:
	s_cmp_gt_i32 s20, 27
	s_cbranch_scc0 .LBB18_847
; %bb.845:
	s_wait_loadcnt 0x0
	global_load_b32 v2, v[0:1], off
	s_mov_b32 s23, 0
	s_wait_loadcnt 0x0
	v_cvt_f32_u32_e32 v4, v2
	s_branch .LBB18_848
.LBB18_846:
	s_mov_b32 s23, -1
                                        ; implicit-def: $vgpr4
	s_branch .LBB18_851
.LBB18_847:
	s_mov_b32 s23, -1
                                        ; implicit-def: $vgpr4
.LBB18_848:
	s_delay_alu instid0(SALU_CYCLE_1)
	s_and_not1_b32 vcc_lo, exec_lo, s23
	s_cbranch_vccnz .LBB18_850
; %bb.849:
	s_wait_loadcnt 0x0
	global_load_u16 v2, v[0:1], off
	s_wait_loadcnt 0x0
	v_cvt_f32_u32_e32 v4, v2
.LBB18_850:
	s_mov_b32 s23, 0
.LBB18_851:
	s_delay_alu instid0(SALU_CYCLE_1)
	s_and_not1_b32 vcc_lo, exec_lo, s23
	s_cbranch_vccnz .LBB18_859
; %bb.852:
	s_wait_loadcnt 0x0
	global_load_u8 v2, v[0:1], off
	s_mov_b32 s23, 0
	s_mov_b32 s24, exec_lo
	s_wait_loadcnt 0x0
	v_cmpx_lt_i16_e32 0x7f, v2
	s_xor_b32 s24, exec_lo, s24
	s_cbranch_execz .LBB18_873
; %bb.853:
	s_mov_b32 s23, -1
	s_mov_b32 s25, exec_lo
	v_cmpx_eq_u16_e32 0x80, v2
; %bb.854:
	s_xor_b32 s23, exec_lo, -1
; %bb.855:
	s_or_b32 exec_lo, exec_lo, s25
	s_delay_alu instid0(SALU_CYCLE_1)
	s_and_b32 s23, s23, exec_lo
	s_or_saveexec_b32 s24, s24
	v_mov_b32_e32 v4, 0x7f800001
	s_xor_b32 exec_lo, exec_lo, s24
	s_cbranch_execnz .LBB18_874
.LBB18_856:
	s_or_b32 exec_lo, exec_lo, s24
	s_and_saveexec_b32 s24, s23
	s_cbranch_execz .LBB18_858
.LBB18_857:
	v_and_b32_e32 v3, 0xffff, v2
	s_delay_alu instid0(VALU_DEP_1) | instskip(SKIP_1) | instid1(VALU_DEP_2)
	v_and_b32_e32 v4, 7, v3
	v_bfe_u32 v7, v3, 3, 4
	v_clz_i32_u32_e32 v5, v4
	s_delay_alu instid0(VALU_DEP_2) | instskip(NEXT) | instid1(VALU_DEP_2)
	v_cmp_eq_u32_e32 vcc_lo, 0, v7
	v_min_u32_e32 v5, 32, v5
	s_delay_alu instid0(VALU_DEP_1) | instskip(NEXT) | instid1(VALU_DEP_1)
	v_subrev_nc_u32_e32 v6, 28, v5
	v_dual_lshlrev_b32 v3, v6, v3 :: v_dual_sub_nc_u32 v5, 29, v5
	s_delay_alu instid0(VALU_DEP_1) | instskip(NEXT) | instid1(VALU_DEP_1)
	v_dual_lshlrev_b32 v2, 24, v2 :: v_dual_bitop2_b32 v3, 7, v3 bitop3:0x40
	v_dual_cndmask_b32 v5, v7, v5, vcc_lo :: v_dual_cndmask_b32 v3, v4, v3, vcc_lo
	s_delay_alu instid0(VALU_DEP_2) | instskip(NEXT) | instid1(VALU_DEP_2)
	v_and_b32_e32 v2, 0x80000000, v2
	v_lshl_add_u32 v4, v5, 23, 0x3b800000
	s_delay_alu instid0(VALU_DEP_3) | instskip(NEXT) | instid1(VALU_DEP_1)
	v_lshlrev_b32_e32 v3, 20, v3
	v_or3_b32 v4, v2, v4, v3
.LBB18_858:
	s_or_b32 exec_lo, exec_lo, s24
.LBB18_859:
	s_mov_b32 s23, -1
.LBB18_860:
	s_mov_b32 s24, 0
.LBB18_861:
	s_delay_alu instid0(SALU_CYCLE_1)
	s_and_b32 vcc_lo, exec_lo, s24
	s_cbranch_vccz .LBB18_894
; %bb.862:
	s_cmp_gt_i32 s20, 22
	s_cbranch_scc0 .LBB18_872
; %bb.863:
	s_cmp_lt_i32 s20, 24
	s_cbranch_scc1 .LBB18_875
; %bb.864:
	s_cmp_gt_i32 s20, 24
	s_cbranch_scc0 .LBB18_876
; %bb.865:
	s_wait_loadcnt 0x0
	global_load_u8 v2, v[0:1], off
	s_mov_b32 s23, exec_lo
	s_wait_loadcnt 0x0
	v_cmpx_lt_i16_e32 0x7f, v2
	s_xor_b32 s23, exec_lo, s23
	s_cbranch_execz .LBB18_888
; %bb.866:
	s_mov_b32 s22, -1
	s_mov_b32 s24, exec_lo
	v_cmpx_eq_u16_e32 0x80, v2
; %bb.867:
	s_xor_b32 s22, exec_lo, -1
; %bb.868:
	s_or_b32 exec_lo, exec_lo, s24
	s_delay_alu instid0(SALU_CYCLE_1)
	s_and_b32 s22, s22, exec_lo
	s_or_saveexec_b32 s23, s23
	v_mov_b32_e32 v4, 0x7f800001
	s_xor_b32 exec_lo, exec_lo, s23
	s_cbranch_execnz .LBB18_889
.LBB18_869:
	s_or_b32 exec_lo, exec_lo, s23
	s_and_saveexec_b32 s23, s22
	s_cbranch_execz .LBB18_871
.LBB18_870:
	v_and_b32_e32 v3, 0xffff, v2
	s_delay_alu instid0(VALU_DEP_1) | instskip(SKIP_1) | instid1(VALU_DEP_2)
	v_and_b32_e32 v4, 3, v3
	v_bfe_u32 v7, v3, 2, 5
	v_clz_i32_u32_e32 v5, v4
	s_delay_alu instid0(VALU_DEP_2) | instskip(NEXT) | instid1(VALU_DEP_2)
	v_cmp_eq_u32_e32 vcc_lo, 0, v7
	v_min_u32_e32 v5, 32, v5
	s_delay_alu instid0(VALU_DEP_1) | instskip(NEXT) | instid1(VALU_DEP_1)
	v_subrev_nc_u32_e32 v6, 29, v5
	v_dual_lshlrev_b32 v3, v6, v3 :: v_dual_sub_nc_u32 v5, 30, v5
	s_delay_alu instid0(VALU_DEP_1) | instskip(NEXT) | instid1(VALU_DEP_1)
	v_dual_lshlrev_b32 v2, 24, v2 :: v_dual_bitop2_b32 v3, 3, v3 bitop3:0x40
	v_dual_cndmask_b32 v5, v7, v5, vcc_lo :: v_dual_cndmask_b32 v3, v4, v3, vcc_lo
	s_delay_alu instid0(VALU_DEP_2) | instskip(NEXT) | instid1(VALU_DEP_2)
	v_and_b32_e32 v2, 0x80000000, v2
	v_lshl_add_u32 v4, v5, 23, 0x37800000
	s_delay_alu instid0(VALU_DEP_3) | instskip(NEXT) | instid1(VALU_DEP_1)
	v_lshlrev_b32_e32 v3, 21, v3
	v_or3_b32 v4, v2, v4, v3
.LBB18_871:
	s_or_b32 exec_lo, exec_lo, s23
	s_mov_b32 s22, 0
	s_branch .LBB18_877
.LBB18_872:
	s_mov_b32 s22, -1
                                        ; implicit-def: $vgpr4
	s_branch .LBB18_883
.LBB18_873:
	s_or_saveexec_b32 s24, s24
	v_mov_b32_e32 v4, 0x7f800001
	s_xor_b32 exec_lo, exec_lo, s24
	s_cbranch_execz .LBB18_856
.LBB18_874:
	v_cmp_ne_u16_e32 vcc_lo, 0, v2
	v_mov_b32_e32 v4, 0
	s_and_not1_b32 s23, s23, exec_lo
	s_and_b32 s25, vcc_lo, exec_lo
	s_delay_alu instid0(SALU_CYCLE_1)
	s_or_b32 s23, s23, s25
	s_or_b32 exec_lo, exec_lo, s24
	s_and_saveexec_b32 s24, s23
	s_cbranch_execnz .LBB18_857
	s_branch .LBB18_858
.LBB18_875:
	s_mov_b32 s22, -1
                                        ; implicit-def: $vgpr4
	s_branch .LBB18_880
.LBB18_876:
	s_mov_b32 s22, -1
                                        ; implicit-def: $vgpr4
.LBB18_877:
	s_delay_alu instid0(SALU_CYCLE_1)
	s_and_b32 vcc_lo, exec_lo, s22
	s_cbranch_vccz .LBB18_879
; %bb.878:
	s_wait_loadcnt 0x0
	global_load_u8 v2, v[0:1], off
	s_wait_loadcnt 0x0
	v_lshlrev_b32_e32 v2, 24, v2
	s_delay_alu instid0(VALU_DEP_1) | instskip(NEXT) | instid1(VALU_DEP_1)
	v_and_b32_e32 v3, 0x7f000000, v2
	v_clz_i32_u32_e32 v4, v3
	v_cmp_ne_u32_e32 vcc_lo, 0, v3
	v_add_nc_u32_e32 v6, 0x1000000, v3
	s_delay_alu instid0(VALU_DEP_3) | instskip(NEXT) | instid1(VALU_DEP_1)
	v_min_u32_e32 v4, 32, v4
	v_sub_nc_u32_e64 v4, v4, 4 clamp
	s_delay_alu instid0(VALU_DEP_1) | instskip(NEXT) | instid1(VALU_DEP_1)
	v_dual_lshlrev_b32 v5, v4, v3 :: v_dual_lshlrev_b32 v4, 23, v4
	v_lshrrev_b32_e32 v5, 4, v5
	s_delay_alu instid0(VALU_DEP_1) | instskip(NEXT) | instid1(VALU_DEP_1)
	v_dual_sub_nc_u32 v4, v5, v4 :: v_dual_ashrrev_i32 v5, 8, v6
	v_add_nc_u32_e32 v4, 0x3c000000, v4
	s_delay_alu instid0(VALU_DEP_1) | instskip(NEXT) | instid1(VALU_DEP_1)
	v_and_or_b32 v4, 0x7f800000, v5, v4
	v_cndmask_b32_e32 v3, 0, v4, vcc_lo
	s_delay_alu instid0(VALU_DEP_1)
	v_and_or_b32 v4, 0x80000000, v2, v3
.LBB18_879:
	s_mov_b32 s22, 0
.LBB18_880:
	s_delay_alu instid0(SALU_CYCLE_1)
	s_and_not1_b32 vcc_lo, exec_lo, s22
	s_cbranch_vccnz .LBB18_882
; %bb.881:
	s_wait_loadcnt 0x0
	global_load_u8 v2, v[0:1], off
	s_wait_loadcnt 0x0
	v_lshlrev_b32_e32 v3, 25, v2
	v_lshlrev_b16 v2, 8, v2
	s_delay_alu instid0(VALU_DEP_1) | instskip(SKIP_1) | instid1(VALU_DEP_2)
	v_and_or_b32 v5, 0x7f00, v2, 0.5
	v_bfe_i32 v2, v2, 0, 16
	v_dual_add_f32 v5, -0.5, v5 :: v_dual_lshrrev_b32 v4, 4, v3
	v_cmp_gt_u32_e32 vcc_lo, 0x8000000, v3
	s_delay_alu instid0(VALU_DEP_2) | instskip(NEXT) | instid1(VALU_DEP_1)
	v_or_b32_e32 v4, 0x70000000, v4
	v_mul_f32_e32 v4, 0x7800000, v4
	s_delay_alu instid0(VALU_DEP_1) | instskip(NEXT) | instid1(VALU_DEP_1)
	v_cndmask_b32_e32 v3, v4, v5, vcc_lo
	v_and_or_b32 v4, 0x80000000, v2, v3
.LBB18_882:
	s_mov_b32 s22, 0
	s_mov_b32 s23, -1
.LBB18_883:
	s_and_not1_b32 vcc_lo, exec_lo, s22
	s_mov_b32 s22, 0
	s_cbranch_vccnz .LBB18_894
; %bb.884:
	s_cmp_gt_i32 s20, 14
	s_cbranch_scc0 .LBB18_887
; %bb.885:
	s_cmp_eq_u32 s20, 15
	s_cbranch_scc0 .LBB18_890
; %bb.886:
	s_wait_loadcnt 0x0
	global_load_u16 v2, v[0:1], off
	s_mov_b32 s21, 0
	s_mov_b32 s23, -1
	s_wait_loadcnt 0x0
	v_lshlrev_b32_e32 v4, 16, v2
	s_branch .LBB18_892
.LBB18_887:
	s_mov_b32 s22, -1
	s_branch .LBB18_891
.LBB18_888:
	s_or_saveexec_b32 s23, s23
	v_mov_b32_e32 v4, 0x7f800001
	s_xor_b32 exec_lo, exec_lo, s23
	s_cbranch_execz .LBB18_869
.LBB18_889:
	v_cmp_ne_u16_e32 vcc_lo, 0, v2
	v_mov_b32_e32 v4, 0
	s_and_not1_b32 s22, s22, exec_lo
	s_and_b32 s24, vcc_lo, exec_lo
	s_delay_alu instid0(SALU_CYCLE_1)
	s_or_b32 s22, s22, s24
	s_or_b32 exec_lo, exec_lo, s23
	s_and_saveexec_b32 s23, s22
	s_cbranch_execnz .LBB18_870
	s_branch .LBB18_871
.LBB18_890:
	s_mov_b32 s21, -1
.LBB18_891:
                                        ; implicit-def: $vgpr4
.LBB18_892:
	s_and_b32 vcc_lo, exec_lo, s22
	s_mov_b32 s22, 0
	s_cbranch_vccz .LBB18_894
; %bb.893:
	s_cmp_lg_u32 s20, 11
	s_mov_b32 s22, -1
	s_cselect_b32 s20, -1, 0
	s_and_not1_b32 s21, s21, exec_lo
	s_and_b32 s20, s20, exec_lo
	s_delay_alu instid0(SALU_CYCLE_1)
	s_or_b32 s21, s21, s20
.LBB18_894:
	s_mov_b32 s20, 0
.LBB18_895:
	s_and_not1_b32 s25, s0, exec_lo
	s_and_b32 s21, s21, exec_lo
	s_and_b32 s23, s23, exec_lo
	;; [unrolled: 1-line block ×4, first 2 shown]
	s_or_b32 s21, s25, s21
.LBB18_896:
	s_wait_xcnt 0x0
	s_or_b32 exec_lo, exec_lo, s12
	s_delay_alu instid0(SALU_CYCLE_1)
	s_and_not1_b32 s0, s0, exec_lo
	s_and_b32 s12, s21, exec_lo
	s_and_b32 s23, s23, exec_lo
	;; [unrolled: 1-line block ×4, first 2 shown]
	s_or_b32 s0, s0, s12
.LBB18_897:
	s_or_b32 exec_lo, exec_lo, s18
	s_delay_alu instid0(SALU_CYCLE_1)
	s_and_not1_b32 s12, s16, exec_lo
	s_and_b32 s16, s19, exec_lo
	s_and_b32 s0, s0, exec_lo
	s_or_b32 s16, s12, s16
	s_and_not1_b32 s12, s15, exec_lo
	s_and_b32 s20, s23, exec_lo
	s_and_b32 s19, s22, exec_lo
	;; [unrolled: 1-line block ×3, first 2 shown]
	s_or_b32 s15, s12, s0
.LBB18_898:
	s_or_b32 exec_lo, exec_lo, s17
	s_delay_alu instid0(SALU_CYCLE_1)
	s_and_not1_b32 s0, s11, exec_lo
	s_and_b32 s11, s16, exec_lo
	s_and_not1_b32 s12, s13, exec_lo
	s_and_b32 s13, s15, exec_lo
	s_or_b32 s11, s0, s11
	s_and_b32 s0, s20, exec_lo
	s_and_b32 s16, s19, exec_lo
	;; [unrolled: 1-line block ×3, first 2 shown]
	s_or_b32 s13, s12, s13
	s_or_b32 exec_lo, exec_lo, s14
	s_mov_b32 s12, 0
	s_and_saveexec_b32 s14, s13
	s_cbranch_execz .LBB18_274
.LBB18_899:
	s_mov_b32 s12, exec_lo
	s_and_not1_b32 s15, s15, exec_lo
	s_trap 2
	s_or_b32 exec_lo, exec_lo, s14
	s_and_saveexec_b32 s13, s15
	s_delay_alu instid0(SALU_CYCLE_1)
	s_xor_b32 s13, exec_lo, s13
	s_cbranch_execnz .LBB18_275
.LBB18_900:
	s_or_b32 exec_lo, exec_lo, s13
	s_and_saveexec_b32 s13, s16
	s_cbranch_execz .LBB18_946
.LBB18_901:
	s_sext_i32_i16 s14, s9
	s_delay_alu instid0(SALU_CYCLE_1)
	s_cmp_lt_i32 s14, 5
	s_cbranch_scc1 .LBB18_906
; %bb.902:
	s_cmp_lt_i32 s14, 8
	s_cbranch_scc1 .LBB18_907
; %bb.903:
	;; [unrolled: 3-line block ×3, first 2 shown]
	s_cmp_gt_i32 s14, 9
	s_cbranch_scc0 .LBB18_909
; %bb.905:
	s_wait_loadcnt 0x0
	global_load_b64 v[2:3], v[0:1], off
	s_mov_b32 s14, 0
	s_wait_loadcnt 0x0
	v_cvt_f32_f64_e32 v4, v[2:3]
	s_branch .LBB18_910
.LBB18_906:
                                        ; implicit-def: $vgpr4
	s_branch .LBB18_927
.LBB18_907:
                                        ; implicit-def: $vgpr4
	s_branch .LBB18_916
.LBB18_908:
	s_mov_b32 s14, -1
                                        ; implicit-def: $vgpr4
	s_branch .LBB18_913
.LBB18_909:
	s_mov_b32 s14, -1
                                        ; implicit-def: $vgpr4
.LBB18_910:
	s_delay_alu instid0(SALU_CYCLE_1)
	s_and_not1_b32 vcc_lo, exec_lo, s14
	s_cbranch_vccnz .LBB18_912
; %bb.911:
	global_load_b32 v4, v[0:1], off
.LBB18_912:
	s_mov_b32 s14, 0
.LBB18_913:
	s_delay_alu instid0(SALU_CYCLE_1)
	s_and_not1_b32 vcc_lo, exec_lo, s14
	s_cbranch_vccnz .LBB18_915
; %bb.914:
	s_wait_loadcnt 0x0
	global_load_b32 v2, v[0:1], off
	s_wait_loadcnt 0x0
	v_cvt_f32_f16_e32 v4, v2
.LBB18_915:
	s_cbranch_execnz .LBB18_926
.LBB18_916:
	s_sext_i32_i16 s14, s9
	s_delay_alu instid0(SALU_CYCLE_1)
	s_cmp_lt_i32 s14, 6
	s_cbranch_scc1 .LBB18_919
; %bb.917:
	s_cmp_gt_i32 s14, 6
	s_cbranch_scc0 .LBB18_920
; %bb.918:
	s_wait_loadcnt 0x0
	global_load_b64 v[2:3], v[0:1], off
	s_mov_b32 s14, 0
	s_wait_loadcnt 0x0
	v_cvt_f32_f64_e32 v4, v[2:3]
	s_branch .LBB18_921
.LBB18_919:
	s_mov_b32 s14, -1
                                        ; implicit-def: $vgpr4
	s_branch .LBB18_924
.LBB18_920:
	s_mov_b32 s14, -1
                                        ; implicit-def: $vgpr4
.LBB18_921:
	s_delay_alu instid0(SALU_CYCLE_1)
	s_and_not1_b32 vcc_lo, exec_lo, s14
	s_cbranch_vccnz .LBB18_923
; %bb.922:
	s_wait_loadcnt 0x0
	global_load_b32 v4, v[0:1], off
.LBB18_923:
	s_mov_b32 s14, 0
.LBB18_924:
	s_delay_alu instid0(SALU_CYCLE_1)
	s_and_not1_b32 vcc_lo, exec_lo, s14
	s_cbranch_vccnz .LBB18_926
; %bb.925:
	s_wait_loadcnt 0x0
	global_load_u16 v2, v[0:1], off
	s_wait_loadcnt 0x0
	v_cvt_f32_f16_e32 v4, v2
.LBB18_926:
	s_cbranch_execnz .LBB18_945
.LBB18_927:
	s_sext_i32_i16 s14, s9
	s_delay_alu instid0(SALU_CYCLE_1)
	s_cmp_lt_i32 s14, 2
	s_cbranch_scc1 .LBB18_931
; %bb.928:
	s_cmp_lt_i32 s14, 3
	s_cbranch_scc1 .LBB18_932
; %bb.929:
	s_cmp_gt_i32 s14, 3
	s_cbranch_scc0 .LBB18_933
; %bb.930:
	s_wait_loadcnt 0x0
	global_load_b64 v[2:3], v[0:1], off
	s_mov_b32 s14, 0
	s_wait_loadcnt 0x0
	v_xor_b32_e32 v4, v2, v3
	v_cls_i32_e32 v5, v3
	s_delay_alu instid0(VALU_DEP_2) | instskip(NEXT) | instid1(VALU_DEP_1)
	v_ashrrev_i32_e32 v4, 31, v4
	v_add_nc_u32_e32 v4, 32, v4
	s_delay_alu instid0(VALU_DEP_1) | instskip(NEXT) | instid1(VALU_DEP_1)
	v_add_min_u32_e64 v4, v5, -1, v4
	v_lshlrev_b64_e32 v[2:3], v4, v[2:3]
	s_delay_alu instid0(VALU_DEP_1) | instskip(NEXT) | instid1(VALU_DEP_1)
	v_min_u32_e32 v2, 1, v2
	v_dual_sub_nc_u32 v3, 32, v4 :: v_dual_bitop2_b32 v2, v3, v2 bitop3:0x54
	s_delay_alu instid0(VALU_DEP_1) | instskip(NEXT) | instid1(VALU_DEP_1)
	v_cvt_f32_i32_e32 v2, v2
	v_ldexp_f32 v4, v2, v3
	s_branch .LBB18_934
.LBB18_931:
                                        ; implicit-def: $vgpr4
	s_branch .LBB18_940
.LBB18_932:
	s_mov_b32 s14, -1
                                        ; implicit-def: $vgpr4
	s_branch .LBB18_937
.LBB18_933:
	s_mov_b32 s14, -1
                                        ; implicit-def: $vgpr4
.LBB18_934:
	s_delay_alu instid0(SALU_CYCLE_1)
	s_and_not1_b32 vcc_lo, exec_lo, s14
	s_cbranch_vccnz .LBB18_936
; %bb.935:
	s_wait_loadcnt 0x0
	global_load_b32 v2, v[0:1], off
	s_wait_loadcnt 0x0
	v_cvt_f32_i32_e32 v4, v2
.LBB18_936:
	s_mov_b32 s14, 0
.LBB18_937:
	s_delay_alu instid0(SALU_CYCLE_1)
	s_and_not1_b32 vcc_lo, exec_lo, s14
	s_cbranch_vccnz .LBB18_939
; %bb.938:
	s_wait_loadcnt 0x0
	global_load_i16 v2, v[0:1], off
	s_wait_loadcnt 0x0
	v_cvt_f32_i32_e32 v4, v2
.LBB18_939:
	s_cbranch_execnz .LBB18_945
.LBB18_940:
	s_sext_i32_i16 s14, s9
	s_delay_alu instid0(SALU_CYCLE_1)
	s_cmp_gt_i32 s14, 0
	s_mov_b32 s14, 0
	s_cbranch_scc0 .LBB18_942
; %bb.941:
	s_wait_loadcnt 0x0
	global_load_i8 v2, v[0:1], off
	s_wait_loadcnt 0x0
	v_cvt_f32_i32_e32 v4, v2
	s_branch .LBB18_943
.LBB18_942:
	s_mov_b32 s14, -1
                                        ; implicit-def: $vgpr4
.LBB18_943:
	s_delay_alu instid0(SALU_CYCLE_1)
	s_and_not1_b32 vcc_lo, exec_lo, s14
	s_cbranch_vccnz .LBB18_945
; %bb.944:
	global_load_u8 v0, v[0:1], off
	s_wait_loadcnt 0x0
	v_cvt_f32_ubyte0_e32 v4, v0
.LBB18_945:
	s_or_b32 s0, s0, exec_lo
.LBB18_946:
	s_wait_xcnt 0x0
	s_or_b32 exec_lo, exec_lo, s13
	s_mov_b32 s16, 0
	s_mov_b32 s15, 0
                                        ; implicit-def: $sgpr14
                                        ; implicit-def: $vgpr2_vgpr3
                                        ; implicit-def: $vgpr0
	s_and_saveexec_b32 s13, s0
	s_cbranch_execz .LBB18_966
; %bb.947:
	s_wait_loadcnt 0x0
	s_delay_alu instid0(VALU_DEP_1)
	v_mul_f32_e64 v1, 0x3fb8aa3b, |v4|
	s_mov_b32 s14, exec_lo
                                        ; implicit-def: $vgpr0
	v_cmpx_ge_f32_e64 0x41000000, |v4|
	s_xor_b32 s14, exec_lo, s14
	s_cbranch_execz .LBB18_953
; %bb.948:
	v_fma_f32 v0, |v4|, 0.5, -2.0
	s_mov_b32 s0, 0x224cf950
	v_rndne_f32_e32 v5, v1
	v_fma_f32 v6, 0x3fb8aa3b, |v4|, -v1
	v_cmp_ngt_f32_e64 vcc_lo, 0xc2ce8ed0, |v4|
	v_fmaak_f32 v2, s0, v0, 0xa3c2be86
	v_cmp_nlt_f32_e64 s0, 0x42b17218, |v4|
	v_sub_f32_e32 v1, v1, v5
	v_fma_f32 v6, 0x32a5705f, |v4|, v6
	s_delay_alu instid0(VALU_DEP_4) | instskip(NEXT) | instid1(VALU_DEP_2)
	v_fmaak_f32 v3, v0, v2, 0xa24cf950
	v_add_f32_e32 v1, v1, v6
	s_delay_alu instid0(VALU_DEP_2) | instskip(NEXT) | instid1(VALU_DEP_2)
	v_add_f32_e32 v3, 0x25331f1f, v3
	v_exp_f32_e32 v1, v1
	s_delay_alu instid0(VALU_DEP_1) | instskip(NEXT) | instid1(VALU_DEP_1)
	v_fma_f32 v2, v0, v3, -v2
	v_add_f32_e32 v2, 0xa69f5554, v2
	s_delay_alu instid0(VALU_DEP_1) | instskip(NEXT) | instid1(VALU_DEP_1)
	v_fma_f32 v3, v0, v2, -v3
	v_add_f32_e32 v3, 0x2808ebf8, v3
	;; [unrolled: 3-line block ×25, first 2 shown]
	s_delay_alu instid0(VALU_DEP_1) | instskip(SKIP_1) | instid1(VALU_DEP_2)
	v_fma_f32 v0, v0, v2, -v3
	v_cvt_i32_f32_e32 v2, v5
	v_add_f32_e32 v0, 0x3e81531c, v0
	s_delay_alu instid0(VALU_DEP_2) | instskip(NEXT) | instid1(VALU_DEP_1)
	v_ldexp_f32 v1, v1, v2
	v_dual_sub_f32 v0, v0, v3 :: v_dual_cndmask_b32 v2, 0, v1, vcc_lo
	s_delay_alu instid0(VALU_DEP_1) | instskip(NEXT) | instid1(VALU_DEP_2)
	v_mul_f32_e32 v0, 0.5, v0
	v_cndmask_b32_e64 v2, 0x7f800000, v2, s0
	s_mov_b32 s0, exec_lo
	s_delay_alu instid0(VALU_DEP_2)
	v_mul_f32_e64 v1, |v4|, v0
                                        ; implicit-def: $vgpr0
	v_cmpx_ngt_f32_e32 0, v4
	s_xor_b32 s0, exec_lo, s0
; %bb.949:
	s_delay_alu instid0(VALU_DEP_2)
	v_mul_f32_e32 v0, v2, v1
                                        ; implicit-def: $vgpr2
                                        ; implicit-def: $vgpr1
; %bb.950:
	s_and_not1_saveexec_b32 s0, s0
; %bb.951:
	v_mul_f32_e64 v0, v1, -v2
; %bb.952:
	s_or_b32 exec_lo, exec_lo, s0
                                        ; implicit-def: $vgpr4
                                        ; implicit-def: $vgpr1
.LBB18_953:
	s_and_not1_saveexec_b32 s14, s14
	s_cbranch_execz .LBB18_959
; %bb.954:
	v_and_b32_e32 v0, 0x7fffffff, v4
	s_mov_b32 s0, 0x230aab6e
	s_delay_alu instid0(VALU_DEP_1) | instskip(SKIP_1) | instid1(VALU_DEP_2)
	v_div_scale_f32 v2, null, v0, v0, 0x42000000
	v_div_scale_f32 v0, vcc_lo, 0x42000000, v0, 0x42000000
	v_rcp_f32_e32 v3, v2
	v_nop
	s_delay_alu instid0(TRANS32_DEP_1) | instskip(NEXT) | instid1(VALU_DEP_1)
	v_fma_f32 v5, -v2, v3, 1.0
	v_fmac_f32_e32 v3, v5, v3
	s_delay_alu instid0(VALU_DEP_1) | instskip(NEXT) | instid1(VALU_DEP_1)
	v_mul_f32_e32 v5, v0, v3
	v_fma_f32 v6, -v2, v5, v0
	s_delay_alu instid0(VALU_DEP_1) | instskip(SKIP_1) | instid1(VALU_DEP_2)
	v_fmac_f32_e32 v5, v6, v3
	v_fma_f32 v6, 0x3fb8aa3b, |v4|, -v1
	v_fma_f32 v0, -v2, v5, v0
	s_delay_alu instid0(VALU_DEP_2) | instskip(NEXT) | instid1(VALU_DEP_2)
	v_fma_f32 v6, 0x32a5705f, |v4|, v6
	v_div_fmas_f32 v0, v0, v3, v5
	v_rndne_f32_e32 v5, v1
	v_cmp_ngt_f32_e64 vcc_lo, 0xc2ce8ed0, |v4|
	s_delay_alu instid0(VALU_DEP_3) | instskip(NEXT) | instid1(VALU_DEP_3)
	v_div_fixup_f32 v0, v0, |v4|, 0x42000000
	v_sub_f32_e32 v1, v1, v5
	v_cvt_i32_f32_e32 v5, v5
	s_delay_alu instid0(VALU_DEP_2) | instskip(NEXT) | instid1(VALU_DEP_1)
	v_dual_add_f32 v0, -2.0, v0 :: v_dual_add_f32 v1, v1, v6
	v_fmaak_f32 v2, s0, v0, 0x22a2dc57
	v_cmp_nlt_f32_e64 s0, 0x42b17218, |v4|
	s_delay_alu instid0(VALU_DEP_3) | instskip(NEXT) | instid1(VALU_DEP_2)
	v_exp_f32_e32 v1, v1
	v_fmaak_f32 v3, v0, v2, 0xa30aab6e
	s_delay_alu instid0(TRANS32_DEP_1) | instskip(NEXT) | instid1(VALU_DEP_2)
	v_ldexp_f32 v1, v1, v5
	v_add_f32_e32 v3, 0xa456751e, v3
	s_delay_alu instid0(VALU_DEP_1) | instskip(NEXT) | instid1(VALU_DEP_1)
	v_dual_cndmask_b32 v1, 0, v1, vcc_lo :: v_dual_fma_f32 v2, v0, v3, -v2
	v_cndmask_b32_e64 v1, 0x7f800000, v1, s0
	s_delay_alu instid0(VALU_DEP_2) | instskip(SKIP_1) | instid1(VALU_DEP_1)
	v_add_f32_e32 v2, 0xa4140365, v2
	s_mov_b32 s0, exec_lo
	v_fma_f32 v3, v0, v2, -v3
	s_delay_alu instid0(VALU_DEP_1) | instskip(NEXT) | instid1(VALU_DEP_1)
	v_add_f32_e32 v3, 0x25aac8b0, v3
	v_fma_f32 v2, v0, v3, -v2
	s_delay_alu instid0(VALU_DEP_1) | instskip(NEXT) | instid1(VALU_DEP_1)
	v_add_f32_e32 v2, 0x25beb473, v2
	;; [unrolled: 3-line block ×21, first 2 shown]
	v_sub_f32_e32 v2, v0, v3
	v_mul_f32_e64 v3, 0x4f800000, |v4|
                                        ; implicit-def: $vgpr0
	v_cmpx_ngt_f32_e32 0, v4
	s_xor_b32 s15, exec_lo, s0
	s_cbranch_execz .LBB18_956
; %bb.955:
	v_cmp_gt_f32_e64 vcc_lo, 0xf800000, |v4|
	v_mul_f32_e32 v2, 0.5, v2
	s_delay_alu instid0(VALU_DEP_2) | instskip(NEXT) | instid1(VALU_DEP_2)
	v_cndmask_b32_e64 v0, |v4|, v3, vcc_lo
	v_mul_f32_e32 v1, v1, v2
	s_delay_alu instid0(VALU_DEP_2) | instskip(SKIP_1) | instid1(TRANS32_DEP_1)
	v_sqrt_f32_e32 v3, v0
	v_nop
	v_dual_add_nc_u32 v4, -1, v3 :: v_dual_add_nc_u32 v5, 1, v3
	s_delay_alu instid0(VALU_DEP_1) | instskip(NEXT) | instid1(VALU_DEP_1)
	v_dual_fma_f32 v6, -v4, v3, v0 :: v_dual_fma_f32 v7, -v5, v3, v0
	v_cmp_ge_f32_e64 s0, 0, v6
	s_delay_alu instid0(VALU_DEP_1) | instskip(NEXT) | instid1(VALU_DEP_3)
	v_cndmask_b32_e64 v3, v3, v4, s0
	v_cmp_lt_f32_e64 s0, 0, v7
	s_delay_alu instid0(VALU_DEP_1) | instskip(NEXT) | instid1(VALU_DEP_1)
	v_cndmask_b32_e64 v3, v3, v5, s0
	v_mul_f32_e32 v4, 0x37800000, v3
	s_delay_alu instid0(VALU_DEP_1) | instskip(SKIP_1) | instid1(VALU_DEP_2)
	v_cndmask_b32_e32 v3, v3, v4, vcc_lo
	v_cmp_class_f32_e64 vcc_lo, v0, 0x260
	v_cndmask_b32_e32 v0, v3, v0, vcc_lo
	s_delay_alu instid0(VALU_DEP_1) | instskip(NEXT) | instid1(VALU_DEP_1)
	v_div_scale_f32 v2, null, v0, v0, v1
	v_rcp_f32_e32 v3, v2
	v_nop
	s_delay_alu instid0(TRANS32_DEP_1) | instskip(NEXT) | instid1(VALU_DEP_1)
	v_fma_f32 v4, -v2, v3, 1.0
	v_fmac_f32_e32 v3, v4, v3
	v_div_scale_f32 v4, vcc_lo, v1, v0, v1
	s_delay_alu instid0(VALU_DEP_1) | instskip(NEXT) | instid1(VALU_DEP_1)
	v_mul_f32_e32 v5, v4, v3
	v_fma_f32 v6, -v2, v5, v4
	s_delay_alu instid0(VALU_DEP_1) | instskip(NEXT) | instid1(VALU_DEP_1)
	v_fmac_f32_e32 v5, v6, v3
	v_fma_f32 v2, -v2, v5, v4
                                        ; implicit-def: $vgpr4
	s_delay_alu instid0(VALU_DEP_1) | instskip(NEXT) | instid1(VALU_DEP_1)
	v_div_fmas_f32 v2, v2, v3, v5
                                        ; implicit-def: $vgpr3
	v_div_fixup_f32 v0, v2, v0, v1
                                        ; implicit-def: $vgpr2
                                        ; implicit-def: $vgpr1
.LBB18_956:
	s_and_not1_saveexec_b32 s15, s15
	s_cbranch_execz .LBB18_958
; %bb.957:
	v_cmp_gt_f32_e64 vcc_lo, 0xf800000, |v4|
	v_mul_f32_e32 v2, -0.5, v2
	s_delay_alu instid0(VALU_DEP_2) | instskip(NEXT) | instid1(VALU_DEP_2)
	v_cndmask_b32_e64 v0, |v4|, v3, vcc_lo
	v_mul_f32_e32 v1, v1, v2
	s_delay_alu instid0(VALU_DEP_2) | instskip(SKIP_1) | instid1(TRANS32_DEP_1)
	v_sqrt_f32_e32 v3, v0
	v_nop
	v_dual_add_nc_u32 v4, -1, v3 :: v_dual_add_nc_u32 v5, 1, v3
	s_delay_alu instid0(VALU_DEP_1) | instskip(NEXT) | instid1(VALU_DEP_1)
	v_dual_fma_f32 v6, -v4, v3, v0 :: v_dual_fma_f32 v7, -v5, v3, v0
	v_cmp_ge_f32_e64 s0, 0, v6
	s_delay_alu instid0(VALU_DEP_1) | instskip(NEXT) | instid1(VALU_DEP_3)
	v_cndmask_b32_e64 v3, v3, v4, s0
	v_cmp_lt_f32_e64 s0, 0, v7
	s_delay_alu instid0(VALU_DEP_1) | instskip(NEXT) | instid1(VALU_DEP_1)
	v_cndmask_b32_e64 v3, v3, v5, s0
	v_mul_f32_e32 v4, 0x37800000, v3
	s_delay_alu instid0(VALU_DEP_1) | instskip(SKIP_1) | instid1(VALU_DEP_2)
	v_cndmask_b32_e32 v3, v3, v4, vcc_lo
	v_cmp_class_f32_e64 vcc_lo, v0, 0x260
	v_cndmask_b32_e32 v0, v3, v0, vcc_lo
	s_delay_alu instid0(VALU_DEP_1) | instskip(NEXT) | instid1(VALU_DEP_1)
	v_div_scale_f32 v2, null, v0, v0, v1
	v_rcp_f32_e32 v3, v2
	v_nop
	s_delay_alu instid0(TRANS32_DEP_1) | instskip(NEXT) | instid1(VALU_DEP_1)
	v_fma_f32 v4, -v2, v3, 1.0
	v_fmac_f32_e32 v3, v4, v3
	v_div_scale_f32 v4, vcc_lo, v1, v0, v1
	s_delay_alu instid0(VALU_DEP_1) | instskip(NEXT) | instid1(VALU_DEP_1)
	v_mul_f32_e32 v5, v4, v3
	v_fma_f32 v6, -v2, v5, v4
	s_delay_alu instid0(VALU_DEP_1) | instskip(NEXT) | instid1(VALU_DEP_1)
	v_fmac_f32_e32 v5, v6, v3
	v_fma_f32 v2, -v2, v5, v4
	s_delay_alu instid0(VALU_DEP_1) | instskip(NEXT) | instid1(VALU_DEP_1)
	v_div_fmas_f32 v2, v2, v3, v5
	v_div_fixup_f32 v0, v2, v0, v1
.LBB18_958:
	s_or_b32 exec_lo, exec_lo, s15
.LBB18_959:
	s_delay_alu instid0(SALU_CYCLE_1) | instskip(SKIP_2) | instid1(SALU_CYCLE_1)
	s_or_b32 exec_lo, exec_lo, s14
	v_mul_lo_u32 v2, v8, s2
	s_and_b32 s14, s8, 0xff
	s_cmp_lt_i32 s14, 11
	s_delay_alu instid0(VALU_DEP_1) | instskip(NEXT) | instid1(VALU_DEP_1)
	v_ashrrev_i32_e32 v3, 31, v2
	v_add_nc_u64_e32 v[2:3], s[4:5], v[2:3]
	s_cbranch_scc1 .LBB18_969
; %bb.960:
	s_and_b32 s15, 0xffff, s14
	s_mov_b32 s16, -1
	s_cmp_gt_i32 s15, 25
	s_mov_b32 s0, s11
	s_cbranch_scc0 .LBB18_997
; %bb.961:
	s_cmp_gt_i32 s15, 28
	s_mov_b32 s0, s11
	s_cbranch_scc0 .LBB18_981
; %bb.962:
	;; [unrolled: 4-line block ×4, first 2 shown]
	s_cmp_eq_u32 s15, 46
	s_mov_b32 s0, -1
	s_cbranch_scc0 .LBB18_970
; %bb.965:
	v_bfe_u32 v1, v0, 16, 1
	v_cmp_o_f32_e32 vcc_lo, v0, v0
	s_mov_b32 s0, 0
	s_mov_b32 s16, 0
	s_delay_alu instid0(VALU_DEP_2) | instskip(NEXT) | instid1(VALU_DEP_1)
	v_add3_u32 v1, v0, v1, 0x7fff
	v_lshrrev_b32_e32 v1, 16, v1
	s_delay_alu instid0(VALU_DEP_1)
	v_cndmask_b32_e32 v1, 0x7fc0, v1, vcc_lo
	global_store_b32 v[2:3], v1, off
	s_branch .LBB18_971
.LBB18_966:
	s_or_b32 exec_lo, exec_lo, s13
	s_and_saveexec_b32 s0, s11
	s_cbranch_execnz .LBB18_1039
.LBB18_967:
	s_or_b32 exec_lo, exec_lo, s0
	s_and_saveexec_b32 s0, s16
	s_delay_alu instid0(SALU_CYCLE_1)
	s_xor_b32 s0, exec_lo, s0
	s_cbranch_execz .LBB18_1040
.LBB18_968:
	v_cmp_neq_f32_e32 vcc_lo, 0, v0
	v_cndmask_b32_e64 v1, 0, 1, vcc_lo
	s_wait_loadcnt 0x0
	global_store_b8 v[2:3], v1, off
	s_wait_xcnt 0x0
	s_or_b32 exec_lo, exec_lo, s0
	s_and_saveexec_b32 s0, s15
	s_delay_alu instid0(SALU_CYCLE_1)
	s_xor_b32 s0, exec_lo, s0
	s_cbranch_execz .LBB18_1078
	s_branch .LBB18_1041
.LBB18_969:
	s_mov_b32 s17, 0
	s_mov_b32 s16, -1
	s_mov_b32 s0, s11
	s_branch .LBB18_1038
.LBB18_970:
	s_mov_b32 s16, 0
.LBB18_971:
	s_delay_alu instid0(SALU_CYCLE_1)
	s_and_b32 vcc_lo, exec_lo, s16
	s_cbranch_vccz .LBB18_976
; %bb.972:
	s_cmp_eq_u32 s15, 44
	s_mov_b32 s0, -1
	s_cbranch_scc0 .LBB18_976
; %bb.973:
	v_bfe_u32 v4, v0, 23, 8
	s_wait_xcnt 0x0
	v_mov_b32_e32 v1, 0xff
	s_mov_b32 s16, exec_lo
	s_delay_alu instid0(VALU_DEP_2)
	v_cmpx_ne_u32_e32 0xff, v4
	s_cbranch_execz .LBB18_975
; %bb.974:
	v_and_b32_e32 v1, 0x400000, v0
	v_and_or_b32 v4, 0x3fffff, v0, v4
	s_delay_alu instid0(VALU_DEP_2) | instskip(NEXT) | instid1(VALU_DEP_2)
	v_cmp_ne_u32_e32 vcc_lo, 0, v1
	v_cmp_ne_u32_e64 s0, 0, v4
	v_lshrrev_b32_e32 v1, 23, v0
	s_and_b32 s0, vcc_lo, s0
	s_delay_alu instid0(SALU_CYCLE_1) | instskip(NEXT) | instid1(VALU_DEP_1)
	v_cndmask_b32_e64 v4, 0, 1, s0
	v_add_nc_u32_e32 v1, v1, v4
.LBB18_975:
	s_or_b32 exec_lo, exec_lo, s16
	s_mov_b32 s0, 0
	global_store_b8 v[2:3], v1, off
.LBB18_976:
	s_mov_b32 s16, 0
.LBB18_977:
	s_delay_alu instid0(SALU_CYCLE_1)
	s_and_b32 vcc_lo, exec_lo, s16
	s_cbranch_vccz .LBB18_980
; %bb.978:
	s_cmp_eq_u32 s15, 29
	s_mov_b32 s0, -1
	s_cbranch_scc0 .LBB18_980
; %bb.979:
	s_wait_xcnt 0x0
	v_trunc_f32_e32 v1, v0
	s_mov_b32 s0, 0
	s_mov_b32 s16, 0
	s_delay_alu instid0(VALU_DEP_1) | instskip(NEXT) | instid1(VALU_DEP_1)
	v_mul_f32_e32 v4, 0x2f800000, v1
	v_floor_f32_e32 v4, v4
	s_delay_alu instid0(VALU_DEP_1) | instskip(SKIP_1) | instid1(VALU_DEP_2)
	v_fmamk_f32 v1, v4, 0xcf800000, v1
	v_cvt_u32_f32_e32 v5, v4
	v_cvt_u32_f32_e32 v4, v1
	global_store_b64 v[2:3], v[4:5], off
	s_branch .LBB18_981
.LBB18_980:
	s_mov_b32 s16, 0
.LBB18_981:
	s_delay_alu instid0(SALU_CYCLE_1)
	s_and_b32 vcc_lo, exec_lo, s16
	s_cbranch_vccz .LBB18_996
; %bb.982:
	s_cmp_lt_i32 s15, 27
	s_mov_b32 s16, -1
	s_cbranch_scc1 .LBB18_988
; %bb.983:
	s_wait_xcnt 0x0
	v_cvt_u32_f32_e32 v1, v0
	s_cmp_gt_i32 s15, 27
	s_cbranch_scc0 .LBB18_985
; %bb.984:
	s_mov_b32 s16, 0
	global_store_b32 v[2:3], v1, off
.LBB18_985:
	s_and_not1_b32 vcc_lo, exec_lo, s16
	s_cbranch_vccnz .LBB18_987
; %bb.986:
	global_store_b16 v[2:3], v1, off
.LBB18_987:
	s_mov_b32 s16, 0
.LBB18_988:
	s_delay_alu instid0(SALU_CYCLE_1)
	s_and_not1_b32 vcc_lo, exec_lo, s16
	s_cbranch_vccnz .LBB18_996
; %bb.989:
	s_wait_xcnt 0x0
	v_and_b32_e32 v1, 0x7fffffff, v0
	v_mov_b32_e32 v4, 0x80
	s_mov_b32 s16, exec_lo
	s_delay_alu instid0(VALU_DEP_2)
	v_cmpx_gt_u32_e32 0x43800000, v1
	s_cbranch_execz .LBB18_995
; %bb.990:
	v_cmp_lt_u32_e32 vcc_lo, 0x3bffffff, v1
	s_mov_b32 s17, 0
                                        ; implicit-def: $vgpr1
	s_and_saveexec_b32 s18, vcc_lo
	s_delay_alu instid0(SALU_CYCLE_1)
	s_xor_b32 s18, exec_lo, s18
	s_cbranch_execz .LBB18_1093
; %bb.991:
	v_bfe_u32 v1, v0, 20, 1
	s_mov_b32 s17, exec_lo
	s_delay_alu instid0(VALU_DEP_1) | instskip(NEXT) | instid1(VALU_DEP_1)
	v_add3_u32 v1, v0, v1, 0x487ffff
	v_lshrrev_b32_e32 v1, 20, v1
	s_and_not1_saveexec_b32 s18, s18
	s_cbranch_execnz .LBB18_1094
.LBB18_992:
	s_or_b32 exec_lo, exec_lo, s18
	v_mov_b32_e32 v4, 0
	s_and_saveexec_b32 s18, s17
.LBB18_993:
	v_lshrrev_b32_e32 v4, 24, v0
	s_delay_alu instid0(VALU_DEP_1)
	v_and_or_b32 v4, 0x80, v4, v1
.LBB18_994:
	s_or_b32 exec_lo, exec_lo, s18
.LBB18_995:
	s_delay_alu instid0(SALU_CYCLE_1)
	s_or_b32 exec_lo, exec_lo, s16
	global_store_b8 v[2:3], v4, off
.LBB18_996:
	s_mov_b32 s16, 0
.LBB18_997:
	s_delay_alu instid0(SALU_CYCLE_1)
	s_and_b32 vcc_lo, exec_lo, s16
	s_mov_b32 s16, 0
	s_cbranch_vccz .LBB18_1037
; %bb.998:
	s_cmp_gt_i32 s15, 22
	s_mov_b32 s17, -1
	s_cbranch_scc0 .LBB18_1030
; %bb.999:
	s_cmp_lt_i32 s15, 24
	s_cbranch_scc1 .LBB18_1019
; %bb.1000:
	s_cmp_gt_i32 s15, 24
	s_cbranch_scc0 .LBB18_1008
; %bb.1001:
	s_wait_xcnt 0x0
	v_and_b32_e32 v1, 0x7fffffff, v0
	v_mov_b32_e32 v4, 0x80
	s_mov_b32 s17, exec_lo
	s_delay_alu instid0(VALU_DEP_2)
	v_cmpx_gt_u32_e32 0x47800000, v1
	s_cbranch_execz .LBB18_1007
; %bb.1002:
	v_cmp_lt_u32_e32 vcc_lo, 0x37ffffff, v1
	s_mov_b32 s18, 0
                                        ; implicit-def: $vgpr1
	s_and_saveexec_b32 s19, vcc_lo
	s_delay_alu instid0(SALU_CYCLE_1)
	s_xor_b32 s19, exec_lo, s19
	s_cbranch_execz .LBB18_1231
; %bb.1003:
	v_bfe_u32 v1, v0, 21, 1
	s_mov_b32 s18, exec_lo
	s_delay_alu instid0(VALU_DEP_1) | instskip(NEXT) | instid1(VALU_DEP_1)
	v_add3_u32 v1, v0, v1, 0x88fffff
	v_lshrrev_b32_e32 v1, 21, v1
	s_and_not1_saveexec_b32 s19, s19
	s_cbranch_execnz .LBB18_1232
.LBB18_1004:
	s_or_b32 exec_lo, exec_lo, s19
	v_mov_b32_e32 v4, 0
	s_and_saveexec_b32 s19, s18
.LBB18_1005:
	v_lshrrev_b32_e32 v4, 24, v0
	s_delay_alu instid0(VALU_DEP_1)
	v_and_or_b32 v4, 0x80, v4, v1
.LBB18_1006:
	s_or_b32 exec_lo, exec_lo, s19
.LBB18_1007:
	s_delay_alu instid0(SALU_CYCLE_1)
	s_or_b32 exec_lo, exec_lo, s17
	s_mov_b32 s17, 0
	global_store_b8 v[2:3], v4, off
.LBB18_1008:
	s_and_b32 vcc_lo, exec_lo, s17
	s_cbranch_vccz .LBB18_1018
; %bb.1009:
	s_wait_xcnt 0x0
	v_and_b32_e32 v4, 0x7fffffff, v0
	s_mov_b32 s17, exec_lo
                                        ; implicit-def: $vgpr1
	s_delay_alu instid0(VALU_DEP_1)
	v_cmpx_gt_u32_e32 0x43f00000, v4
	s_xor_b32 s17, exec_lo, s17
	s_cbranch_execz .LBB18_1015
; %bb.1010:
	s_mov_b32 s18, exec_lo
                                        ; implicit-def: $vgpr1
	v_cmpx_lt_u32_e32 0x3c7fffff, v4
	s_xor_b32 s18, exec_lo, s18
; %bb.1011:
	v_bfe_u32 v1, v0, 20, 1
	s_delay_alu instid0(VALU_DEP_1) | instskip(NEXT) | instid1(VALU_DEP_1)
	v_add3_u32 v1, v0, v1, 0x407ffff
	v_and_b32_e32 v4, 0xff00000, v1
	v_lshrrev_b32_e32 v1, 20, v1
	s_delay_alu instid0(VALU_DEP_2) | instskip(NEXT) | instid1(VALU_DEP_2)
	v_cmp_ne_u32_e32 vcc_lo, 0x7f00000, v4
	v_cndmask_b32_e32 v1, 0x7e, v1, vcc_lo
; %bb.1012:
	s_and_not1_saveexec_b32 s18, s18
; %bb.1013:
	v_add_f32_e64 v1, 0x46800000, |v0|
; %bb.1014:
	s_or_b32 exec_lo, exec_lo, s18
                                        ; implicit-def: $vgpr4
.LBB18_1015:
	s_and_not1_saveexec_b32 s17, s17
; %bb.1016:
	v_mov_b32_e32 v1, 0x7f
	v_cmp_lt_u32_e32 vcc_lo, 0x7f800000, v4
	s_delay_alu instid0(VALU_DEP_2)
	v_cndmask_b32_e32 v1, 0x7e, v1, vcc_lo
; %bb.1017:
	s_or_b32 exec_lo, exec_lo, s17
	v_lshrrev_b32_e32 v4, 24, v0
	s_delay_alu instid0(VALU_DEP_1)
	v_and_or_b32 v1, 0x80, v4, v1
	global_store_b8 v[2:3], v1, off
.LBB18_1018:
	s_mov_b32 s17, 0
.LBB18_1019:
	s_delay_alu instid0(SALU_CYCLE_1)
	s_and_not1_b32 vcc_lo, exec_lo, s17
	s_cbranch_vccnz .LBB18_1029
; %bb.1020:
	s_wait_xcnt 0x0
	v_and_b32_e32 v4, 0x7fffffff, v0
	s_mov_b32 s17, exec_lo
                                        ; implicit-def: $vgpr1
	s_delay_alu instid0(VALU_DEP_1)
	v_cmpx_gt_u32_e32 0x47800000, v4
	s_xor_b32 s17, exec_lo, s17
	s_cbranch_execz .LBB18_1026
; %bb.1021:
	s_mov_b32 s18, exec_lo
                                        ; implicit-def: $vgpr1
	v_cmpx_lt_u32_e32 0x387fffff, v4
	s_xor_b32 s18, exec_lo, s18
; %bb.1022:
	v_bfe_u32 v1, v0, 21, 1
	s_delay_alu instid0(VALU_DEP_1) | instskip(NEXT) | instid1(VALU_DEP_1)
	v_add3_u32 v1, v0, v1, 0x80fffff
	v_lshrrev_b32_e32 v1, 21, v1
; %bb.1023:
	s_and_not1_saveexec_b32 s18, s18
; %bb.1024:
	v_add_f32_e64 v1, 0x43000000, |v0|
; %bb.1025:
	s_or_b32 exec_lo, exec_lo, s18
                                        ; implicit-def: $vgpr4
.LBB18_1026:
	s_and_not1_saveexec_b32 s17, s17
; %bb.1027:
	v_mov_b32_e32 v1, 0x7f
	v_cmp_lt_u32_e32 vcc_lo, 0x7f800000, v4
	s_delay_alu instid0(VALU_DEP_2)
	v_cndmask_b32_e32 v1, 0x7c, v1, vcc_lo
; %bb.1028:
	s_or_b32 exec_lo, exec_lo, s17
	v_lshrrev_b32_e32 v4, 24, v0
	s_delay_alu instid0(VALU_DEP_1)
	v_and_or_b32 v1, 0x80, v4, v1
	global_store_b8 v[2:3], v1, off
.LBB18_1029:
	s_mov_b32 s17, 0
.LBB18_1030:
	s_delay_alu instid0(SALU_CYCLE_1)
	s_and_not1_b32 vcc_lo, exec_lo, s17
	s_mov_b32 s17, 0
	s_cbranch_vccnz .LBB18_1038
; %bb.1031:
	s_cmp_gt_i32 s15, 14
	s_mov_b32 s17, -1
	s_cbranch_scc0 .LBB18_1035
; %bb.1032:
	s_cmp_eq_u32 s15, 15
	s_mov_b32 s0, -1
	s_cbranch_scc0 .LBB18_1034
; %bb.1033:
	s_wait_xcnt 0x0
	v_bfe_u32 v1, v0, 16, 1
	v_cmp_o_f32_e32 vcc_lo, v0, v0
	s_mov_b32 s0, 0
	s_delay_alu instid0(VALU_DEP_2) | instskip(NEXT) | instid1(VALU_DEP_1)
	v_add3_u32 v1, v0, v1, 0x7fff
	v_lshrrev_b32_e32 v1, 16, v1
	s_delay_alu instid0(VALU_DEP_1)
	v_cndmask_b32_e32 v1, 0x7fc0, v1, vcc_lo
	global_store_b16 v[2:3], v1, off
.LBB18_1034:
	s_mov_b32 s17, 0
.LBB18_1035:
	s_delay_alu instid0(SALU_CYCLE_1)
	s_and_b32 vcc_lo, exec_lo, s17
	s_mov_b32 s17, 0
	s_cbranch_vccz .LBB18_1038
; %bb.1036:
	s_cmp_lg_u32 s15, 11
	s_mov_b32 s17, -1
	s_cselect_b32 s15, -1, 0
	s_and_not1_b32 s0, s0, exec_lo
	s_and_b32 s15, s15, exec_lo
	s_delay_alu instid0(SALU_CYCLE_1)
	s_or_b32 s0, s0, s15
	s_branch .LBB18_1038
.LBB18_1037:
	s_mov_b32 s17, 0
.LBB18_1038:
	s_and_not1_b32 s11, s11, exec_lo
	s_and_b32 s0, s0, exec_lo
	s_and_b32 s15, s16, exec_lo
	;; [unrolled: 1-line block ×3, first 2 shown]
	s_or_b32 s11, s11, s0
	s_wait_xcnt 0x0
	s_or_b32 exec_lo, exec_lo, s13
	s_and_saveexec_b32 s0, s11
	s_cbranch_execz .LBB18_967
.LBB18_1039:
	s_or_b32 s12, s12, exec_lo
	s_and_not1_b32 s16, s16, exec_lo
	s_trap 2
	s_or_b32 exec_lo, exec_lo, s0
	s_and_saveexec_b32 s0, s16
	s_delay_alu instid0(SALU_CYCLE_1)
	s_xor_b32 s0, exec_lo, s0
	s_cbranch_execnz .LBB18_968
.LBB18_1040:
	s_or_b32 exec_lo, exec_lo, s0
	s_and_saveexec_b32 s0, s15
	s_delay_alu instid0(SALU_CYCLE_1)
	s_xor_b32 s0, exec_lo, s0
	s_cbranch_execz .LBB18_1078
.LBB18_1041:
	s_sext_i32_i16 s13, s14
	s_mov_b32 s11, -1
	s_cmp_lt_i32 s13, 5
	s_cbranch_scc1 .LBB18_1062
; %bb.1042:
	s_cmp_lt_i32 s13, 8
	s_cbranch_scc1 .LBB18_1052
; %bb.1043:
	;; [unrolled: 3-line block ×3, first 2 shown]
	s_cmp_gt_i32 s13, 9
	s_cbranch_scc0 .LBB18_1046
; %bb.1045:
	s_wait_loadcnt 0x0
	v_cvt_f64_f32_e32 v[4:5], v0
	v_mov_b32_e32 v6, 0
	s_mov_b32 s11, 0
	s_delay_alu instid0(VALU_DEP_1)
	v_mov_b32_e32 v7, v6
	global_store_b128 v[2:3], v[4:7], off
.LBB18_1046:
	s_and_not1_b32 vcc_lo, exec_lo, s11
	s_cbranch_vccnz .LBB18_1048
; %bb.1047:
	v_mov_b32_e32 v1, 0
	s_wait_loadcnt 0x0
	global_store_b64 v[2:3], v[0:1], off
.LBB18_1048:
	s_mov_b32 s11, 0
.LBB18_1049:
	s_delay_alu instid0(SALU_CYCLE_1)
	s_and_not1_b32 vcc_lo, exec_lo, s11
	s_cbranch_vccnz .LBB18_1051
; %bb.1050:
	s_wait_xcnt 0x0
	v_cvt_f16_f32_e32 v1, v0
	s_delay_alu instid0(VALU_DEP_1)
	v_and_b32_e32 v1, 0xffff, v1
	s_wait_loadcnt 0x0
	global_store_b32 v[2:3], v1, off
.LBB18_1051:
	s_mov_b32 s11, 0
.LBB18_1052:
	s_delay_alu instid0(SALU_CYCLE_1)
	s_and_not1_b32 vcc_lo, exec_lo, s11
	s_cbranch_vccnz .LBB18_1061
; %bb.1053:
	s_sext_i32_i16 s13, s14
	s_mov_b32 s11, -1
	s_cmp_lt_i32 s13, 6
	s_cbranch_scc1 .LBB18_1059
; %bb.1054:
	s_cmp_gt_i32 s13, 6
	s_cbranch_scc0 .LBB18_1056
; %bb.1055:
	s_wait_loadcnt 0x0
	v_cvt_f64_f32_e32 v[4:5], v0
	s_mov_b32 s11, 0
	global_store_b64 v[2:3], v[4:5], off
.LBB18_1056:
	s_and_not1_b32 vcc_lo, exec_lo, s11
	s_cbranch_vccnz .LBB18_1058
; %bb.1057:
	s_wait_loadcnt 0x0
	global_store_b32 v[2:3], v0, off
.LBB18_1058:
	s_mov_b32 s11, 0
.LBB18_1059:
	s_delay_alu instid0(SALU_CYCLE_1)
	s_and_not1_b32 vcc_lo, exec_lo, s11
	s_cbranch_vccnz .LBB18_1061
; %bb.1060:
	s_wait_xcnt 0x0
	v_cvt_f16_f32_e32 v1, v0
	s_wait_loadcnt 0x0
	global_store_b16 v[2:3], v1, off
.LBB18_1061:
	s_mov_b32 s11, 0
.LBB18_1062:
	s_delay_alu instid0(SALU_CYCLE_1)
	s_and_not1_b32 vcc_lo, exec_lo, s11
	s_cbranch_vccnz .LBB18_1078
; %bb.1063:
	s_sext_i32_i16 s13, s14
	s_mov_b32 s11, -1
	s_cmp_lt_i32 s13, 2
	s_cbranch_scc1 .LBB18_1073
; %bb.1064:
	s_cmp_lt_i32 s13, 3
	s_cbranch_scc1 .LBB18_1070
; %bb.1065:
	s_cmp_gt_i32 s13, 3
	s_cbranch_scc0 .LBB18_1067
; %bb.1066:
	s_wait_xcnt 0x0
	v_trunc_f32_e32 v1, v0
	s_mov_b32 s11, 0
	s_wait_loadcnt 0x0
	s_delay_alu instid0(VALU_DEP_1) | instskip(NEXT) | instid1(VALU_DEP_1)
	v_mul_f32_e64 v4, 0x2f800000, |v1|
	v_floor_f32_e32 v5, v4
	v_ashrrev_i32_e32 v4, 31, v1
	s_delay_alu instid0(VALU_DEP_2) | instskip(SKIP_1) | instid1(VALU_DEP_3)
	v_fma_f32 v6, 0xcf800000, v5, |v1|
	v_cvt_u32_f32_e32 v1, v5
	v_mov_b32_e32 v5, v4
	s_delay_alu instid0(VALU_DEP_3) | instskip(NEXT) | instid1(VALU_DEP_3)
	v_cvt_u32_f32_e32 v6, v6
	v_xor_b32_e32 v7, v1, v4
	s_delay_alu instid0(VALU_DEP_2) | instskip(NEXT) | instid1(VALU_DEP_1)
	v_xor_b32_e32 v6, v6, v4
	v_sub_nc_u64_e32 v[4:5], v[6:7], v[4:5]
	global_store_b64 v[2:3], v[4:5], off
.LBB18_1067:
	s_and_not1_b32 vcc_lo, exec_lo, s11
	s_cbranch_vccnz .LBB18_1069
; %bb.1068:
	s_wait_xcnt 0x0
	v_cvt_i32_f32_e32 v1, v0
	s_wait_loadcnt 0x0
	global_store_b32 v[2:3], v1, off
.LBB18_1069:
	s_mov_b32 s11, 0
.LBB18_1070:
	s_delay_alu instid0(SALU_CYCLE_1)
	s_and_not1_b32 vcc_lo, exec_lo, s11
	s_cbranch_vccnz .LBB18_1072
; %bb.1071:
	s_wait_xcnt 0x0
	v_cvt_i32_f32_e32 v1, v0
	s_wait_loadcnt 0x0
	global_store_b16 v[2:3], v1, off
.LBB18_1072:
	s_mov_b32 s11, 0
.LBB18_1073:
	s_delay_alu instid0(SALU_CYCLE_1)
	s_and_not1_b32 vcc_lo, exec_lo, s11
	s_cbranch_vccnz .LBB18_1078
; %bb.1074:
	s_sext_i32_i16 s11, s14
	s_delay_alu instid0(SALU_CYCLE_1)
	s_cmp_gt_i32 s11, 0
	s_mov_b32 s11, -1
	s_cbranch_scc0 .LBB18_1076
; %bb.1075:
	s_wait_xcnt 0x0
	v_cvt_i32_f32_e32 v1, v0
	s_mov_b32 s11, 0
	s_wait_loadcnt 0x0
	global_store_b8 v[2:3], v1, off
.LBB18_1076:
	s_and_not1_b32 vcc_lo, exec_lo, s11
	s_cbranch_vccnz .LBB18_1078
; %bb.1077:
	s_wait_xcnt 0x0
	v_trunc_f32_e32 v0, v0
	s_delay_alu instid0(VALU_DEP_1) | instskip(NEXT) | instid1(VALU_DEP_1)
	v_mul_f32_e64 v1, 0x2f800000, |v0|
	v_floor_f32_e32 v1, v1
	s_delay_alu instid0(VALU_DEP_1) | instskip(SKIP_1) | instid1(VALU_DEP_2)
	v_fma_f32 v1, 0xcf800000, v1, |v0|
	v_ashrrev_i32_e32 v0, 31, v0
	v_cvt_u32_f32_e32 v1, v1
	s_delay_alu instid0(VALU_DEP_1) | instskip(NEXT) | instid1(VALU_DEP_1)
	v_xor_b32_e32 v1, v1, v0
	v_sub_nc_u32_e32 v0, v1, v0
	s_wait_loadcnt 0x0
	global_store_b8 v[2:3], v0, off
.LBB18_1078:
	s_wait_xcnt 0x0
	s_or_b32 exec_lo, exec_lo, s0
	s_delay_alu instid0(SALU_CYCLE_1)
	s_and_b32 s11, s12, exec_lo
                                        ; implicit-def: $vgpr8
.LBB18_1079:
	s_or_saveexec_b32 s10, s10
	s_mov_b32 s0, 0
                                        ; implicit-def: $sgpr12
                                        ; implicit-def: $vgpr0_vgpr1
                                        ; implicit-def: $vgpr6
	s_xor_b32 exec_lo, exec_lo, s10
	s_cbranch_execz .LBB18_1724
; %bb.1080:
	s_wait_loadcnt 0x0
	v_mul_lo_u32 v2, s3, v8
	s_and_b32 s9, 0xffff, s9
	s_delay_alu instid0(SALU_CYCLE_1) | instskip(NEXT) | instid1(VALU_DEP_1)
	s_cmp_lt_i32 s9, 11
	v_ashrrev_i32_e32 v3, 31, v2
	s_delay_alu instid0(VALU_DEP_1)
	v_add_nc_u64_e32 v[0:1], s[6:7], v[2:3]
	s_cbranch_scc1 .LBB18_1087
; %bb.1081:
	s_cmp_gt_i32 s9, 25
	s_mov_b32 s12, 0
	s_cbranch_scc0 .LBB18_1089
; %bb.1082:
	s_cmp_gt_i32 s9, 28
	s_cbranch_scc0 .LBB18_1090
; %bb.1083:
	s_cmp_gt_i32 s9, 43
	;; [unrolled: 3-line block ×3, first 2 shown]
	s_cbranch_scc0 .LBB18_1092
; %bb.1085:
	s_cmp_eq_u32 s9, 46
	s_cbranch_scc0 .LBB18_1095
; %bb.1086:
	global_load_b32 v3, v[0:1], off
	s_mov_b32 s13, -1
	s_wait_loadcnt 0x0
	v_lshlrev_b32_e32 v3, 16, v3
	s_branch .LBB18_1097
.LBB18_1087:
	s_mov_b32 s13, 0
	s_mov_b32 s1, s11
                                        ; implicit-def: $vgpr3
	s_cbranch_execnz .LBB18_1160
.LBB18_1088:
	s_and_not1_b32 vcc_lo, exec_lo, s13
	s_cbranch_vccz .LBB18_1205
	s_branch .LBB18_1722
.LBB18_1089:
	s_mov_b32 s13, 0
                                        ; implicit-def: $vgpr3
	s_cbranch_execnz .LBB18_1125
	s_branch .LBB18_1156
.LBB18_1090:
	s_mov_b32 s1, -1
	s_mov_b32 s13, 0
                                        ; implicit-def: $vgpr3
	s_branch .LBB18_1106
.LBB18_1091:
	s_mov_b32 s13, 0
                                        ; implicit-def: $vgpr3
	s_cbranch_execnz .LBB18_1102
	s_branch .LBB18_1105
.LBB18_1092:
	s_mov_b32 s1, -1
	s_branch .LBB18_1096
.LBB18_1093:
	s_and_not1_saveexec_b32 s18, s18
	s_cbranch_execz .LBB18_992
.LBB18_1094:
	v_add_f32_e64 v1, 0x46000000, |v0|
	s_and_not1_b32 s17, s17, exec_lo
	s_delay_alu instid0(VALU_DEP_1) | instskip(NEXT) | instid1(VALU_DEP_1)
	v_and_b32_e32 v1, 0xff, v1
	v_cmp_ne_u32_e32 vcc_lo, 0, v1
	s_and_b32 s19, vcc_lo, exec_lo
	s_delay_alu instid0(SALU_CYCLE_1)
	s_or_b32 s17, s17, s19
	s_or_b32 exec_lo, exec_lo, s18
	v_mov_b32_e32 v4, 0
	s_and_saveexec_b32 s18, s17
	s_cbranch_execnz .LBB18_993
	s_branch .LBB18_994
.LBB18_1095:
	s_mov_b32 s0, -1
.LBB18_1096:
	s_mov_b32 s13, 0
                                        ; implicit-def: $vgpr3
.LBB18_1097:
	s_and_b32 vcc_lo, exec_lo, s1
	s_cbranch_vccz .LBB18_1100
; %bb.1098:
	s_cmp_eq_u32 s9, 44
	s_cbranch_scc0 .LBB18_1101
; %bb.1099:
	global_load_u8 v3, v[0:1], off
	s_mov_b32 s0, 0
	s_mov_b32 s13, -1
	s_wait_loadcnt 0x0
	v_lshlrev_b32_e32 v4, 23, v3
	v_cmp_ne_u32_e32 vcc_lo, 0xff, v3
	s_delay_alu instid0(VALU_DEP_2) | instskip(SKIP_1) | instid1(VALU_DEP_2)
	v_cndmask_b32_e32 v4, 0x7f800001, v4, vcc_lo
	v_cmp_ne_u32_e32 vcc_lo, 0, v3
	v_cndmask_b32_e32 v3, 0x400000, v4, vcc_lo
.LBB18_1100:
	s_branch .LBB18_1105
.LBB18_1101:
	s_mov_b32 s0, -1
                                        ; implicit-def: $vgpr3
	s_branch .LBB18_1105
.LBB18_1102:
	s_cmp_eq_u32 s9, 29
	s_cbranch_scc0 .LBB18_1104
; %bb.1103:
	global_load_b64 v[4:5], v[0:1], off
	s_mov_b32 s0, 0
	s_mov_b32 s13, -1
	s_mov_b32 s1, 0
	s_wait_loadcnt 0x0
	v_clz_i32_u32_e32 v3, v5
	s_delay_alu instid0(VALU_DEP_1) | instskip(NEXT) | instid1(VALU_DEP_1)
	v_min_u32_e32 v3, 32, v3
	v_lshlrev_b64_e32 v[4:5], v3, v[4:5]
	v_sub_nc_u32_e32 v3, 32, v3
	s_delay_alu instid0(VALU_DEP_2) | instskip(NEXT) | instid1(VALU_DEP_1)
	v_min_u32_e32 v4, 1, v4
	v_or_b32_e32 v4, v5, v4
	s_delay_alu instid0(VALU_DEP_1) | instskip(NEXT) | instid1(VALU_DEP_1)
	v_cvt_f32_u32_e32 v4, v4
	v_ldexp_f32 v3, v4, v3
	s_branch .LBB18_1106
.LBB18_1104:
	s_mov_b32 s0, -1
                                        ; implicit-def: $vgpr3
.LBB18_1105:
	s_mov_b32 s1, 0
.LBB18_1106:
	s_delay_alu instid0(SALU_CYCLE_1)
	s_and_b32 vcc_lo, exec_lo, s1
	s_cbranch_vccz .LBB18_1124
; %bb.1107:
	s_cmp_lt_i32 s9, 27
	s_cbranch_scc1 .LBB18_1110
; %bb.1108:
	s_cmp_gt_i32 s9, 27
	s_cbranch_scc0 .LBB18_1111
; %bb.1109:
	global_load_b32 v3, v[0:1], off
	s_mov_b32 s1, 0
	s_wait_loadcnt 0x0
	v_cvt_f32_u32_e32 v3, v3
	s_branch .LBB18_1112
.LBB18_1110:
	s_mov_b32 s1, -1
                                        ; implicit-def: $vgpr3
	s_branch .LBB18_1115
.LBB18_1111:
	s_mov_b32 s1, -1
                                        ; implicit-def: $vgpr3
.LBB18_1112:
	s_delay_alu instid0(SALU_CYCLE_1)
	s_and_not1_b32 vcc_lo, exec_lo, s1
	s_cbranch_vccnz .LBB18_1114
; %bb.1113:
	global_load_u16 v3, v[0:1], off
	s_wait_loadcnt 0x0
	v_cvt_f32_u32_e32 v3, v3
.LBB18_1114:
	s_mov_b32 s1, 0
.LBB18_1115:
	s_delay_alu instid0(SALU_CYCLE_1)
	s_and_not1_b32 vcc_lo, exec_lo, s1
	s_cbranch_vccnz .LBB18_1123
; %bb.1116:
	global_load_u8 v4, v[0:1], off
	s_mov_b32 s1, 0
	s_mov_b32 s13, exec_lo
	s_wait_loadcnt 0x0
	v_cmpx_lt_i16_e32 0x7f, v4
	s_xor_b32 s13, exec_lo, s13
	s_cbranch_execz .LBB18_1136
; %bb.1117:
	s_mov_b32 s1, -1
	s_mov_b32 s14, exec_lo
	v_cmpx_eq_u16_e32 0x80, v4
; %bb.1118:
	s_xor_b32 s1, exec_lo, -1
; %bb.1119:
	s_or_b32 exec_lo, exec_lo, s14
	s_delay_alu instid0(SALU_CYCLE_1)
	s_and_b32 s1, s1, exec_lo
	s_or_saveexec_b32 s13, s13
	v_mov_b32_e32 v3, 0x7f800001
	s_xor_b32 exec_lo, exec_lo, s13
	s_cbranch_execnz .LBB18_1137
.LBB18_1120:
	s_or_b32 exec_lo, exec_lo, s13
	s_and_saveexec_b32 s13, s1
	s_cbranch_execz .LBB18_1122
.LBB18_1121:
	v_and_b32_e32 v3, 0xffff, v4
	s_delay_alu instid0(VALU_DEP_1) | instskip(SKIP_1) | instid1(VALU_DEP_2)
	v_and_b32_e32 v5, 7, v3
	v_bfe_u32 v9, v3, 3, 4
	v_clz_i32_u32_e32 v6, v5
	s_delay_alu instid0(VALU_DEP_2) | instskip(NEXT) | instid1(VALU_DEP_2)
	v_cmp_eq_u32_e32 vcc_lo, 0, v9
	v_min_u32_e32 v6, 32, v6
	s_delay_alu instid0(VALU_DEP_1) | instskip(NEXT) | instid1(VALU_DEP_1)
	v_subrev_nc_u32_e32 v7, 28, v6
	v_dual_lshlrev_b32 v3, v7, v3 :: v_dual_sub_nc_u32 v6, 29, v6
	s_delay_alu instid0(VALU_DEP_1) | instskip(NEXT) | instid1(VALU_DEP_2)
	v_dual_lshlrev_b32 v4, 24, v4 :: v_dual_bitop2_b32 v3, 7, v3 bitop3:0x40
	v_cndmask_b32_e32 v6, v9, v6, vcc_lo
	s_delay_alu instid0(VALU_DEP_2) | instskip(NEXT) | instid1(VALU_DEP_3)
	v_cndmask_b32_e32 v3, v5, v3, vcc_lo
	v_and_b32_e32 v4, 0x80000000, v4
	s_delay_alu instid0(VALU_DEP_3) | instskip(NEXT) | instid1(VALU_DEP_3)
	v_lshl_add_u32 v5, v6, 23, 0x3b800000
	v_lshlrev_b32_e32 v3, 20, v3
	s_delay_alu instid0(VALU_DEP_1)
	v_or3_b32 v3, v4, v5, v3
.LBB18_1122:
	s_or_b32 exec_lo, exec_lo, s13
.LBB18_1123:
	s_mov_b32 s13, -1
.LBB18_1124:
	s_branch .LBB18_1156
.LBB18_1125:
	s_cmp_gt_i32 s9, 22
	s_cbranch_scc0 .LBB18_1135
; %bb.1126:
	s_cmp_lt_i32 s9, 24
	s_cbranch_scc1 .LBB18_1138
; %bb.1127:
	s_cmp_gt_i32 s9, 24
	s_cbranch_scc0 .LBB18_1139
; %bb.1128:
	global_load_u8 v4, v[0:1], off
	s_mov_b32 s1, 0
	s_mov_b32 s12, exec_lo
	s_wait_loadcnt 0x0
	v_cmpx_lt_i16_e32 0x7f, v4
	s_xor_b32 s12, exec_lo, s12
	s_cbranch_execz .LBB18_1150
; %bb.1129:
	s_mov_b32 s1, -1
	s_mov_b32 s13, exec_lo
	v_cmpx_eq_u16_e32 0x80, v4
; %bb.1130:
	s_xor_b32 s1, exec_lo, -1
; %bb.1131:
	s_or_b32 exec_lo, exec_lo, s13
	s_delay_alu instid0(SALU_CYCLE_1)
	s_and_b32 s1, s1, exec_lo
	s_or_saveexec_b32 s12, s12
	v_mov_b32_e32 v3, 0x7f800001
	s_xor_b32 exec_lo, exec_lo, s12
	s_cbranch_execnz .LBB18_1151
.LBB18_1132:
	s_or_b32 exec_lo, exec_lo, s12
	s_and_saveexec_b32 s12, s1
	s_cbranch_execz .LBB18_1134
.LBB18_1133:
	v_and_b32_e32 v3, 0xffff, v4
	s_delay_alu instid0(VALU_DEP_1) | instskip(SKIP_1) | instid1(VALU_DEP_2)
	v_and_b32_e32 v5, 3, v3
	v_bfe_u32 v9, v3, 2, 5
	v_clz_i32_u32_e32 v6, v5
	s_delay_alu instid0(VALU_DEP_2) | instskip(NEXT) | instid1(VALU_DEP_2)
	v_cmp_eq_u32_e32 vcc_lo, 0, v9
	v_min_u32_e32 v6, 32, v6
	s_delay_alu instid0(VALU_DEP_1) | instskip(NEXT) | instid1(VALU_DEP_1)
	v_subrev_nc_u32_e32 v7, 29, v6
	v_dual_lshlrev_b32 v3, v7, v3 :: v_dual_sub_nc_u32 v6, 30, v6
	s_delay_alu instid0(VALU_DEP_1) | instskip(NEXT) | instid1(VALU_DEP_2)
	v_dual_lshlrev_b32 v4, 24, v4 :: v_dual_bitop2_b32 v3, 3, v3 bitop3:0x40
	v_cndmask_b32_e32 v6, v9, v6, vcc_lo
	s_delay_alu instid0(VALU_DEP_2) | instskip(NEXT) | instid1(VALU_DEP_3)
	v_cndmask_b32_e32 v3, v5, v3, vcc_lo
	v_and_b32_e32 v4, 0x80000000, v4
	s_delay_alu instid0(VALU_DEP_3) | instskip(NEXT) | instid1(VALU_DEP_3)
	v_lshl_add_u32 v5, v6, 23, 0x37800000
	v_lshlrev_b32_e32 v3, 21, v3
	s_delay_alu instid0(VALU_DEP_1)
	v_or3_b32 v3, v4, v5, v3
.LBB18_1134:
	s_or_b32 exec_lo, exec_lo, s12
	s_mov_b32 s1, 0
	s_branch .LBB18_1140
.LBB18_1135:
                                        ; implicit-def: $vgpr3
	s_mov_b32 s12, 0
	s_branch .LBB18_1146
.LBB18_1136:
	s_or_saveexec_b32 s13, s13
	v_mov_b32_e32 v3, 0x7f800001
	s_xor_b32 exec_lo, exec_lo, s13
	s_cbranch_execz .LBB18_1120
.LBB18_1137:
	v_cmp_ne_u16_e32 vcc_lo, 0, v4
	v_mov_b32_e32 v3, 0
	s_and_not1_b32 s1, s1, exec_lo
	s_and_b32 s14, vcc_lo, exec_lo
	s_delay_alu instid0(SALU_CYCLE_1)
	s_or_b32 s1, s1, s14
	s_or_b32 exec_lo, exec_lo, s13
	s_and_saveexec_b32 s13, s1
	s_cbranch_execnz .LBB18_1121
	s_branch .LBB18_1122
.LBB18_1138:
	s_mov_b32 s1, -1
                                        ; implicit-def: $vgpr3
	s_branch .LBB18_1143
.LBB18_1139:
	s_mov_b32 s1, -1
                                        ; implicit-def: $vgpr3
.LBB18_1140:
	s_delay_alu instid0(SALU_CYCLE_1)
	s_and_b32 vcc_lo, exec_lo, s1
	s_cbranch_vccz .LBB18_1142
; %bb.1141:
	global_load_u8 v3, v[0:1], off
	s_wait_loadcnt 0x0
	v_lshlrev_b32_e32 v3, 24, v3
	s_delay_alu instid0(VALU_DEP_1) | instskip(NEXT) | instid1(VALU_DEP_1)
	v_and_b32_e32 v4, 0x7f000000, v3
	v_clz_i32_u32_e32 v5, v4
	v_cmp_ne_u32_e32 vcc_lo, 0, v4
	v_add_nc_u32_e32 v7, 0x1000000, v4
	s_delay_alu instid0(VALU_DEP_3) | instskip(NEXT) | instid1(VALU_DEP_1)
	v_min_u32_e32 v5, 32, v5
	v_sub_nc_u32_e64 v5, v5, 4 clamp
	s_delay_alu instid0(VALU_DEP_1) | instskip(NEXT) | instid1(VALU_DEP_1)
	v_dual_lshlrev_b32 v6, v5, v4 :: v_dual_lshlrev_b32 v5, 23, v5
	v_lshrrev_b32_e32 v6, 4, v6
	s_delay_alu instid0(VALU_DEP_1) | instskip(NEXT) | instid1(VALU_DEP_1)
	v_dual_sub_nc_u32 v5, v6, v5 :: v_dual_ashrrev_i32 v6, 8, v7
	v_add_nc_u32_e32 v5, 0x3c000000, v5
	s_delay_alu instid0(VALU_DEP_1) | instskip(NEXT) | instid1(VALU_DEP_1)
	v_and_or_b32 v5, 0x7f800000, v6, v5
	v_cndmask_b32_e32 v4, 0, v5, vcc_lo
	s_delay_alu instid0(VALU_DEP_1)
	v_and_or_b32 v3, 0x80000000, v3, v4
.LBB18_1142:
	s_mov_b32 s1, 0
.LBB18_1143:
	s_delay_alu instid0(SALU_CYCLE_1)
	s_and_not1_b32 vcc_lo, exec_lo, s1
	s_cbranch_vccnz .LBB18_1145
; %bb.1144:
	global_load_u8 v3, v[0:1], off
	s_wait_loadcnt 0x0
	v_lshlrev_b32_e32 v4, 25, v3
	v_lshlrev_b16 v3, 8, v3
	s_delay_alu instid0(VALU_DEP_1) | instskip(SKIP_1) | instid1(VALU_DEP_2)
	v_and_or_b32 v6, 0x7f00, v3, 0.5
	v_bfe_i32 v3, v3, 0, 16
	v_dual_add_f32 v6, -0.5, v6 :: v_dual_lshrrev_b32 v5, 4, v4
	v_cmp_gt_u32_e32 vcc_lo, 0x8000000, v4
	s_delay_alu instid0(VALU_DEP_2) | instskip(NEXT) | instid1(VALU_DEP_1)
	v_or_b32_e32 v5, 0x70000000, v5
	v_mul_f32_e32 v5, 0x7800000, v5
	s_delay_alu instid0(VALU_DEP_1) | instskip(NEXT) | instid1(VALU_DEP_1)
	v_cndmask_b32_e32 v4, v5, v6, vcc_lo
	v_and_or_b32 v3, 0x80000000, v3, v4
.LBB18_1145:
	s_mov_b32 s13, -1
	s_mov_b32 s12, 0
	s_cbranch_execnz .LBB18_1156
.LBB18_1146:
	s_cmp_gt_i32 s9, 14
	s_cbranch_scc0 .LBB18_1149
; %bb.1147:
	s_cmp_eq_u32 s9, 15
	s_cbranch_scc0 .LBB18_1152
; %bb.1148:
	global_load_u16 v3, v[0:1], off
	s_mov_b32 s0, 0
	s_mov_b32 s13, -1
	s_wait_loadcnt 0x0
	v_lshlrev_b32_e32 v3, 16, v3
	s_branch .LBB18_1153
.LBB18_1149:
	s_mov_b32 s1, -1
                                        ; implicit-def: $vgpr3
	s_branch .LBB18_1154
.LBB18_1150:
	s_or_saveexec_b32 s12, s12
	v_mov_b32_e32 v3, 0x7f800001
	s_xor_b32 exec_lo, exec_lo, s12
	s_cbranch_execz .LBB18_1132
.LBB18_1151:
	v_cmp_ne_u16_e32 vcc_lo, 0, v4
	v_mov_b32_e32 v3, 0
	s_and_not1_b32 s1, s1, exec_lo
	s_and_b32 s13, vcc_lo, exec_lo
	s_delay_alu instid0(SALU_CYCLE_1)
	s_or_b32 s1, s1, s13
	s_or_b32 exec_lo, exec_lo, s12
	s_and_saveexec_b32 s12, s1
	s_cbranch_execnz .LBB18_1133
	s_branch .LBB18_1134
.LBB18_1152:
	s_mov_b32 s0, -1
                                        ; implicit-def: $vgpr3
.LBB18_1153:
	s_mov_b32 s1, 0
.LBB18_1154:
	s_delay_alu instid0(SALU_CYCLE_1)
	s_and_b32 vcc_lo, exec_lo, s1
	s_cbranch_vccz .LBB18_1156
; %bb.1155:
	s_cmp_lg_u32 s9, 11
	s_mov_b32 s12, -1
	s_cselect_b32 s0, -1, 0
.LBB18_1156:
	s_delay_alu instid0(SALU_CYCLE_1)
	s_and_b32 vcc_lo, exec_lo, s0
	s_mov_b32 s1, s11
	s_cbranch_vccnz .LBB18_1229
; %bb.1157:
	s_and_not1_b32 vcc_lo, exec_lo, s12
	s_cbranch_vccnz .LBB18_1159
.LBB18_1158:
	global_load_u8 v3, v[0:1], off
	s_mov_b32 s13, -1
	s_wait_loadcnt 0x0
	v_cmp_ne_u16_e32 vcc_lo, 0, v3
	v_cndmask_b32_e64 v3, 0, 1.0, vcc_lo
.LBB18_1159:
	s_branch .LBB18_1088
.LBB18_1160:
	s_cmp_lt_i32 s9, 5
	s_cbranch_scc1 .LBB18_1165
; %bb.1161:
	s_cmp_lt_i32 s9, 8
	s_cbranch_scc1 .LBB18_1166
; %bb.1162:
	;; [unrolled: 3-line block ×3, first 2 shown]
	s_cmp_gt_i32 s9, 9
	s_cbranch_scc0 .LBB18_1168
; %bb.1164:
	global_load_b64 v[4:5], v[0:1], off
	s_mov_b32 s0, 0
	s_wait_loadcnt 0x0
	v_cvt_f32_f64_e32 v3, v[4:5]
	s_branch .LBB18_1169
.LBB18_1165:
                                        ; implicit-def: $vgpr3
	s_branch .LBB18_1186
.LBB18_1166:
                                        ; implicit-def: $vgpr3
	s_branch .LBB18_1175
.LBB18_1167:
	s_mov_b32 s0, -1
                                        ; implicit-def: $vgpr3
	s_branch .LBB18_1172
.LBB18_1168:
	s_mov_b32 s0, -1
                                        ; implicit-def: $vgpr3
.LBB18_1169:
	s_delay_alu instid0(SALU_CYCLE_1)
	s_and_not1_b32 vcc_lo, exec_lo, s0
	s_cbranch_vccnz .LBB18_1171
; %bb.1170:
	global_load_b32 v3, v[0:1], off
.LBB18_1171:
	s_mov_b32 s0, 0
.LBB18_1172:
	s_delay_alu instid0(SALU_CYCLE_1)
	s_and_not1_b32 vcc_lo, exec_lo, s0
	s_cbranch_vccnz .LBB18_1174
; %bb.1173:
	s_wait_loadcnt 0x0
	global_load_b32 v3, v[0:1], off
	s_wait_loadcnt 0x0
	v_cvt_f32_f16_e32 v3, v3
.LBB18_1174:
	s_cbranch_execnz .LBB18_1185
.LBB18_1175:
	s_cmp_lt_i32 s9, 6
	s_cbranch_scc1 .LBB18_1178
; %bb.1176:
	s_cmp_gt_i32 s9, 6
	s_cbranch_scc0 .LBB18_1179
; %bb.1177:
	global_load_b64 v[4:5], v[0:1], off
	s_mov_b32 s0, 0
	s_wait_loadcnt 0x0
	v_cvt_f32_f64_e32 v3, v[4:5]
	s_branch .LBB18_1180
.LBB18_1178:
	s_mov_b32 s0, -1
                                        ; implicit-def: $vgpr3
	s_branch .LBB18_1183
.LBB18_1179:
	s_mov_b32 s0, -1
                                        ; implicit-def: $vgpr3
.LBB18_1180:
	s_delay_alu instid0(SALU_CYCLE_1)
	s_and_not1_b32 vcc_lo, exec_lo, s0
	s_cbranch_vccnz .LBB18_1182
; %bb.1181:
	s_wait_loadcnt 0x0
	global_load_b32 v3, v[0:1], off
.LBB18_1182:
	s_mov_b32 s0, 0
.LBB18_1183:
	s_delay_alu instid0(SALU_CYCLE_1)
	s_and_not1_b32 vcc_lo, exec_lo, s0
	s_cbranch_vccnz .LBB18_1185
; %bb.1184:
	s_wait_loadcnt 0x0
	global_load_u16 v3, v[0:1], off
	s_wait_loadcnt 0x0
	v_cvt_f32_f16_e32 v3, v3
.LBB18_1185:
	s_cbranch_execnz .LBB18_1204
.LBB18_1186:
	s_cmp_lt_i32 s9, 2
	s_cbranch_scc1 .LBB18_1190
; %bb.1187:
	s_cmp_lt_i32 s9, 3
	s_cbranch_scc1 .LBB18_1191
; %bb.1188:
	s_cmp_gt_i32 s9, 3
	s_cbranch_scc0 .LBB18_1192
; %bb.1189:
	global_load_b64 v[4:5], v[0:1], off
	s_mov_b32 s0, 0
	s_wait_loadcnt 0x0
	v_xor_b32_e32 v3, v4, v5
	v_cls_i32_e32 v6, v5
	s_delay_alu instid0(VALU_DEP_2) | instskip(NEXT) | instid1(VALU_DEP_1)
	v_ashrrev_i32_e32 v3, 31, v3
	v_add_nc_u32_e32 v3, 32, v3
	s_delay_alu instid0(VALU_DEP_1) | instskip(NEXT) | instid1(VALU_DEP_1)
	v_add_min_u32_e64 v3, v6, -1, v3
	v_lshlrev_b64_e32 v[4:5], v3, v[4:5]
	v_sub_nc_u32_e32 v3, 32, v3
	s_delay_alu instid0(VALU_DEP_2) | instskip(NEXT) | instid1(VALU_DEP_1)
	v_min_u32_e32 v4, 1, v4
	v_or_b32_e32 v4, v5, v4
	s_delay_alu instid0(VALU_DEP_1) | instskip(NEXT) | instid1(VALU_DEP_1)
	v_cvt_f32_i32_e32 v4, v4
	v_ldexp_f32 v3, v4, v3
	s_branch .LBB18_1193
.LBB18_1190:
                                        ; implicit-def: $vgpr3
	s_branch .LBB18_1199
.LBB18_1191:
	s_mov_b32 s0, -1
                                        ; implicit-def: $vgpr3
	s_branch .LBB18_1196
.LBB18_1192:
	s_mov_b32 s0, -1
                                        ; implicit-def: $vgpr3
.LBB18_1193:
	s_delay_alu instid0(SALU_CYCLE_1)
	s_and_not1_b32 vcc_lo, exec_lo, s0
	s_cbranch_vccnz .LBB18_1195
; %bb.1194:
	s_wait_loadcnt 0x0
	global_load_b32 v3, v[0:1], off
	s_wait_loadcnt 0x0
	v_cvt_f32_i32_e32 v3, v3
.LBB18_1195:
	s_mov_b32 s0, 0
.LBB18_1196:
	s_delay_alu instid0(SALU_CYCLE_1)
	s_and_not1_b32 vcc_lo, exec_lo, s0
	s_cbranch_vccnz .LBB18_1198
; %bb.1197:
	s_wait_loadcnt 0x0
	global_load_i16 v3, v[0:1], off
	s_wait_loadcnt 0x0
	v_cvt_f32_i32_e32 v3, v3
.LBB18_1198:
	s_cbranch_execnz .LBB18_1204
.LBB18_1199:
	s_cmp_gt_i32 s9, 0
	s_mov_b32 s0, 0
	s_cbranch_scc0 .LBB18_1201
; %bb.1200:
	s_wait_loadcnt 0x0
	global_load_i8 v3, v[0:1], off
	s_wait_loadcnt 0x0
	v_cvt_f32_i32_e32 v3, v3
	s_branch .LBB18_1202
.LBB18_1201:
	s_mov_b32 s0, -1
                                        ; implicit-def: $vgpr3
.LBB18_1202:
	s_delay_alu instid0(SALU_CYCLE_1)
	s_and_not1_b32 vcc_lo, exec_lo, s0
	s_cbranch_vccnz .LBB18_1204
; %bb.1203:
	global_load_u8 v0, v[0:1], off
	s_wait_loadcnt 0x0
	v_cvt_f32_ubyte0_e32 v3, v0
.LBB18_1204:
.LBB18_1205:
	s_wait_loadcnt 0x0
	s_delay_alu instid0(VALU_DEP_1)
	v_mul_f32_e64 v1, 0x3fb8aa3b, |v3|
	s_mov_b32 s12, exec_lo
                                        ; implicit-def: $vgpr0
	v_cmpx_ge_f32_e64 0x41000000, |v3|
	s_xor_b32 s12, exec_lo, s12
	s_cbranch_execz .LBB18_1211
; %bb.1206:
	v_fma_f32 v0, |v3|, 0.5, -2.0
	s_mov_b32 s0, 0x224cf950
	v_rndne_f32_e32 v6, v1
	v_fma_f32 v7, 0x3fb8aa3b, |v3|, -v1
	v_cmp_ngt_f32_e64 vcc_lo, 0xc2ce8ed0, |v3|
	v_fmaak_f32 v4, s0, v0, 0xa3c2be86
	v_cmp_nlt_f32_e64 s0, 0x42b17218, |v3|
	v_sub_f32_e32 v1, v1, v6
	v_fma_f32 v7, 0x32a5705f, |v3|, v7
	s_delay_alu instid0(VALU_DEP_4) | instskip(NEXT) | instid1(VALU_DEP_2)
	v_fmaak_f32 v5, v0, v4, 0xa24cf950
	v_add_f32_e32 v1, v1, v7
	s_delay_alu instid0(VALU_DEP_2) | instskip(NEXT) | instid1(VALU_DEP_2)
	v_add_f32_e32 v5, 0x25331f1f, v5
	v_exp_f32_e32 v1, v1
	s_delay_alu instid0(VALU_DEP_1) | instskip(NEXT) | instid1(VALU_DEP_1)
	v_fma_f32 v4, v0, v5, -v4
	v_add_f32_e32 v4, 0xa69f5554, v4
	s_delay_alu instid0(VALU_DEP_1) | instskip(NEXT) | instid1(VALU_DEP_1)
	v_fma_f32 v5, v0, v4, -v5
	v_add_f32_e32 v5, 0x2808ebf8, v5
	;; [unrolled: 3-line block ×25, first 2 shown]
	s_delay_alu instid0(VALU_DEP_1) | instskip(SKIP_1) | instid1(VALU_DEP_2)
	v_fma_f32 v0, v0, v4, -v5
	v_cvt_i32_f32_e32 v4, v6
	v_add_f32_e32 v0, 0x3e81531c, v0
	s_delay_alu instid0(VALU_DEP_2) | instskip(NEXT) | instid1(VALU_DEP_2)
	v_ldexp_f32 v1, v1, v4
	v_sub_f32_e32 v0, v0, v5
	s_delay_alu instid0(VALU_DEP_2) | instskip(SKIP_1) | instid1(VALU_DEP_3)
	v_cndmask_b32_e32 v4, 0, v1, vcc_lo
	v_cmp_ngt_f32_e32 vcc_lo, 0, v3
	v_mul_f32_e32 v0, 0.5, v0
	s_delay_alu instid0(VALU_DEP_1) | instskip(NEXT) | instid1(VALU_DEP_4)
	v_mul_f32_e64 v1, |v3|, v0
	v_cndmask_b32_e64 v3, 0x7f800000, v4, s0
                                        ; implicit-def: $vgpr0
	s_and_saveexec_b32 s0, vcc_lo
	s_delay_alu instid0(SALU_CYCLE_1)
	s_xor_b32 s0, exec_lo, s0
; %bb.1207:
	s_delay_alu instid0(VALU_DEP_1)
	v_mul_f32_e32 v0, v3, v1
                                        ; implicit-def: $vgpr3
                                        ; implicit-def: $vgpr1
; %bb.1208:
	s_and_not1_saveexec_b32 s0, s0
; %bb.1209:
	v_mul_f32_e64 v0, v1, -v3
; %bb.1210:
	s_or_b32 exec_lo, exec_lo, s0
                                        ; implicit-def: $vgpr3
                                        ; implicit-def: $vgpr1
.LBB18_1211:
	s_and_not1_saveexec_b32 s12, s12
	s_cbranch_execz .LBB18_1217
; %bb.1212:
	v_and_b32_e32 v0, 0x7fffffff, v3
	s_mov_b32 s0, 0x230aab6e
	s_delay_alu instid0(VALU_DEP_1) | instskip(SKIP_1) | instid1(VALU_DEP_2)
	v_div_scale_f32 v4, null, v0, v0, 0x42000000
	v_div_scale_f32 v0, vcc_lo, 0x42000000, v0, 0x42000000
	v_rcp_f32_e32 v5, v4
	v_nop
	s_delay_alu instid0(TRANS32_DEP_1) | instskip(NEXT) | instid1(VALU_DEP_1)
	v_fma_f32 v6, -v4, v5, 1.0
	v_fmac_f32_e32 v5, v6, v5
	s_delay_alu instid0(VALU_DEP_1) | instskip(NEXT) | instid1(VALU_DEP_1)
	v_mul_f32_e32 v6, v0, v5
	v_fma_f32 v7, -v4, v6, v0
	s_delay_alu instid0(VALU_DEP_1) | instskip(SKIP_1) | instid1(VALU_DEP_2)
	v_fmac_f32_e32 v6, v7, v5
	v_fma_f32 v7, 0x3fb8aa3b, |v3|, -v1
	v_fma_f32 v0, -v4, v6, v0
	s_delay_alu instid0(VALU_DEP_2) | instskip(NEXT) | instid1(VALU_DEP_2)
	v_fma_f32 v7, 0x32a5705f, |v3|, v7
	v_div_fmas_f32 v0, v0, v5, v6
	v_rndne_f32_e32 v6, v1
	v_cmp_ngt_f32_e64 vcc_lo, 0xc2ce8ed0, |v3|
	s_delay_alu instid0(VALU_DEP_3) | instskip(NEXT) | instid1(VALU_DEP_3)
	v_div_fixup_f32 v0, v0, |v3|, 0x42000000
	v_sub_f32_e32 v1, v1, v6
	v_cvt_i32_f32_e32 v6, v6
	s_delay_alu instid0(VALU_DEP_2) | instskip(NEXT) | instid1(VALU_DEP_1)
	v_dual_add_f32 v0, -2.0, v0 :: v_dual_add_f32 v1, v1, v7
	v_fmaak_f32 v4, s0, v0, 0x22a2dc57
	v_cmp_nlt_f32_e64 s0, 0x42b17218, |v3|
	s_delay_alu instid0(VALU_DEP_3) | instskip(NEXT) | instid1(VALU_DEP_2)
	v_exp_f32_e32 v1, v1
	v_fmaak_f32 v5, v0, v4, 0xa30aab6e
	s_delay_alu instid0(TRANS32_DEP_1) | instskip(NEXT) | instid1(VALU_DEP_2)
	v_ldexp_f32 v1, v1, v6
	v_add_f32_e32 v5, 0xa456751e, v5
	s_delay_alu instid0(VALU_DEP_2) | instskip(NEXT) | instid1(VALU_DEP_2)
	v_cndmask_b32_e32 v1, 0, v1, vcc_lo
	v_fma_f32 v4, v0, v5, -v4
	s_delay_alu instid0(VALU_DEP_2) | instskip(NEXT) | instid1(VALU_DEP_2)
	v_cndmask_b32_e64 v1, 0x7f800000, v1, s0
	v_add_f32_e32 v4, 0xa4140365, v4
	s_mov_b32 s0, exec_lo
	s_delay_alu instid0(VALU_DEP_1) | instskip(NEXT) | instid1(VALU_DEP_1)
	v_fma_f32 v5, v0, v4, -v5
	v_add_f32_e32 v5, 0x25aac8b0, v5
	s_delay_alu instid0(VALU_DEP_1) | instskip(NEXT) | instid1(VALU_DEP_1)
	v_fma_f32 v4, v0, v5, -v4
	v_add_f32_e32 v4, 0x25beb473, v4
	;; [unrolled: 3-line block ×21, first 2 shown]
	s_delay_alu instid0(VALU_DEP_1)
	v_sub_f32_e32 v4, v0, v5
	v_mul_f32_e64 v5, 0x4f800000, |v3|
                                        ; implicit-def: $vgpr0
	v_cmpx_ngt_f32_e32 0, v3
	s_xor_b32 s13, exec_lo, s0
	s_cbranch_execz .LBB18_1214
; %bb.1213:
	v_cmp_gt_f32_e64 vcc_lo, 0xf800000, |v3|
	v_mul_f32_e32 v4, 0.5, v4
	s_delay_alu instid0(VALU_DEP_2) | instskip(NEXT) | instid1(VALU_DEP_2)
	v_cndmask_b32_e64 v0, |v3|, v5, vcc_lo
	v_mul_f32_e32 v1, v1, v4
	s_delay_alu instid0(VALU_DEP_2) | instskip(SKIP_1) | instid1(TRANS32_DEP_1)
	v_sqrt_f32_e32 v3, v0
	v_nop
	v_dual_add_nc_u32 v5, -1, v3 :: v_dual_add_nc_u32 v6, 1, v3
	s_delay_alu instid0(VALU_DEP_1) | instskip(NEXT) | instid1(VALU_DEP_1)
	v_dual_fma_f32 v7, -v5, v3, v0 :: v_dual_fma_f32 v9, -v6, v3, v0
	v_cmp_ge_f32_e64 s0, 0, v7
	s_delay_alu instid0(VALU_DEP_1) | instskip(NEXT) | instid1(VALU_DEP_3)
	v_cndmask_b32_e64 v3, v3, v5, s0
	v_cmp_lt_f32_e64 s0, 0, v9
	s_delay_alu instid0(VALU_DEP_1) | instskip(NEXT) | instid1(VALU_DEP_1)
	v_cndmask_b32_e64 v3, v3, v6, s0
	v_mul_f32_e32 v5, 0x37800000, v3
	s_delay_alu instid0(VALU_DEP_1) | instskip(SKIP_1) | instid1(VALU_DEP_2)
	v_cndmask_b32_e32 v3, v3, v5, vcc_lo
	v_cmp_class_f32_e64 vcc_lo, v0, 0x260
	v_cndmask_b32_e32 v0, v3, v0, vcc_lo
	s_delay_alu instid0(VALU_DEP_1) | instskip(NEXT) | instid1(VALU_DEP_1)
	v_div_scale_f32 v3, null, v0, v0, v1
	v_rcp_f32_e32 v4, v3
	v_nop
	s_delay_alu instid0(TRANS32_DEP_1) | instskip(NEXT) | instid1(VALU_DEP_1)
	v_fma_f32 v5, -v3, v4, 1.0
	v_fmac_f32_e32 v4, v5, v4
	v_div_scale_f32 v5, vcc_lo, v1, v0, v1
	s_delay_alu instid0(VALU_DEP_1) | instskip(NEXT) | instid1(VALU_DEP_1)
	v_mul_f32_e32 v6, v5, v4
	v_fma_f32 v7, -v3, v6, v5
	s_delay_alu instid0(VALU_DEP_1) | instskip(NEXT) | instid1(VALU_DEP_1)
	v_fmac_f32_e32 v6, v7, v4
	v_fma_f32 v3, -v3, v6, v5
                                        ; implicit-def: $vgpr5
	s_delay_alu instid0(VALU_DEP_1) | instskip(NEXT) | instid1(VALU_DEP_1)
	v_div_fmas_f32 v3, v3, v4, v6
                                        ; implicit-def: $vgpr4
	v_div_fixup_f32 v0, v3, v0, v1
                                        ; implicit-def: $vgpr3
                                        ; implicit-def: $vgpr1
.LBB18_1214:
	s_and_not1_saveexec_b32 s13, s13
	s_cbranch_execz .LBB18_1216
; %bb.1215:
	v_cmp_gt_f32_e64 vcc_lo, 0xf800000, |v3|
	v_mul_f32_e32 v4, -0.5, v4
	s_delay_alu instid0(VALU_DEP_2) | instskip(NEXT) | instid1(VALU_DEP_2)
	v_cndmask_b32_e64 v0, |v3|, v5, vcc_lo
	v_mul_f32_e32 v1, v1, v4
	s_delay_alu instid0(VALU_DEP_2) | instskip(SKIP_1) | instid1(TRANS32_DEP_1)
	v_sqrt_f32_e32 v3, v0
	v_nop
	v_dual_add_nc_u32 v5, -1, v3 :: v_dual_add_nc_u32 v6, 1, v3
	s_delay_alu instid0(VALU_DEP_1) | instskip(NEXT) | instid1(VALU_DEP_1)
	v_dual_fma_f32 v7, -v5, v3, v0 :: v_dual_fma_f32 v9, -v6, v3, v0
	v_cmp_ge_f32_e64 s0, 0, v7
	s_delay_alu instid0(VALU_DEP_1) | instskip(NEXT) | instid1(VALU_DEP_3)
	v_cndmask_b32_e64 v3, v3, v5, s0
	v_cmp_lt_f32_e64 s0, 0, v9
	s_delay_alu instid0(VALU_DEP_1) | instskip(NEXT) | instid1(VALU_DEP_1)
	v_cndmask_b32_e64 v3, v3, v6, s0
	v_mul_f32_e32 v5, 0x37800000, v3
	s_delay_alu instid0(VALU_DEP_1) | instskip(SKIP_1) | instid1(VALU_DEP_2)
	v_cndmask_b32_e32 v3, v3, v5, vcc_lo
	v_cmp_class_f32_e64 vcc_lo, v0, 0x260
	v_cndmask_b32_e32 v0, v3, v0, vcc_lo
	s_delay_alu instid0(VALU_DEP_1) | instskip(NEXT) | instid1(VALU_DEP_1)
	v_div_scale_f32 v3, null, v0, v0, v1
	v_rcp_f32_e32 v4, v3
	v_nop
	s_delay_alu instid0(TRANS32_DEP_1) | instskip(NEXT) | instid1(VALU_DEP_1)
	v_fma_f32 v5, -v3, v4, 1.0
	v_fmac_f32_e32 v4, v5, v4
	v_div_scale_f32 v5, vcc_lo, v1, v0, v1
	s_delay_alu instid0(VALU_DEP_1) | instskip(NEXT) | instid1(VALU_DEP_1)
	v_mul_f32_e32 v6, v5, v4
	v_fma_f32 v7, -v3, v6, v5
	s_delay_alu instid0(VALU_DEP_1) | instskip(NEXT) | instid1(VALU_DEP_1)
	v_fmac_f32_e32 v6, v7, v4
	v_fma_f32 v3, -v3, v6, v5
	s_delay_alu instid0(VALU_DEP_1) | instskip(NEXT) | instid1(VALU_DEP_1)
	v_div_fmas_f32 v3, v3, v4, v6
	v_div_fixup_f32 v0, v3, v0, v1
.LBB18_1216:
	s_or_b32 exec_lo, exec_lo, s13
.LBB18_1217:
	s_delay_alu instid0(SALU_CYCLE_1) | instskip(SKIP_3) | instid1(VALU_DEP_1)
	s_or_b32 exec_lo, exec_lo, s12
	s_lshl_b32 s3, s3, 7
	s_cmp_lt_i32 s9, 11
	v_add_nc_u32_e32 v4, s3, v2
	v_ashrrev_i32_e32 v5, 31, v4
	s_delay_alu instid0(VALU_DEP_1)
	v_add_nc_u64_e32 v[2:3], s[6:7], v[4:5]
	s_cbranch_scc1 .LBB18_1224
; %bb.1218:
	s_cmp_gt_i32 s9, 25
	s_mov_b32 s12, 0
	s_cbranch_scc0 .LBB18_1226
; %bb.1219:
	s_cmp_gt_i32 s9, 28
	s_cbranch_scc0 .LBB18_1227
; %bb.1220:
	s_cmp_gt_i32 s9, 43
	;; [unrolled: 3-line block ×3, first 2 shown]
	s_cbranch_scc0 .LBB18_1230
; %bb.1222:
	s_cmp_eq_u32 s9, 46
	s_mov_b32 s14, 0
	s_cbranch_scc0 .LBB18_1233
; %bb.1223:
	global_load_b32 v1, v[2:3], off
	s_mov_b32 s0, 0
	s_mov_b32 s13, -1
	s_wait_loadcnt 0x0
	v_lshlrev_b32_e32 v1, 16, v1
	s_branch .LBB18_1235
.LBB18_1224:
	s_mov_b32 s13, 0
                                        ; implicit-def: $vgpr1
	s_cbranch_execnz .LBB18_1300
.LBB18_1225:
	s_and_not1_b32 vcc_lo, exec_lo, s13
	s_cbranch_vccnz .LBB18_1722
	s_branch .LBB18_1347
.LBB18_1226:
	s_mov_b32 s13, 0
	s_mov_b32 s0, 0
                                        ; implicit-def: $vgpr1
	s_cbranch_execnz .LBB18_1264
	s_branch .LBB18_1296
.LBB18_1227:
	s_mov_b32 s14, -1
	s_mov_b32 s13, 0
	s_mov_b32 s0, 0
                                        ; implicit-def: $vgpr1
	s_branch .LBB18_1245
.LBB18_1228:
	s_mov_b32 s14, -1
	s_mov_b32 s13, 0
	s_mov_b32 s0, 0
                                        ; implicit-def: $vgpr1
	s_branch .LBB18_1240
.LBB18_1229:
	s_or_b32 s1, s11, exec_lo
	s_trap 2
	s_cbranch_execz .LBB18_1158
	s_branch .LBB18_1159
.LBB18_1230:
	s_mov_b32 s14, -1
	s_mov_b32 s13, 0
	s_mov_b32 s0, 0
	s_branch .LBB18_1234
.LBB18_1231:
	s_and_not1_saveexec_b32 s19, s19
	s_cbranch_execz .LBB18_1004
.LBB18_1232:
	v_add_f32_e64 v1, 0x42800000, |v0|
	s_and_not1_b32 s18, s18, exec_lo
	s_delay_alu instid0(VALU_DEP_1) | instskip(NEXT) | instid1(VALU_DEP_1)
	v_and_b32_e32 v1, 0xff, v1
	v_cmp_ne_u32_e32 vcc_lo, 0, v1
	s_and_b32 s20, vcc_lo, exec_lo
	s_delay_alu instid0(SALU_CYCLE_1)
	s_or_b32 s18, s18, s20
	s_or_b32 exec_lo, exec_lo, s19
	v_mov_b32_e32 v4, 0
	s_and_saveexec_b32 s19, s18
	s_cbranch_execnz .LBB18_1005
	s_branch .LBB18_1006
.LBB18_1233:
	s_mov_b32 s0, -1
	s_mov_b32 s13, 0
.LBB18_1234:
                                        ; implicit-def: $vgpr1
.LBB18_1235:
	s_and_b32 vcc_lo, exec_lo, s14
	s_cbranch_vccz .LBB18_1239
; %bb.1236:
	s_cmp_eq_u32 s9, 44
	s_cbranch_scc0 .LBB18_1238
; %bb.1237:
	global_load_u8 v1, v[2:3], off
	s_mov_b32 s0, 0
	s_mov_b32 s13, -1
	s_wait_loadcnt 0x0
	v_lshlrev_b32_e32 v5, 23, v1
	v_cmp_ne_u32_e32 vcc_lo, 0xff, v1
	s_delay_alu instid0(VALU_DEP_2) | instskip(SKIP_1) | instid1(VALU_DEP_2)
	v_cndmask_b32_e32 v5, 0x7f800001, v5, vcc_lo
	v_cmp_ne_u32_e32 vcc_lo, 0, v1
	v_cndmask_b32_e32 v1, 0x400000, v5, vcc_lo
	s_branch .LBB18_1239
.LBB18_1238:
	s_mov_b32 s0, -1
                                        ; implicit-def: $vgpr1
.LBB18_1239:
	s_mov_b32 s14, 0
.LBB18_1240:
	s_delay_alu instid0(SALU_CYCLE_1)
	s_and_b32 vcc_lo, exec_lo, s14
	s_cbranch_vccz .LBB18_1244
; %bb.1241:
	s_cmp_eq_u32 s9, 29
	s_cbranch_scc0 .LBB18_1243
; %bb.1242:
	global_load_b64 v[6:7], v[2:3], off
	s_mov_b32 s0, 0
	s_mov_b32 s13, -1
	s_mov_b32 s14, 0
	s_wait_loadcnt 0x0
	v_clz_i32_u32_e32 v1, v7
	s_delay_alu instid0(VALU_DEP_1) | instskip(NEXT) | instid1(VALU_DEP_1)
	v_min_u32_e32 v1, 32, v1
	v_lshlrev_b64_e32 v[6:7], v1, v[6:7]
	v_sub_nc_u32_e32 v1, 32, v1
	s_delay_alu instid0(VALU_DEP_2) | instskip(NEXT) | instid1(VALU_DEP_1)
	v_min_u32_e32 v5, 1, v6
	v_or_b32_e32 v5, v7, v5
	s_delay_alu instid0(VALU_DEP_1) | instskip(NEXT) | instid1(VALU_DEP_1)
	v_cvt_f32_u32_e32 v5, v5
	v_ldexp_f32 v1, v5, v1
	s_branch .LBB18_1245
.LBB18_1243:
	s_mov_b32 s0, -1
                                        ; implicit-def: $vgpr1
.LBB18_1244:
	s_mov_b32 s14, 0
.LBB18_1245:
	s_delay_alu instid0(SALU_CYCLE_1)
	s_and_b32 vcc_lo, exec_lo, s14
	s_cbranch_vccz .LBB18_1263
; %bb.1246:
	s_cmp_lt_i32 s9, 27
	s_cbranch_scc1 .LBB18_1249
; %bb.1247:
	s_cmp_gt_i32 s9, 27
	s_cbranch_scc0 .LBB18_1250
; %bb.1248:
	global_load_b32 v1, v[2:3], off
	s_mov_b32 s13, 0
	s_wait_loadcnt 0x0
	v_cvt_f32_u32_e32 v1, v1
	s_branch .LBB18_1251
.LBB18_1249:
	s_mov_b32 s13, -1
                                        ; implicit-def: $vgpr1
	s_branch .LBB18_1254
.LBB18_1250:
	s_mov_b32 s13, -1
                                        ; implicit-def: $vgpr1
.LBB18_1251:
	s_delay_alu instid0(SALU_CYCLE_1)
	s_and_not1_b32 vcc_lo, exec_lo, s13
	s_cbranch_vccnz .LBB18_1253
; %bb.1252:
	global_load_u16 v1, v[2:3], off
	s_wait_loadcnt 0x0
	v_cvt_f32_u32_e32 v1, v1
.LBB18_1253:
	s_mov_b32 s13, 0
.LBB18_1254:
	s_delay_alu instid0(SALU_CYCLE_1)
	s_and_not1_b32 vcc_lo, exec_lo, s13
	s_cbranch_vccnz .LBB18_1262
; %bb.1255:
	global_load_u8 v5, v[2:3], off
	s_mov_b32 s13, 0
	s_mov_b32 s14, exec_lo
	s_wait_loadcnt 0x0
	v_cmpx_lt_i16_e32 0x7f, v5
	s_xor_b32 s14, exec_lo, s14
	s_cbranch_execz .LBB18_1275
; %bb.1256:
	s_mov_b32 s13, -1
	s_mov_b32 s15, exec_lo
	v_cmpx_eq_u16_e32 0x80, v5
; %bb.1257:
	s_xor_b32 s13, exec_lo, -1
; %bb.1258:
	s_or_b32 exec_lo, exec_lo, s15
	s_delay_alu instid0(SALU_CYCLE_1)
	s_and_b32 s13, s13, exec_lo
	s_or_saveexec_b32 s14, s14
	v_mov_b32_e32 v1, 0x7f800001
	s_xor_b32 exec_lo, exec_lo, s14
	s_cbranch_execnz .LBB18_1276
.LBB18_1259:
	s_or_b32 exec_lo, exec_lo, s14
	s_and_saveexec_b32 s14, s13
	s_cbranch_execz .LBB18_1261
.LBB18_1260:
	v_and_b32_e32 v1, 0xffff, v5
	s_delay_alu instid0(VALU_DEP_1) | instskip(SKIP_1) | instid1(VALU_DEP_2)
	v_and_b32_e32 v6, 7, v1
	v_bfe_u32 v10, v1, 3, 4
	v_clz_i32_u32_e32 v7, v6
	s_delay_alu instid0(VALU_DEP_2) | instskip(NEXT) | instid1(VALU_DEP_2)
	v_cmp_eq_u32_e32 vcc_lo, 0, v10
	v_min_u32_e32 v7, 32, v7
	s_delay_alu instid0(VALU_DEP_1) | instskip(NEXT) | instid1(VALU_DEP_1)
	v_subrev_nc_u32_e32 v9, 28, v7
	v_dual_lshlrev_b32 v1, v9, v1 :: v_dual_sub_nc_u32 v7, 29, v7
	s_delay_alu instid0(VALU_DEP_1) | instskip(NEXT) | instid1(VALU_DEP_2)
	v_and_b32_e32 v1, 7, v1
	v_dual_lshlrev_b32 v5, 24, v5 :: v_dual_cndmask_b32 v7, v10, v7, vcc_lo
	s_delay_alu instid0(VALU_DEP_2) | instskip(NEXT) | instid1(VALU_DEP_2)
	v_cndmask_b32_e32 v1, v6, v1, vcc_lo
	v_and_b32_e32 v5, 0x80000000, v5
	s_delay_alu instid0(VALU_DEP_3) | instskip(NEXT) | instid1(VALU_DEP_3)
	v_lshl_add_u32 v6, v7, 23, 0x3b800000
	v_lshlrev_b32_e32 v1, 20, v1
	s_delay_alu instid0(VALU_DEP_1)
	v_or3_b32 v1, v5, v6, v1
.LBB18_1261:
	s_or_b32 exec_lo, exec_lo, s14
.LBB18_1262:
	s_mov_b32 s13, -1
.LBB18_1263:
	s_branch .LBB18_1296
.LBB18_1264:
	s_cmp_gt_i32 s9, 22
	s_cbranch_scc0 .LBB18_1274
; %bb.1265:
	s_cmp_lt_i32 s9, 24
	s_cbranch_scc1 .LBB18_1277
; %bb.1266:
	s_cmp_gt_i32 s9, 24
	s_cbranch_scc0 .LBB18_1278
; %bb.1267:
	global_load_u8 v5, v[2:3], off
	s_mov_b32 s13, exec_lo
	s_wait_loadcnt 0x0
	v_cmpx_lt_i16_e32 0x7f, v5
	s_xor_b32 s13, exec_lo, s13
	s_cbranch_execz .LBB18_1290
; %bb.1268:
	s_mov_b32 s12, -1
	s_mov_b32 s14, exec_lo
	v_cmpx_eq_u16_e32 0x80, v5
; %bb.1269:
	s_xor_b32 s12, exec_lo, -1
; %bb.1270:
	s_or_b32 exec_lo, exec_lo, s14
	s_delay_alu instid0(SALU_CYCLE_1)
	s_and_b32 s12, s12, exec_lo
	s_or_saveexec_b32 s13, s13
	v_mov_b32_e32 v1, 0x7f800001
	s_xor_b32 exec_lo, exec_lo, s13
	s_cbranch_execnz .LBB18_1291
.LBB18_1271:
	s_or_b32 exec_lo, exec_lo, s13
	s_and_saveexec_b32 s13, s12
	s_cbranch_execz .LBB18_1273
.LBB18_1272:
	v_and_b32_e32 v1, 0xffff, v5
	s_delay_alu instid0(VALU_DEP_1) | instskip(SKIP_1) | instid1(VALU_DEP_2)
	v_and_b32_e32 v6, 3, v1
	v_bfe_u32 v10, v1, 2, 5
	v_clz_i32_u32_e32 v7, v6
	s_delay_alu instid0(VALU_DEP_2) | instskip(NEXT) | instid1(VALU_DEP_2)
	v_cmp_eq_u32_e32 vcc_lo, 0, v10
	v_min_u32_e32 v7, 32, v7
	s_delay_alu instid0(VALU_DEP_1) | instskip(NEXT) | instid1(VALU_DEP_1)
	v_subrev_nc_u32_e32 v9, 29, v7
	v_dual_lshlrev_b32 v1, v9, v1 :: v_dual_sub_nc_u32 v7, 30, v7
	s_delay_alu instid0(VALU_DEP_1) | instskip(NEXT) | instid1(VALU_DEP_2)
	v_and_b32_e32 v1, 3, v1
	v_dual_lshlrev_b32 v5, 24, v5 :: v_dual_cndmask_b32 v7, v10, v7, vcc_lo
	s_delay_alu instid0(VALU_DEP_2) | instskip(NEXT) | instid1(VALU_DEP_2)
	v_cndmask_b32_e32 v1, v6, v1, vcc_lo
	v_and_b32_e32 v5, 0x80000000, v5
	s_delay_alu instid0(VALU_DEP_3) | instskip(NEXT) | instid1(VALU_DEP_3)
	v_lshl_add_u32 v6, v7, 23, 0x37800000
	v_lshlrev_b32_e32 v1, 21, v1
	s_delay_alu instid0(VALU_DEP_1)
	v_or3_b32 v1, v5, v6, v1
.LBB18_1273:
	s_or_b32 exec_lo, exec_lo, s13
	s_mov_b32 s12, 0
	s_branch .LBB18_1279
.LBB18_1274:
	s_mov_b32 s12, -1
                                        ; implicit-def: $vgpr1
	s_branch .LBB18_1285
.LBB18_1275:
	s_or_saveexec_b32 s14, s14
	v_mov_b32_e32 v1, 0x7f800001
	s_xor_b32 exec_lo, exec_lo, s14
	s_cbranch_execz .LBB18_1259
.LBB18_1276:
	v_cmp_ne_u16_e32 vcc_lo, 0, v5
	v_mov_b32_e32 v1, 0
	s_and_not1_b32 s13, s13, exec_lo
	s_and_b32 s15, vcc_lo, exec_lo
	s_delay_alu instid0(SALU_CYCLE_1)
	s_or_b32 s13, s13, s15
	s_or_b32 exec_lo, exec_lo, s14
	s_and_saveexec_b32 s14, s13
	s_cbranch_execnz .LBB18_1260
	s_branch .LBB18_1261
.LBB18_1277:
	s_mov_b32 s12, -1
                                        ; implicit-def: $vgpr1
	s_branch .LBB18_1282
.LBB18_1278:
	s_mov_b32 s12, -1
                                        ; implicit-def: $vgpr1
.LBB18_1279:
	s_delay_alu instid0(SALU_CYCLE_1)
	s_and_b32 vcc_lo, exec_lo, s12
	s_cbranch_vccz .LBB18_1281
; %bb.1280:
	global_load_u8 v1, v[2:3], off
	s_wait_loadcnt 0x0
	v_lshlrev_b32_e32 v1, 24, v1
	s_delay_alu instid0(VALU_DEP_1) | instskip(NEXT) | instid1(VALU_DEP_1)
	v_and_b32_e32 v5, 0x7f000000, v1
	v_clz_i32_u32_e32 v6, v5
	v_add_nc_u32_e32 v9, 0x1000000, v5
	v_cmp_ne_u32_e32 vcc_lo, 0, v5
	s_delay_alu instid0(VALU_DEP_3) | instskip(NEXT) | instid1(VALU_DEP_1)
	v_min_u32_e32 v6, 32, v6
	v_sub_nc_u32_e64 v6, v6, 4 clamp
	s_delay_alu instid0(VALU_DEP_1) | instskip(NEXT) | instid1(VALU_DEP_1)
	v_dual_lshlrev_b32 v7, v6, v5 :: v_dual_lshlrev_b32 v6, 23, v6
	v_lshrrev_b32_e32 v7, 4, v7
	s_delay_alu instid0(VALU_DEP_1) | instskip(NEXT) | instid1(VALU_DEP_1)
	v_dual_sub_nc_u32 v6, v7, v6 :: v_dual_ashrrev_i32 v7, 8, v9
	v_add_nc_u32_e32 v6, 0x3c000000, v6
	s_delay_alu instid0(VALU_DEP_1) | instskip(NEXT) | instid1(VALU_DEP_1)
	v_and_or_b32 v6, 0x7f800000, v7, v6
	v_cndmask_b32_e32 v5, 0, v6, vcc_lo
	s_delay_alu instid0(VALU_DEP_1)
	v_and_or_b32 v1, 0x80000000, v1, v5
.LBB18_1281:
	s_mov_b32 s12, 0
.LBB18_1282:
	s_delay_alu instid0(SALU_CYCLE_1)
	s_and_not1_b32 vcc_lo, exec_lo, s12
	s_cbranch_vccnz .LBB18_1284
; %bb.1283:
	global_load_u8 v1, v[2:3], off
	s_wait_loadcnt 0x0
	v_lshlrev_b32_e32 v5, 25, v1
	v_lshlrev_b16 v1, 8, v1
	s_delay_alu instid0(VALU_DEP_1) | instskip(SKIP_1) | instid1(VALU_DEP_2)
	v_and_or_b32 v7, 0x7f00, v1, 0.5
	v_bfe_i32 v1, v1, 0, 16
	v_dual_add_f32 v7, -0.5, v7 :: v_dual_lshrrev_b32 v6, 4, v5
	v_cmp_gt_u32_e32 vcc_lo, 0x8000000, v5
	s_delay_alu instid0(VALU_DEP_2) | instskip(NEXT) | instid1(VALU_DEP_1)
	v_or_b32_e32 v6, 0x70000000, v6
	v_mul_f32_e32 v6, 0x7800000, v6
	s_delay_alu instid0(VALU_DEP_1) | instskip(NEXT) | instid1(VALU_DEP_1)
	v_cndmask_b32_e32 v5, v6, v7, vcc_lo
	v_and_or_b32 v1, 0x80000000, v1, v5
.LBB18_1284:
	s_mov_b32 s12, 0
	s_mov_b32 s13, -1
.LBB18_1285:
	s_and_not1_b32 vcc_lo, exec_lo, s12
	s_mov_b32 s12, 0
	s_cbranch_vccnz .LBB18_1296
; %bb.1286:
	s_cmp_gt_i32 s9, 14
	s_cbranch_scc0 .LBB18_1289
; %bb.1287:
	s_cmp_eq_u32 s9, 15
	s_cbranch_scc0 .LBB18_1292
; %bb.1288:
	global_load_u16 v1, v[2:3], off
	s_mov_b32 s0, 0
	s_mov_b32 s13, -1
	s_wait_loadcnt 0x0
	v_lshlrev_b32_e32 v1, 16, v1
	s_branch .LBB18_1294
.LBB18_1289:
	s_mov_b32 s12, -1
	s_branch .LBB18_1293
.LBB18_1290:
	s_or_saveexec_b32 s13, s13
	v_mov_b32_e32 v1, 0x7f800001
	s_xor_b32 exec_lo, exec_lo, s13
	s_cbranch_execz .LBB18_1271
.LBB18_1291:
	v_cmp_ne_u16_e32 vcc_lo, 0, v5
	v_mov_b32_e32 v1, 0
	s_and_not1_b32 s12, s12, exec_lo
	s_and_b32 s14, vcc_lo, exec_lo
	s_delay_alu instid0(SALU_CYCLE_1)
	s_or_b32 s12, s12, s14
	s_or_b32 exec_lo, exec_lo, s13
	s_and_saveexec_b32 s13, s12
	s_cbranch_execnz .LBB18_1272
	s_branch .LBB18_1273
.LBB18_1292:
	s_mov_b32 s0, -1
.LBB18_1293:
                                        ; implicit-def: $vgpr1
.LBB18_1294:
	s_and_b32 vcc_lo, exec_lo, s12
	s_mov_b32 s12, 0
	s_cbranch_vccz .LBB18_1296
; %bb.1295:
	s_cmp_lg_u32 s9, 11
	s_mov_b32 s12, -1
	s_cselect_b32 s0, -1, 0
.LBB18_1296:
	s_delay_alu instid0(SALU_CYCLE_1)
	s_and_b32 vcc_lo, exec_lo, s0
	s_cbranch_vccnz .LBB18_1371
; %bb.1297:
	s_and_not1_b32 vcc_lo, exec_lo, s12
	s_cbranch_vccnz .LBB18_1299
.LBB18_1298:
	global_load_u8 v1, v[2:3], off
	s_mov_b32 s13, -1
	s_wait_loadcnt 0x0
	v_cmp_ne_u16_e32 vcc_lo, 0, v1
	v_cndmask_b32_e64 v1, 0, 1.0, vcc_lo
.LBB18_1299:
	s_branch .LBB18_1225
.LBB18_1300:
	s_cmp_lt_i32 s9, 5
	s_cbranch_scc1 .LBB18_1305
; %bb.1301:
	s_cmp_lt_i32 s9, 8
	s_cbranch_scc1 .LBB18_1306
; %bb.1302:
	;; [unrolled: 3-line block ×3, first 2 shown]
	s_cmp_gt_i32 s9, 9
	s_cbranch_scc0 .LBB18_1308
; %bb.1304:
	global_load_b64 v[6:7], v[2:3], off
	s_mov_b32 s0, 0
	s_wait_loadcnt 0x0
	v_cvt_f32_f64_e32 v1, v[6:7]
	s_branch .LBB18_1309
.LBB18_1305:
                                        ; implicit-def: $vgpr1
	s_branch .LBB18_1327
.LBB18_1306:
	s_mov_b32 s0, -1
                                        ; implicit-def: $vgpr1
	s_branch .LBB18_1315
.LBB18_1307:
	s_mov_b32 s0, -1
                                        ; implicit-def: $vgpr1
	s_branch .LBB18_1312
.LBB18_1308:
	s_mov_b32 s0, -1
                                        ; implicit-def: $vgpr1
.LBB18_1309:
	s_delay_alu instid0(SALU_CYCLE_1)
	s_and_not1_b32 vcc_lo, exec_lo, s0
	s_cbranch_vccnz .LBB18_1311
; %bb.1310:
	global_load_b32 v1, v[2:3], off
.LBB18_1311:
	s_mov_b32 s0, 0
.LBB18_1312:
	s_delay_alu instid0(SALU_CYCLE_1)
	s_and_not1_b32 vcc_lo, exec_lo, s0
	s_cbranch_vccnz .LBB18_1314
; %bb.1313:
	s_wait_loadcnt 0x0
	global_load_b32 v1, v[2:3], off
	s_wait_loadcnt 0x0
	v_cvt_f32_f16_e32 v1, v1
.LBB18_1314:
	s_mov_b32 s0, 0
.LBB18_1315:
	s_delay_alu instid0(SALU_CYCLE_1)
	s_and_not1_b32 vcc_lo, exec_lo, s0
	s_cbranch_vccnz .LBB18_1326
; %bb.1316:
	s_cmp_lt_i32 s9, 6
	s_cbranch_scc1 .LBB18_1319
; %bb.1317:
	s_cmp_gt_i32 s9, 6
	s_cbranch_scc0 .LBB18_1320
; %bb.1318:
	global_load_b64 v[6:7], v[2:3], off
	s_mov_b32 s0, 0
	s_wait_loadcnt 0x0
	v_cvt_f32_f64_e32 v1, v[6:7]
	s_branch .LBB18_1321
.LBB18_1319:
	s_mov_b32 s0, -1
                                        ; implicit-def: $vgpr1
	s_branch .LBB18_1324
.LBB18_1320:
	s_mov_b32 s0, -1
                                        ; implicit-def: $vgpr1
.LBB18_1321:
	s_delay_alu instid0(SALU_CYCLE_1)
	s_and_not1_b32 vcc_lo, exec_lo, s0
	s_cbranch_vccnz .LBB18_1323
; %bb.1322:
	s_wait_loadcnt 0x0
	global_load_b32 v1, v[2:3], off
.LBB18_1323:
	s_mov_b32 s0, 0
.LBB18_1324:
	s_delay_alu instid0(SALU_CYCLE_1)
	s_and_not1_b32 vcc_lo, exec_lo, s0
	s_cbranch_vccnz .LBB18_1326
; %bb.1325:
	s_wait_loadcnt 0x0
	global_load_u16 v1, v[2:3], off
	s_wait_loadcnt 0x0
	v_cvt_f32_f16_e32 v1, v1
.LBB18_1326:
	s_cbranch_execnz .LBB18_1346
.LBB18_1327:
	s_cmp_lt_i32 s9, 2
	s_cbranch_scc1 .LBB18_1331
; %bb.1328:
	s_cmp_lt_i32 s9, 3
	s_cbranch_scc1 .LBB18_1332
; %bb.1329:
	s_cmp_gt_i32 s9, 3
	s_cbranch_scc0 .LBB18_1333
; %bb.1330:
	global_load_b64 v[6:7], v[2:3], off
	s_mov_b32 s0, 0
	s_wait_loadcnt 0x0
	v_xor_b32_e32 v1, v6, v7
	v_cls_i32_e32 v5, v7
	s_delay_alu instid0(VALU_DEP_2) | instskip(NEXT) | instid1(VALU_DEP_1)
	v_ashrrev_i32_e32 v1, 31, v1
	v_add_nc_u32_e32 v1, 32, v1
	s_delay_alu instid0(VALU_DEP_1) | instskip(NEXT) | instid1(VALU_DEP_1)
	v_add_min_u32_e64 v1, v5, -1, v1
	v_lshlrev_b64_e32 v[6:7], v1, v[6:7]
	v_sub_nc_u32_e32 v1, 32, v1
	s_delay_alu instid0(VALU_DEP_2) | instskip(NEXT) | instid1(VALU_DEP_1)
	v_min_u32_e32 v5, 1, v6
	v_or_b32_e32 v5, v7, v5
	s_delay_alu instid0(VALU_DEP_1) | instskip(NEXT) | instid1(VALU_DEP_1)
	v_cvt_f32_i32_e32 v5, v5
	v_ldexp_f32 v1, v5, v1
	s_branch .LBB18_1334
.LBB18_1331:
	s_mov_b32 s0, -1
                                        ; implicit-def: $vgpr1
	s_branch .LBB18_1340
.LBB18_1332:
	s_mov_b32 s0, -1
                                        ; implicit-def: $vgpr1
	s_branch .LBB18_1337
.LBB18_1333:
	s_mov_b32 s0, -1
                                        ; implicit-def: $vgpr1
.LBB18_1334:
	s_delay_alu instid0(SALU_CYCLE_1)
	s_and_not1_b32 vcc_lo, exec_lo, s0
	s_cbranch_vccnz .LBB18_1336
; %bb.1335:
	s_wait_loadcnt 0x0
	global_load_b32 v1, v[2:3], off
	s_wait_loadcnt 0x0
	v_cvt_f32_i32_e32 v1, v1
.LBB18_1336:
	s_mov_b32 s0, 0
.LBB18_1337:
	s_delay_alu instid0(SALU_CYCLE_1)
	s_and_not1_b32 vcc_lo, exec_lo, s0
	s_cbranch_vccnz .LBB18_1339
; %bb.1338:
	s_wait_loadcnt 0x0
	global_load_i16 v1, v[2:3], off
	s_wait_loadcnt 0x0
	v_cvt_f32_i32_e32 v1, v1
.LBB18_1339:
	s_mov_b32 s0, 0
.LBB18_1340:
	s_delay_alu instid0(SALU_CYCLE_1)
	s_and_not1_b32 vcc_lo, exec_lo, s0
	s_cbranch_vccnz .LBB18_1346
; %bb.1341:
	s_cmp_gt_i32 s9, 0
	s_mov_b32 s0, 0
	s_cbranch_scc0 .LBB18_1343
; %bb.1342:
	s_wait_loadcnt 0x0
	global_load_i8 v1, v[2:3], off
	s_wait_loadcnt 0x0
	v_cvt_f32_i32_e32 v1, v1
	s_branch .LBB18_1344
.LBB18_1343:
	s_mov_b32 s0, -1
                                        ; implicit-def: $vgpr1
.LBB18_1344:
	s_delay_alu instid0(SALU_CYCLE_1)
	s_and_not1_b32 vcc_lo, exec_lo, s0
	s_cbranch_vccnz .LBB18_1346
; %bb.1345:
	s_wait_loadcnt 0x0
	global_load_u8 v1, v[2:3], off
	s_wait_loadcnt 0x0
	v_cvt_f32_ubyte0_e32 v1, v1
.LBB18_1346:
.LBB18_1347:
	s_wait_loadcnt 0x0
	s_delay_alu instid0(VALU_DEP_1)
	v_mul_f32_e64 v3, 0x3fb8aa3b, |v1|
	s_mov_b32 s12, exec_lo
                                        ; implicit-def: $vgpr2
	v_cmpx_ge_f32_e64 0x41000000, |v1|
	s_xor_b32 s12, exec_lo, s12
	s_cbranch_execz .LBB18_1353
; %bb.1348:
	v_fma_f32 v2, |v1|, 0.5, -2.0
	s_mov_b32 s0, 0x224cf950
	v_rndne_f32_e32 v7, v3
	v_fma_f32 v9, 0x3fb8aa3b, |v1|, -v3
	v_cmp_ngt_f32_e64 vcc_lo, 0xc2ce8ed0, |v1|
	v_fmaak_f32 v5, s0, v2, 0xa3c2be86
	v_cmp_nlt_f32_e64 s0, 0x42b17218, |v1|
	v_sub_f32_e32 v3, v3, v7
	v_fma_f32 v9, 0x32a5705f, |v1|, v9
	s_delay_alu instid0(VALU_DEP_4) | instskip(NEXT) | instid1(VALU_DEP_1)
	v_fmaak_f32 v6, v2, v5, 0xa24cf950
	v_dual_add_f32 v3, v3, v9 :: v_dual_add_f32 v6, 0x25331f1f, v6
	s_delay_alu instid0(VALU_DEP_1) | instskip(NEXT) | instid1(VALU_DEP_1)
	v_exp_f32_e32 v3, v3
	v_fma_f32 v5, v2, v6, -v5
	s_delay_alu instid0(VALU_DEP_1) | instskip(NEXT) | instid1(VALU_DEP_1)
	v_add_f32_e32 v5, 0xa69f5554, v5
	v_fma_f32 v6, v2, v5, -v6
	s_delay_alu instid0(VALU_DEP_1) | instskip(NEXT) | instid1(VALU_DEP_1)
	v_add_f32_e32 v6, 0x2808ebf8, v6
	v_fma_f32 v5, v2, v6, -v5
	s_delay_alu instid0(VALU_DEP_1) | instskip(NEXT) | instid1(VALU_DEP_1)
	v_add_f32_e32 v5, 0xa9631471, v5
	v_fma_f32 v6, v2, v5, -v6
	s_delay_alu instid0(VALU_DEP_1) | instskip(NEXT) | instid1(VALU_DEP_1)
	v_add_f32_e32 v6, 0x2ab57bc2, v6
	v_fma_f32 v5, v2, v6, -v5
	s_delay_alu instid0(VALU_DEP_1) | instskip(NEXT) | instid1(VALU_DEP_1)
	v_add_f32_e32 v5, 0xac0b9c1b, v5
	v_fma_f32 v6, v2, v5, -v6
	s_delay_alu instid0(VALU_DEP_1) | instskip(NEXT) | instid1(VALU_DEP_1)
	v_add_f32_e32 v6, 0x2d4e7716, v6
	v_fma_f32 v5, v2, v6, -v5
	s_delay_alu instid0(VALU_DEP_1) | instskip(NEXT) | instid1(VALU_DEP_1)
	v_add_f32_e32 v5, 0xae92881d, v5
	v_fma_f32 v6, v2, v5, -v6
	s_delay_alu instid0(VALU_DEP_1) | instskip(NEXT) | instid1(VALU_DEP_1)
	v_add_f32_e32 v6, 0x2fc751a6, v6
	v_fma_f32 v5, v2, v6, -v5
	s_delay_alu instid0(VALU_DEP_1) | instskip(NEXT) | instid1(VALU_DEP_1)
	v_add_f32_e32 v5, 0xb101b0d9, v5
	v_fma_f32 v6, v2, v5, -v6
	s_delay_alu instid0(VALU_DEP_1) | instskip(NEXT) | instid1(VALU_DEP_1)
	v_add_f32_e32 v6, 0x32212c70, v6
	v_fma_f32 v5, v2, v6, -v5
	s_delay_alu instid0(VALU_DEP_1) | instskip(NEXT) | instid1(VALU_DEP_1)
	v_add_f32_e32 v5, 0xb33ee9f1, v5
	v_fma_f32 v6, v2, v5, -v6
	s_delay_alu instid0(VALU_DEP_1) | instskip(NEXT) | instid1(VALU_DEP_1)
	v_add_f32_e32 v6, 0x34571a26, v6
	v_fma_f32 v5, v2, v6, -v5
	s_delay_alu instid0(VALU_DEP_1) | instskip(NEXT) | instid1(VALU_DEP_1)
	v_add_f32_e32 v5, 0xb56603cc, v5
	v_fma_f32 v6, v2, v5, -v6
	s_delay_alu instid0(VALU_DEP_1) | instskip(NEXT) | instid1(VALU_DEP_1)
	v_add_f32_e32 v6, 0x3668e277, v6
	v_fma_f32 v5, v2, v6, -v5
	s_delay_alu instid0(VALU_DEP_1) | instskip(NEXT) | instid1(VALU_DEP_1)
	v_add_f32_e32 v5, 0xb75eafce, v5
	v_fma_f32 v6, v2, v5, -v6
	s_delay_alu instid0(VALU_DEP_1) | instskip(NEXT) | instid1(VALU_DEP_1)
	v_add_f32_e32 v6, 0x38488daa, v6
	v_fma_f32 v5, v2, v6, -v5
	s_delay_alu instid0(VALU_DEP_1) | instskip(NEXT) | instid1(VALU_DEP_1)
	v_add_f32_e32 v5, 0xb9299e57, v5
	v_fma_f32 v6, v2, v5, -v6
	s_delay_alu instid0(VALU_DEP_1) | instskip(NEXT) | instid1(VALU_DEP_1)
	v_add_f32_e32 v6, 0x3a064aee, v6
	v_fma_f32 v5, v2, v6, -v5
	s_delay_alu instid0(VALU_DEP_1) | instskip(NEXT) | instid1(VALU_DEP_1)
	v_add_f32_e32 v5, 0xbac66310, v5
	v_fma_f32 v6, v2, v5, -v6
	s_delay_alu instid0(VALU_DEP_1) | instskip(NEXT) | instid1(VALU_DEP_1)
	v_add_f32_e32 v6, 0x3b88329a, v6
	v_fma_f32 v5, v2, v6, -v5
	s_delay_alu instid0(VALU_DEP_1) | instskip(NEXT) | instid1(VALU_DEP_1)
	v_add_f32_e32 v5, 0xbc2d14fc, v5
	v_fma_f32 v6, v2, v5, -v6
	s_delay_alu instid0(VALU_DEP_1) | instskip(NEXT) | instid1(VALU_DEP_1)
	v_add_f32_e32 v6, 0x3cca8f1f, v6
	v_fma_f32 v5, v2, v6, -v5
	s_delay_alu instid0(VALU_DEP_1) | instskip(NEXT) | instid1(VALU_DEP_1)
	v_add_f32_e32 v5, 0xbd58dde3, v5
	v_fma_f32 v6, v2, v5, -v6
	s_delay_alu instid0(VALU_DEP_1) | instskip(NEXT) | instid1(VALU_DEP_1)
	v_add_f32_e32 v6, 0x3dd236d7, v6
	v_fma_f32 v5, v2, v6, -v5
	s_delay_alu instid0(VALU_DEP_1) | instskip(NEXT) | instid1(VALU_DEP_1)
	v_add_f32_e32 v5, 0xbe34a688, v5
	v_fma_f32 v2, v2, v5, -v6
	v_cvt_i32_f32_e32 v5, v7
	s_delay_alu instid0(VALU_DEP_2) | instskip(NEXT) | instid1(VALU_DEP_2)
	v_add_f32_e32 v2, 0x3e81531c, v2
	v_ldexp_f32 v3, v3, v5
	s_delay_alu instid0(VALU_DEP_1) | instskip(SKIP_1) | instid1(VALU_DEP_2)
	v_dual_sub_f32 v2, v2, v6 :: v_dual_cndmask_b32 v5, 0, v3
	v_cmp_ngt_f32_e32 vcc_lo, 0, v1
	v_mul_f32_e32 v2, 0.5, v2
	s_delay_alu instid0(VALU_DEP_1) | instskip(NEXT) | instid1(VALU_DEP_4)
	v_mul_f32_e64 v3, |v1|, v2
	v_cndmask_b32_e64 v1, 0x7f800000, v5, s0
                                        ; implicit-def: $vgpr2
	s_and_saveexec_b32 s0, vcc_lo
	s_delay_alu instid0(SALU_CYCLE_1)
	s_xor_b32 s0, exec_lo, s0
; %bb.1349:
	s_delay_alu instid0(VALU_DEP_1)
	v_mul_f32_e32 v2, v1, v3
                                        ; implicit-def: $vgpr1
                                        ; implicit-def: $vgpr3
; %bb.1350:
	s_and_not1_saveexec_b32 s0, s0
; %bb.1351:
	v_mul_f32_e64 v2, v3, -v1
; %bb.1352:
	s_or_b32 exec_lo, exec_lo, s0
                                        ; implicit-def: $vgpr1
                                        ; implicit-def: $vgpr3
.LBB18_1353:
	s_and_not1_saveexec_b32 s12, s12
	s_cbranch_execz .LBB18_1359
; %bb.1354:
	v_and_b32_e32 v2, 0x7fffffff, v1
	s_mov_b32 s0, 0x230aab6e
	s_delay_alu instid0(VALU_DEP_1) | instskip(SKIP_1) | instid1(VALU_DEP_2)
	v_div_scale_f32 v5, null, v2, v2, 0x42000000
	v_div_scale_f32 v2, vcc_lo, 0x42000000, v2, 0x42000000
	v_rcp_f32_e32 v6, v5
	v_nop
	s_delay_alu instid0(TRANS32_DEP_1) | instskip(NEXT) | instid1(VALU_DEP_1)
	v_fma_f32 v7, -v5, v6, 1.0
	v_fmac_f32_e32 v6, v7, v6
	s_delay_alu instid0(VALU_DEP_1) | instskip(NEXT) | instid1(VALU_DEP_1)
	v_mul_f32_e32 v7, v2, v6
	v_fma_f32 v9, -v5, v7, v2
	s_delay_alu instid0(VALU_DEP_1) | instskip(SKIP_1) | instid1(VALU_DEP_2)
	v_fmac_f32_e32 v7, v9, v6
	v_fma_f32 v9, 0x3fb8aa3b, |v1|, -v3
	v_fma_f32 v2, -v5, v7, v2
	s_delay_alu instid0(VALU_DEP_2) | instskip(NEXT) | instid1(VALU_DEP_2)
	v_fma_f32 v9, 0x32a5705f, |v1|, v9
	v_div_fmas_f32 v2, v2, v6, v7
	v_rndne_f32_e32 v7, v3
	v_cmp_ngt_f32_e64 vcc_lo, 0xc2ce8ed0, |v1|
	s_delay_alu instid0(VALU_DEP_3) | instskip(NEXT) | instid1(VALU_DEP_3)
	v_div_fixup_f32 v2, v2, |v1|, 0x42000000
	v_sub_f32_e32 v3, v3, v7
	v_cvt_i32_f32_e32 v7, v7
	s_delay_alu instid0(VALU_DEP_2) | instskip(NEXT) | instid1(VALU_DEP_1)
	v_dual_add_f32 v2, -2.0, v2 :: v_dual_add_f32 v3, v3, v9
	v_fmaak_f32 v5, s0, v2, 0x22a2dc57
	v_cmp_nlt_f32_e64 s0, 0x42b17218, |v1|
	s_delay_alu instid0(VALU_DEP_3) | instskip(NEXT) | instid1(VALU_DEP_2)
	v_exp_f32_e32 v3, v3
	v_fmaak_f32 v6, v2, v5, 0xa30aab6e
	s_delay_alu instid0(TRANS32_DEP_1) | instskip(NEXT) | instid1(VALU_DEP_1)
	v_ldexp_f32 v3, v3, v7
	v_dual_add_f32 v6, 0xa456751e, v6 :: v_dual_cndmask_b32 v3, 0, v3
	s_delay_alu instid0(VALU_DEP_1) | instskip(NEXT) | instid1(VALU_DEP_2)
	v_fma_f32 v5, v2, v6, -v5
	v_cndmask_b32_e64 v3, 0x7f800000, v3, s0
	s_delay_alu instid0(VALU_DEP_2) | instskip(SKIP_1) | instid1(VALU_DEP_1)
	v_add_f32_e32 v5, 0xa4140365, v5
	s_mov_b32 s0, exec_lo
	v_fma_f32 v6, v2, v5, -v6
	s_delay_alu instid0(VALU_DEP_1) | instskip(NEXT) | instid1(VALU_DEP_1)
	v_add_f32_e32 v6, 0x25aac8b0, v6
	v_fma_f32 v5, v2, v6, -v5
	s_delay_alu instid0(VALU_DEP_1) | instskip(NEXT) | instid1(VALU_DEP_1)
	v_add_f32_e32 v5, 0x25beb473, v5
	;; [unrolled: 3-line block ×21, first 2 shown]
	v_sub_f32_e32 v5, v2, v6
	v_mul_f32_e64 v6, 0x4f800000, |v1|
                                        ; implicit-def: $vgpr2
	v_cmpx_ngt_f32_e32 0, v1
	s_xor_b32 s13, exec_lo, s0
	s_cbranch_execz .LBB18_1356
; %bb.1355:
	v_cmp_gt_f32_e64 vcc_lo, 0xf800000, |v1|
	v_mul_f32_e32 v5, 0.5, v5
	s_delay_alu instid0(VALU_DEP_2) | instskip(NEXT) | instid1(VALU_DEP_2)
	v_cndmask_b32_e64 v1, |v1|, v6, vcc_lo
	v_mul_f32_e32 v3, v3, v5
	s_delay_alu instid0(VALU_DEP_2) | instskip(SKIP_1) | instid1(TRANS32_DEP_1)
	v_sqrt_f32_e32 v2, v1
	v_nop
	v_dual_add_nc_u32 v6, -1, v2 :: v_dual_add_nc_u32 v7, 1, v2
	s_delay_alu instid0(VALU_DEP_1) | instskip(NEXT) | instid1(VALU_DEP_1)
	v_dual_fma_f32 v9, -v6, v2, v1 :: v_dual_fma_f32 v10, -v7, v2, v1
	v_cmp_ge_f32_e64 s0, 0, v9
	s_delay_alu instid0(VALU_DEP_1) | instskip(NEXT) | instid1(VALU_DEP_3)
	v_cndmask_b32_e64 v2, v2, v6, s0
	v_cmp_lt_f32_e64 s0, 0, v10
	s_delay_alu instid0(VALU_DEP_1) | instskip(NEXT) | instid1(VALU_DEP_1)
	v_cndmask_b32_e64 v2, v2, v7, s0
	v_mul_f32_e32 v6, 0x37800000, v2
	s_delay_alu instid0(VALU_DEP_1) | instskip(SKIP_1) | instid1(VALU_DEP_2)
	v_cndmask_b32_e32 v2, v2, v6, vcc_lo
	v_cmp_class_f32_e64 vcc_lo, v1, 0x260
	v_cndmask_b32_e32 v1, v2, v1, vcc_lo
	s_delay_alu instid0(VALU_DEP_1) | instskip(NEXT) | instid1(VALU_DEP_1)
	v_div_scale_f32 v2, null, v1, v1, v3
	v_rcp_f32_e32 v5, v2
	v_nop
	s_delay_alu instid0(TRANS32_DEP_1) | instskip(NEXT) | instid1(VALU_DEP_1)
	v_fma_f32 v6, -v2, v5, 1.0
	v_fmac_f32_e32 v5, v6, v5
	v_div_scale_f32 v6, vcc_lo, v3, v1, v3
	s_delay_alu instid0(VALU_DEP_1) | instskip(NEXT) | instid1(VALU_DEP_1)
	v_mul_f32_e32 v7, v6, v5
	v_fma_f32 v9, -v2, v7, v6
	s_delay_alu instid0(VALU_DEP_1) | instskip(NEXT) | instid1(VALU_DEP_1)
	v_fmac_f32_e32 v7, v9, v5
	v_fma_f32 v2, -v2, v7, v6
                                        ; implicit-def: $vgpr6
	s_delay_alu instid0(VALU_DEP_1) | instskip(NEXT) | instid1(VALU_DEP_1)
	v_div_fmas_f32 v2, v2, v5, v7
                                        ; implicit-def: $vgpr5
	v_div_fixup_f32 v2, v2, v1, v3
                                        ; implicit-def: $vgpr1
                                        ; implicit-def: $vgpr3
.LBB18_1356:
	s_and_not1_saveexec_b32 s13, s13
	s_cbranch_execz .LBB18_1358
; %bb.1357:
	v_cmp_gt_f32_e64 vcc_lo, 0xf800000, |v1|
	v_mul_f32_e32 v5, -0.5, v5
	s_delay_alu instid0(VALU_DEP_2) | instskip(NEXT) | instid1(VALU_DEP_2)
	v_cndmask_b32_e64 v1, |v1|, v6, vcc_lo
	v_mul_f32_e32 v3, v3, v5
	s_delay_alu instid0(VALU_DEP_2) | instskip(SKIP_1) | instid1(TRANS32_DEP_1)
	v_sqrt_f32_e32 v2, v1
	v_nop
	v_dual_add_nc_u32 v6, -1, v2 :: v_dual_add_nc_u32 v7, 1, v2
	s_delay_alu instid0(VALU_DEP_1) | instskip(NEXT) | instid1(VALU_DEP_1)
	v_dual_fma_f32 v9, -v6, v2, v1 :: v_dual_fma_f32 v10, -v7, v2, v1
	v_cmp_ge_f32_e64 s0, 0, v9
	s_delay_alu instid0(VALU_DEP_1) | instskip(NEXT) | instid1(VALU_DEP_3)
	v_cndmask_b32_e64 v2, v2, v6, s0
	v_cmp_lt_f32_e64 s0, 0, v10
	s_delay_alu instid0(VALU_DEP_1) | instskip(NEXT) | instid1(VALU_DEP_1)
	v_cndmask_b32_e64 v2, v2, v7, s0
	v_mul_f32_e32 v6, 0x37800000, v2
	s_delay_alu instid0(VALU_DEP_1) | instskip(SKIP_1) | instid1(VALU_DEP_2)
	v_cndmask_b32_e32 v2, v2, v6, vcc_lo
	v_cmp_class_f32_e64 vcc_lo, v1, 0x260
	v_cndmask_b32_e32 v1, v2, v1, vcc_lo
	s_delay_alu instid0(VALU_DEP_1) | instskip(NEXT) | instid1(VALU_DEP_1)
	v_div_scale_f32 v2, null, v1, v1, v3
	v_rcp_f32_e32 v5, v2
	v_nop
	s_delay_alu instid0(TRANS32_DEP_1) | instskip(NEXT) | instid1(VALU_DEP_1)
	v_fma_f32 v6, -v2, v5, 1.0
	v_fmac_f32_e32 v5, v6, v5
	v_div_scale_f32 v6, vcc_lo, v3, v1, v3
	s_delay_alu instid0(VALU_DEP_1) | instskip(NEXT) | instid1(VALU_DEP_1)
	v_mul_f32_e32 v7, v6, v5
	v_fma_f32 v9, -v2, v7, v6
	s_delay_alu instid0(VALU_DEP_1) | instskip(NEXT) | instid1(VALU_DEP_1)
	v_fmac_f32_e32 v7, v9, v5
	v_fma_f32 v2, -v2, v7, v6
	s_delay_alu instid0(VALU_DEP_1) | instskip(NEXT) | instid1(VALU_DEP_1)
	v_div_fmas_f32 v2, v2, v5, v7
	v_div_fixup_f32 v2, v2, v1, v3
.LBB18_1358:
	s_or_b32 exec_lo, exec_lo, s13
.LBB18_1359:
	s_delay_alu instid0(SALU_CYCLE_1) | instskip(SKIP_2) | instid1(VALU_DEP_1)
	s_or_b32 exec_lo, exec_lo, s12
	v_add_nc_u32_e32 v6, s3, v4
	s_cmp_lt_i32 s9, 11
	v_ashrrev_i32_e32 v7, 31, v6
	s_delay_alu instid0(VALU_DEP_1)
	v_add_nc_u64_e32 v[4:5], s[6:7], v[6:7]
	s_cbranch_scc1 .LBB18_1366
; %bb.1360:
	s_cmp_gt_i32 s9, 25
	s_mov_b32 s12, 0
	s_cbranch_scc0 .LBB18_1368
; %bb.1361:
	s_cmp_gt_i32 s9, 28
	s_cbranch_scc0 .LBB18_1369
; %bb.1362:
	s_cmp_gt_i32 s9, 43
	;; [unrolled: 3-line block ×3, first 2 shown]
	s_cbranch_scc0 .LBB18_1372
; %bb.1364:
	s_cmp_eq_u32 s9, 46
	s_mov_b32 s14, 0
	s_cbranch_scc0 .LBB18_1373
; %bb.1365:
	global_load_b32 v1, v[4:5], off
	s_mov_b32 s0, 0
	s_mov_b32 s13, -1
	s_wait_loadcnt 0x0
	v_lshlrev_b32_e32 v1, 16, v1
	s_branch .LBB18_1375
.LBB18_1366:
	s_mov_b32 s13, 0
                                        ; implicit-def: $vgpr1
	s_cbranch_execnz .LBB18_1441
.LBB18_1367:
	s_and_not1_b32 vcc_lo, exec_lo, s13
	s_cbranch_vccnz .LBB18_1722
	s_branch .LBB18_1489
.LBB18_1368:
	s_mov_b32 s14, -1
	s_mov_b32 s13, 0
	s_mov_b32 s0, 0
                                        ; implicit-def: $vgpr1
	s_branch .LBB18_1404
.LBB18_1369:
	s_mov_b32 s14, -1
	s_mov_b32 s13, 0
	s_mov_b32 s0, 0
                                        ; implicit-def: $vgpr1
	s_branch .LBB18_1385
.LBB18_1370:
	s_mov_b32 s14, -1
	s_mov_b32 s13, 0
	s_mov_b32 s0, 0
                                        ; implicit-def: $vgpr1
	s_branch .LBB18_1380
.LBB18_1371:
	s_or_b32 s1, s1, exec_lo
	s_trap 2
	s_cbranch_execz .LBB18_1298
	s_branch .LBB18_1299
.LBB18_1372:
	s_mov_b32 s14, -1
	s_mov_b32 s13, 0
	s_mov_b32 s0, 0
	s_branch .LBB18_1374
.LBB18_1373:
	s_mov_b32 s0, -1
	s_mov_b32 s13, 0
.LBB18_1374:
                                        ; implicit-def: $vgpr1
.LBB18_1375:
	s_and_b32 vcc_lo, exec_lo, s14
	s_cbranch_vccz .LBB18_1379
; %bb.1376:
	s_cmp_eq_u32 s9, 44
	s_cbranch_scc0 .LBB18_1378
; %bb.1377:
	global_load_u8 v1, v[4:5], off
	s_mov_b32 s0, 0
	s_mov_b32 s13, -1
	s_wait_loadcnt 0x0
	v_lshlrev_b32_e32 v3, 23, v1
	v_cmp_ne_u32_e32 vcc_lo, 0xff, v1
	s_delay_alu instid0(VALU_DEP_2) | instskip(SKIP_1) | instid1(VALU_DEP_2)
	v_cndmask_b32_e32 v3, 0x7f800001, v3, vcc_lo
	v_cmp_ne_u32_e32 vcc_lo, 0, v1
	v_cndmask_b32_e32 v1, 0x400000, v3, vcc_lo
	s_branch .LBB18_1379
.LBB18_1378:
	s_mov_b32 s0, -1
                                        ; implicit-def: $vgpr1
.LBB18_1379:
	s_mov_b32 s14, 0
.LBB18_1380:
	s_delay_alu instid0(SALU_CYCLE_1)
	s_and_b32 vcc_lo, exec_lo, s14
	s_cbranch_vccz .LBB18_1384
; %bb.1381:
	s_cmp_eq_u32 s9, 29
	s_cbranch_scc0 .LBB18_1383
; %bb.1382:
	global_load_b64 v[10:11], v[4:5], off
	s_mov_b32 s0, 0
	s_mov_b32 s13, -1
	s_mov_b32 s14, 0
	s_wait_loadcnt 0x0
	v_clz_i32_u32_e32 v1, v11
	s_delay_alu instid0(VALU_DEP_1) | instskip(NEXT) | instid1(VALU_DEP_1)
	v_min_u32_e32 v1, 32, v1
	v_lshlrev_b64_e32 v[10:11], v1, v[10:11]
	v_sub_nc_u32_e32 v1, 32, v1
	s_delay_alu instid0(VALU_DEP_2) | instskip(NEXT) | instid1(VALU_DEP_1)
	v_min_u32_e32 v3, 1, v10
	v_or_b32_e32 v3, v11, v3
	s_delay_alu instid0(VALU_DEP_1) | instskip(NEXT) | instid1(VALU_DEP_1)
	v_cvt_f32_u32_e32 v3, v3
	v_ldexp_f32 v1, v3, v1
	s_branch .LBB18_1385
.LBB18_1383:
	s_mov_b32 s0, -1
                                        ; implicit-def: $vgpr1
.LBB18_1384:
	s_mov_b32 s14, 0
.LBB18_1385:
	s_delay_alu instid0(SALU_CYCLE_1)
	s_and_b32 vcc_lo, exec_lo, s14
	s_cbranch_vccz .LBB18_1403
; %bb.1386:
	s_cmp_lt_i32 s9, 27
	s_cbranch_scc1 .LBB18_1389
; %bb.1387:
	s_cmp_gt_i32 s9, 27
	s_cbranch_scc0 .LBB18_1390
; %bb.1388:
	global_load_b32 v1, v[4:5], off
	s_mov_b32 s13, 0
	s_wait_loadcnt 0x0
	v_cvt_f32_u32_e32 v1, v1
	s_branch .LBB18_1391
.LBB18_1389:
	s_mov_b32 s13, -1
                                        ; implicit-def: $vgpr1
	s_branch .LBB18_1394
.LBB18_1390:
	s_mov_b32 s13, -1
                                        ; implicit-def: $vgpr1
.LBB18_1391:
	s_delay_alu instid0(SALU_CYCLE_1)
	s_and_not1_b32 vcc_lo, exec_lo, s13
	s_cbranch_vccnz .LBB18_1393
; %bb.1392:
	global_load_u16 v1, v[4:5], off
	s_wait_loadcnt 0x0
	v_cvt_f32_u32_e32 v1, v1
.LBB18_1393:
	s_mov_b32 s13, 0
.LBB18_1394:
	s_delay_alu instid0(SALU_CYCLE_1)
	s_and_not1_b32 vcc_lo, exec_lo, s13
	s_cbranch_vccnz .LBB18_1402
; %bb.1395:
	global_load_u8 v3, v[4:5], off
	s_mov_b32 s13, 0
	s_mov_b32 s14, exec_lo
	s_wait_loadcnt 0x0
	v_cmpx_lt_i16_e32 0x7f, v3
	s_xor_b32 s14, exec_lo, s14
	s_cbranch_execz .LBB18_1416
; %bb.1396:
	s_mov_b32 s13, -1
	s_mov_b32 s15, exec_lo
	v_cmpx_eq_u16_e32 0x80, v3
; %bb.1397:
	s_xor_b32 s13, exec_lo, -1
; %bb.1398:
	s_or_b32 exec_lo, exec_lo, s15
	s_delay_alu instid0(SALU_CYCLE_1)
	s_and_b32 s13, s13, exec_lo
	s_or_saveexec_b32 s14, s14
	v_mov_b32_e32 v1, 0x7f800001
	s_xor_b32 exec_lo, exec_lo, s14
	s_cbranch_execnz .LBB18_1417
.LBB18_1399:
	s_or_b32 exec_lo, exec_lo, s14
	s_and_saveexec_b32 s14, s13
	s_cbranch_execz .LBB18_1401
.LBB18_1400:
	v_and_b32_e32 v1, 0xffff, v3
	s_delay_alu instid0(VALU_DEP_1) | instskip(SKIP_1) | instid1(VALU_DEP_2)
	v_dual_lshlrev_b32 v3, 24, v3 :: v_dual_bitop2_b32 v7, 7, v1 bitop3:0x40
	v_bfe_u32 v11, v1, 3, 4
	v_and_b32_e32 v3, 0x80000000, v3
	s_delay_alu instid0(VALU_DEP_3) | instskip(NEXT) | instid1(VALU_DEP_3)
	v_clz_i32_u32_e32 v9, v7
	v_cmp_eq_u32_e32 vcc_lo, 0, v11
	s_delay_alu instid0(VALU_DEP_2) | instskip(NEXT) | instid1(VALU_DEP_1)
	v_min_u32_e32 v9, 32, v9
	v_subrev_nc_u32_e32 v10, 28, v9
	v_sub_nc_u32_e32 v9, 29, v9
	s_delay_alu instid0(VALU_DEP_2) | instskip(NEXT) | instid1(VALU_DEP_2)
	v_lshlrev_b32_e32 v1, v10, v1
	v_cndmask_b32_e32 v9, v11, v9, vcc_lo
	s_delay_alu instid0(VALU_DEP_2) | instskip(NEXT) | instid1(VALU_DEP_1)
	v_and_b32_e32 v1, 7, v1
	v_cndmask_b32_e32 v1, v7, v1, vcc_lo
	s_delay_alu instid0(VALU_DEP_3) | instskip(NEXT) | instid1(VALU_DEP_2)
	v_lshl_add_u32 v7, v9, 23, 0x3b800000
	v_lshlrev_b32_e32 v1, 20, v1
	s_delay_alu instid0(VALU_DEP_1)
	v_or3_b32 v1, v3, v7, v1
.LBB18_1401:
	s_or_b32 exec_lo, exec_lo, s14
.LBB18_1402:
	s_mov_b32 s13, -1
.LBB18_1403:
	s_mov_b32 s14, 0
.LBB18_1404:
	s_delay_alu instid0(SALU_CYCLE_1)
	s_and_b32 vcc_lo, exec_lo, s14
	s_cbranch_vccz .LBB18_1437
; %bb.1405:
	s_cmp_gt_i32 s9, 22
	s_cbranch_scc0 .LBB18_1415
; %bb.1406:
	s_cmp_lt_i32 s9, 24
	s_cbranch_scc1 .LBB18_1418
; %bb.1407:
	s_cmp_gt_i32 s9, 24
	s_cbranch_scc0 .LBB18_1419
; %bb.1408:
	global_load_u8 v3, v[4:5], off
	s_mov_b32 s13, exec_lo
	s_wait_loadcnt 0x0
	v_cmpx_lt_i16_e32 0x7f, v3
	s_xor_b32 s13, exec_lo, s13
	s_cbranch_execz .LBB18_1431
; %bb.1409:
	s_mov_b32 s12, -1
	s_mov_b32 s14, exec_lo
	v_cmpx_eq_u16_e32 0x80, v3
; %bb.1410:
	s_xor_b32 s12, exec_lo, -1
; %bb.1411:
	s_or_b32 exec_lo, exec_lo, s14
	s_delay_alu instid0(SALU_CYCLE_1)
	s_and_b32 s12, s12, exec_lo
	s_or_saveexec_b32 s13, s13
	v_mov_b32_e32 v1, 0x7f800001
	s_xor_b32 exec_lo, exec_lo, s13
	s_cbranch_execnz .LBB18_1432
.LBB18_1412:
	s_or_b32 exec_lo, exec_lo, s13
	s_and_saveexec_b32 s13, s12
	s_cbranch_execz .LBB18_1414
.LBB18_1413:
	v_and_b32_e32 v1, 0xffff, v3
	s_delay_alu instid0(VALU_DEP_1) | instskip(SKIP_1) | instid1(VALU_DEP_2)
	v_dual_lshlrev_b32 v3, 24, v3 :: v_dual_bitop2_b32 v7, 3, v1 bitop3:0x40
	v_bfe_u32 v11, v1, 2, 5
	v_and_b32_e32 v3, 0x80000000, v3
	s_delay_alu instid0(VALU_DEP_3) | instskip(NEXT) | instid1(VALU_DEP_3)
	v_clz_i32_u32_e32 v9, v7
	v_cmp_eq_u32_e32 vcc_lo, 0, v11
	s_delay_alu instid0(VALU_DEP_2) | instskip(NEXT) | instid1(VALU_DEP_1)
	v_min_u32_e32 v9, 32, v9
	v_subrev_nc_u32_e32 v10, 29, v9
	v_sub_nc_u32_e32 v9, 30, v9
	s_delay_alu instid0(VALU_DEP_2) | instskip(NEXT) | instid1(VALU_DEP_2)
	v_lshlrev_b32_e32 v1, v10, v1
	v_cndmask_b32_e32 v9, v11, v9, vcc_lo
	s_delay_alu instid0(VALU_DEP_2) | instskip(NEXT) | instid1(VALU_DEP_1)
	v_and_b32_e32 v1, 3, v1
	v_cndmask_b32_e32 v1, v7, v1, vcc_lo
	s_delay_alu instid0(VALU_DEP_3) | instskip(NEXT) | instid1(VALU_DEP_2)
	v_lshl_add_u32 v7, v9, 23, 0x37800000
	v_lshlrev_b32_e32 v1, 21, v1
	s_delay_alu instid0(VALU_DEP_1)
	v_or3_b32 v1, v3, v7, v1
.LBB18_1414:
	s_or_b32 exec_lo, exec_lo, s13
	s_mov_b32 s12, 0
	s_branch .LBB18_1420
.LBB18_1415:
	s_mov_b32 s12, -1
                                        ; implicit-def: $vgpr1
	s_branch .LBB18_1426
.LBB18_1416:
	s_or_saveexec_b32 s14, s14
	v_mov_b32_e32 v1, 0x7f800001
	s_xor_b32 exec_lo, exec_lo, s14
	s_cbranch_execz .LBB18_1399
.LBB18_1417:
	v_cmp_ne_u16_e32 vcc_lo, 0, v3
	v_mov_b32_e32 v1, 0
	s_and_not1_b32 s13, s13, exec_lo
	s_and_b32 s15, vcc_lo, exec_lo
	s_delay_alu instid0(SALU_CYCLE_1)
	s_or_b32 s13, s13, s15
	s_or_b32 exec_lo, exec_lo, s14
	s_and_saveexec_b32 s14, s13
	s_cbranch_execnz .LBB18_1400
	s_branch .LBB18_1401
.LBB18_1418:
	s_mov_b32 s12, -1
                                        ; implicit-def: $vgpr1
	s_branch .LBB18_1423
.LBB18_1419:
	s_mov_b32 s12, -1
                                        ; implicit-def: $vgpr1
.LBB18_1420:
	s_delay_alu instid0(SALU_CYCLE_1)
	s_and_b32 vcc_lo, exec_lo, s12
	s_cbranch_vccz .LBB18_1422
; %bb.1421:
	global_load_u8 v1, v[4:5], off
	s_wait_loadcnt 0x0
	v_lshlrev_b32_e32 v1, 24, v1
	s_delay_alu instid0(VALU_DEP_1) | instskip(NEXT) | instid1(VALU_DEP_1)
	v_and_b32_e32 v3, 0x7f000000, v1
	v_clz_i32_u32_e32 v7, v3
	v_add_nc_u32_e32 v10, 0x1000000, v3
	v_cmp_ne_u32_e32 vcc_lo, 0, v3
	s_delay_alu instid0(VALU_DEP_3) | instskip(NEXT) | instid1(VALU_DEP_1)
	v_min_u32_e32 v7, 32, v7
	v_sub_nc_u32_e64 v7, v7, 4 clamp
	s_delay_alu instid0(VALU_DEP_1) | instskip(NEXT) | instid1(VALU_DEP_1)
	v_lshlrev_b32_e32 v9, v7, v3
	v_dual_lshlrev_b32 v7, 23, v7 :: v_dual_lshrrev_b32 v9, 4, v9
	s_delay_alu instid0(VALU_DEP_1) | instskip(NEXT) | instid1(VALU_DEP_1)
	v_dual_sub_nc_u32 v7, v9, v7 :: v_dual_ashrrev_i32 v9, 8, v10
	v_add_nc_u32_e32 v7, 0x3c000000, v7
	s_delay_alu instid0(VALU_DEP_1) | instskip(NEXT) | instid1(VALU_DEP_1)
	v_and_or_b32 v7, 0x7f800000, v9, v7
	v_cndmask_b32_e32 v3, 0, v7, vcc_lo
	s_delay_alu instid0(VALU_DEP_1)
	v_and_or_b32 v1, 0x80000000, v1, v3
.LBB18_1422:
	s_mov_b32 s12, 0
.LBB18_1423:
	s_delay_alu instid0(SALU_CYCLE_1)
	s_and_not1_b32 vcc_lo, exec_lo, s12
	s_cbranch_vccnz .LBB18_1425
; %bb.1424:
	global_load_u8 v1, v[4:5], off
	s_wait_loadcnt 0x0
	v_lshlrev_b32_e32 v3, 25, v1
	v_lshlrev_b16 v1, 8, v1
	s_delay_alu instid0(VALU_DEP_2) | instskip(NEXT) | instid1(VALU_DEP_2)
	v_cmp_gt_u32_e32 vcc_lo, 0x8000000, v3
	v_and_or_b32 v9, 0x7f00, v1, 0.5
	v_lshrrev_b32_e32 v7, 4, v3
	v_bfe_i32 v1, v1, 0, 16
	s_delay_alu instid0(VALU_DEP_3) | instskip(NEXT) | instid1(VALU_DEP_3)
	v_add_f32_e32 v9, -0.5, v9
	v_or_b32_e32 v7, 0x70000000, v7
	s_delay_alu instid0(VALU_DEP_1) | instskip(NEXT) | instid1(VALU_DEP_1)
	v_mul_f32_e32 v7, 0x7800000, v7
	v_cndmask_b32_e32 v3, v7, v9, vcc_lo
	s_delay_alu instid0(VALU_DEP_1)
	v_and_or_b32 v1, 0x80000000, v1, v3
.LBB18_1425:
	s_mov_b32 s12, 0
	s_mov_b32 s13, -1
.LBB18_1426:
	s_and_not1_b32 vcc_lo, exec_lo, s12
	s_mov_b32 s12, 0
	s_cbranch_vccnz .LBB18_1437
; %bb.1427:
	s_cmp_gt_i32 s9, 14
	s_cbranch_scc0 .LBB18_1430
; %bb.1428:
	s_cmp_eq_u32 s9, 15
	s_cbranch_scc0 .LBB18_1433
; %bb.1429:
	global_load_u16 v1, v[4:5], off
	s_mov_b32 s0, 0
	s_mov_b32 s13, -1
	s_wait_loadcnt 0x0
	v_lshlrev_b32_e32 v1, 16, v1
	s_branch .LBB18_1435
.LBB18_1430:
	s_mov_b32 s12, -1
	s_branch .LBB18_1434
.LBB18_1431:
	s_or_saveexec_b32 s13, s13
	v_mov_b32_e32 v1, 0x7f800001
	s_xor_b32 exec_lo, exec_lo, s13
	s_cbranch_execz .LBB18_1412
.LBB18_1432:
	v_cmp_ne_u16_e32 vcc_lo, 0, v3
	v_mov_b32_e32 v1, 0
	s_and_not1_b32 s12, s12, exec_lo
	s_and_b32 s14, vcc_lo, exec_lo
	s_delay_alu instid0(SALU_CYCLE_1)
	s_or_b32 s12, s12, s14
	s_or_b32 exec_lo, exec_lo, s13
	s_and_saveexec_b32 s13, s12
	s_cbranch_execnz .LBB18_1413
	s_branch .LBB18_1414
.LBB18_1433:
	s_mov_b32 s0, -1
.LBB18_1434:
                                        ; implicit-def: $vgpr1
.LBB18_1435:
	s_and_b32 vcc_lo, exec_lo, s12
	s_mov_b32 s12, 0
	s_cbranch_vccz .LBB18_1437
; %bb.1436:
	s_cmp_lg_u32 s9, 11
	s_mov_b32 s12, -1
	s_cselect_b32 s0, -1, 0
.LBB18_1437:
	s_delay_alu instid0(SALU_CYCLE_1)
	s_and_b32 vcc_lo, exec_lo, s0
	s_cbranch_vccnz .LBB18_1512
; %bb.1438:
	s_and_not1_b32 vcc_lo, exec_lo, s12
	s_cbranch_vccnz .LBB18_1440
.LBB18_1439:
	global_load_u8 v1, v[4:5], off
	s_mov_b32 s13, -1
	s_wait_loadcnt 0x0
	v_cmp_ne_u16_e32 vcc_lo, 0, v1
	v_cndmask_b32_e64 v1, 0, 1.0, vcc_lo
.LBB18_1440:
	s_branch .LBB18_1367
.LBB18_1441:
	s_cmp_lt_i32 s9, 5
	s_cbranch_scc1 .LBB18_1446
; %bb.1442:
	s_cmp_lt_i32 s9, 8
	s_cbranch_scc1 .LBB18_1447
; %bb.1443:
	;; [unrolled: 3-line block ×3, first 2 shown]
	s_cmp_gt_i32 s9, 9
	s_cbranch_scc0 .LBB18_1449
; %bb.1445:
	global_load_b64 v[10:11], v[4:5], off
	s_mov_b32 s0, 0
	s_wait_loadcnt 0x0
	v_cvt_f32_f64_e32 v1, v[10:11]
	s_branch .LBB18_1450
.LBB18_1446:
	s_mov_b32 s0, -1
                                        ; implicit-def: $vgpr1
	s_branch .LBB18_1468
.LBB18_1447:
	s_mov_b32 s0, -1
                                        ; implicit-def: $vgpr1
	s_branch .LBB18_1456
.LBB18_1448:
	s_mov_b32 s0, -1
                                        ; implicit-def: $vgpr1
	s_branch .LBB18_1453
.LBB18_1449:
	s_mov_b32 s0, -1
                                        ; implicit-def: $vgpr1
.LBB18_1450:
	s_delay_alu instid0(SALU_CYCLE_1)
	s_and_not1_b32 vcc_lo, exec_lo, s0
	s_cbranch_vccnz .LBB18_1452
; %bb.1451:
	global_load_b32 v1, v[4:5], off
.LBB18_1452:
	s_mov_b32 s0, 0
.LBB18_1453:
	s_delay_alu instid0(SALU_CYCLE_1)
	s_and_not1_b32 vcc_lo, exec_lo, s0
	s_cbranch_vccnz .LBB18_1455
; %bb.1454:
	s_wait_loadcnt 0x0
	global_load_b32 v1, v[4:5], off
	s_wait_loadcnt 0x0
	v_cvt_f32_f16_e32 v1, v1
.LBB18_1455:
	s_mov_b32 s0, 0
.LBB18_1456:
	s_delay_alu instid0(SALU_CYCLE_1)
	s_and_not1_b32 vcc_lo, exec_lo, s0
	s_cbranch_vccnz .LBB18_1467
; %bb.1457:
	s_cmp_lt_i32 s9, 6
	s_cbranch_scc1 .LBB18_1460
; %bb.1458:
	s_cmp_gt_i32 s9, 6
	s_cbranch_scc0 .LBB18_1461
; %bb.1459:
	global_load_b64 v[10:11], v[4:5], off
	s_mov_b32 s0, 0
	s_wait_loadcnt 0x0
	v_cvt_f32_f64_e32 v1, v[10:11]
	s_branch .LBB18_1462
.LBB18_1460:
	s_mov_b32 s0, -1
                                        ; implicit-def: $vgpr1
	s_branch .LBB18_1465
.LBB18_1461:
	s_mov_b32 s0, -1
                                        ; implicit-def: $vgpr1
.LBB18_1462:
	s_delay_alu instid0(SALU_CYCLE_1)
	s_and_not1_b32 vcc_lo, exec_lo, s0
	s_cbranch_vccnz .LBB18_1464
; %bb.1463:
	s_wait_loadcnt 0x0
	global_load_b32 v1, v[4:5], off
.LBB18_1464:
	s_mov_b32 s0, 0
.LBB18_1465:
	s_delay_alu instid0(SALU_CYCLE_1)
	s_and_not1_b32 vcc_lo, exec_lo, s0
	s_cbranch_vccnz .LBB18_1467
; %bb.1466:
	s_wait_loadcnt 0x0
	global_load_u16 v1, v[4:5], off
	s_wait_loadcnt 0x0
	v_cvt_f32_f16_e32 v1, v1
.LBB18_1467:
	s_mov_b32 s0, 0
.LBB18_1468:
	s_delay_alu instid0(SALU_CYCLE_1)
	s_and_not1_b32 vcc_lo, exec_lo, s0
	s_cbranch_vccnz .LBB18_1488
; %bb.1469:
	s_cmp_lt_i32 s9, 2
	s_cbranch_scc1 .LBB18_1473
; %bb.1470:
	s_cmp_lt_i32 s9, 3
	s_cbranch_scc1 .LBB18_1474
; %bb.1471:
	s_cmp_gt_i32 s9, 3
	s_cbranch_scc0 .LBB18_1475
; %bb.1472:
	global_load_b64 v[10:11], v[4:5], off
	s_mov_b32 s0, 0
	s_wait_loadcnt 0x0
	v_xor_b32_e32 v1, v10, v11
	v_cls_i32_e32 v3, v11
	s_delay_alu instid0(VALU_DEP_2) | instskip(NEXT) | instid1(VALU_DEP_1)
	v_ashrrev_i32_e32 v1, 31, v1
	v_add_nc_u32_e32 v1, 32, v1
	s_delay_alu instid0(VALU_DEP_1) | instskip(NEXT) | instid1(VALU_DEP_1)
	v_add_min_u32_e64 v1, v3, -1, v1
	v_lshlrev_b64_e32 v[10:11], v1, v[10:11]
	v_sub_nc_u32_e32 v1, 32, v1
	s_delay_alu instid0(VALU_DEP_2) | instskip(NEXT) | instid1(VALU_DEP_1)
	v_min_u32_e32 v3, 1, v10
	v_or_b32_e32 v3, v11, v3
	s_delay_alu instid0(VALU_DEP_1) | instskip(NEXT) | instid1(VALU_DEP_1)
	v_cvt_f32_i32_e32 v3, v3
	v_ldexp_f32 v1, v3, v1
	s_branch .LBB18_1476
.LBB18_1473:
	s_mov_b32 s0, -1
                                        ; implicit-def: $vgpr1
	s_branch .LBB18_1482
.LBB18_1474:
	s_mov_b32 s0, -1
                                        ; implicit-def: $vgpr1
	s_branch .LBB18_1479
.LBB18_1475:
	s_mov_b32 s0, -1
                                        ; implicit-def: $vgpr1
.LBB18_1476:
	s_delay_alu instid0(SALU_CYCLE_1)
	s_and_not1_b32 vcc_lo, exec_lo, s0
	s_cbranch_vccnz .LBB18_1478
; %bb.1477:
	s_wait_loadcnt 0x0
	global_load_b32 v1, v[4:5], off
	s_wait_loadcnt 0x0
	v_cvt_f32_i32_e32 v1, v1
.LBB18_1478:
	s_mov_b32 s0, 0
.LBB18_1479:
	s_delay_alu instid0(SALU_CYCLE_1)
	s_and_not1_b32 vcc_lo, exec_lo, s0
	s_cbranch_vccnz .LBB18_1481
; %bb.1480:
	s_wait_loadcnt 0x0
	global_load_i16 v1, v[4:5], off
	s_wait_loadcnt 0x0
	v_cvt_f32_i32_e32 v1, v1
.LBB18_1481:
	s_mov_b32 s0, 0
.LBB18_1482:
	s_delay_alu instid0(SALU_CYCLE_1)
	s_and_not1_b32 vcc_lo, exec_lo, s0
	s_cbranch_vccnz .LBB18_1488
; %bb.1483:
	s_cmp_gt_i32 s9, 0
	s_mov_b32 s0, 0
	s_cbranch_scc0 .LBB18_1485
; %bb.1484:
	s_wait_loadcnt 0x0
	global_load_i8 v1, v[4:5], off
	s_wait_loadcnt 0x0
	v_cvt_f32_i32_e32 v1, v1
	s_branch .LBB18_1486
.LBB18_1485:
	s_mov_b32 s0, -1
                                        ; implicit-def: $vgpr1
.LBB18_1486:
	s_delay_alu instid0(SALU_CYCLE_1)
	s_and_not1_b32 vcc_lo, exec_lo, s0
	s_cbranch_vccnz .LBB18_1488
; %bb.1487:
	s_wait_loadcnt 0x0
	global_load_u8 v1, v[4:5], off
	s_wait_loadcnt 0x0
	v_cvt_f32_ubyte0_e32 v1, v1
.LBB18_1488:
.LBB18_1489:
	s_wait_loadcnt 0x0
	s_delay_alu instid0(VALU_DEP_1)
	v_mul_f32_e64 v3, 0x3fb8aa3b, |v1|
	s_mov_b32 s12, exec_lo
                                        ; implicit-def: $vgpr4
	s_wait_xcnt 0x0
	v_cmpx_ge_f32_e64 0x41000000, |v1|
	s_xor_b32 s12, exec_lo, s12
	s_cbranch_execz .LBB18_1495
; %bb.1490:
	v_fma_f32 v4, |v1|, 0.5, -2.0
	s_mov_b32 s0, 0x224cf950
	v_rndne_f32_e32 v9, v3
	v_fma_f32 v10, 0x3fb8aa3b, |v1|, -v3
	v_cmp_ngt_f32_e64 vcc_lo, 0xc2ce8ed0, |v1|
	v_fmaak_f32 v5, s0, v4, 0xa3c2be86
	v_cmp_nlt_f32_e64 s0, 0x42b17218, |v1|
	v_sub_f32_e32 v3, v3, v9
	v_fma_f32 v10, 0x32a5705f, |v1|, v10
	s_delay_alu instid0(VALU_DEP_4) | instskip(NEXT) | instid1(VALU_DEP_2)
	v_fmaak_f32 v7, v4, v5, 0xa24cf950
	v_add_f32_e32 v3, v3, v10
	s_delay_alu instid0(VALU_DEP_2) | instskip(NEXT) | instid1(VALU_DEP_2)
	v_add_f32_e32 v7, 0x25331f1f, v7
	v_exp_f32_e32 v3, v3
	s_delay_alu instid0(VALU_DEP_1) | instskip(NEXT) | instid1(VALU_DEP_1)
	v_fma_f32 v5, v4, v7, -v5
	v_add_f32_e32 v5, 0xa69f5554, v5
	s_delay_alu instid0(VALU_DEP_1) | instskip(NEXT) | instid1(VALU_DEP_1)
	v_fma_f32 v7, v4, v5, -v7
	v_add_f32_e32 v7, 0x2808ebf8, v7
	;; [unrolled: 3-line block ×25, first 2 shown]
	s_delay_alu instid0(VALU_DEP_1) | instskip(SKIP_1) | instid1(VALU_DEP_2)
	v_fma_f32 v4, v4, v5, -v7
	v_cvt_i32_f32_e32 v5, v9
	v_add_f32_e32 v4, 0x3e81531c, v4
	s_delay_alu instid0(VALU_DEP_2) | instskip(NEXT) | instid1(VALU_DEP_2)
	v_ldexp_f32 v3, v3, v5
	v_sub_f32_e32 v4, v4, v7
	s_delay_alu instid0(VALU_DEP_2) | instskip(SKIP_1) | instid1(VALU_DEP_3)
	v_cndmask_b32_e32 v5, 0, v3, vcc_lo
	v_cmp_ngt_f32_e32 vcc_lo, 0, v1
	v_mul_f32_e32 v4, 0.5, v4
	s_delay_alu instid0(VALU_DEP_1) | instskip(NEXT) | instid1(VALU_DEP_4)
	v_mul_f32_e64 v3, |v1|, v4
	v_cndmask_b32_e64 v1, 0x7f800000, v5, s0
                                        ; implicit-def: $vgpr4
	s_and_saveexec_b32 s0, vcc_lo
	s_delay_alu instid0(SALU_CYCLE_1)
	s_xor_b32 s0, exec_lo, s0
; %bb.1491:
	s_delay_alu instid0(VALU_DEP_1)
	v_mul_f32_e32 v4, v1, v3
                                        ; implicit-def: $vgpr1
                                        ; implicit-def: $vgpr3
; %bb.1492:
	s_and_not1_saveexec_b32 s0, s0
; %bb.1493:
	v_mul_f32_e64 v4, v3, -v1
; %bb.1494:
	s_or_b32 exec_lo, exec_lo, s0
                                        ; implicit-def: $vgpr1
                                        ; implicit-def: $vgpr3
.LBB18_1495:
	s_and_not1_saveexec_b32 s12, s12
	s_cbranch_execz .LBB18_1501
; %bb.1496:
	v_and_b32_e32 v4, 0x7fffffff, v1
	s_mov_b32 s0, 0x230aab6e
	s_delay_alu instid0(VALU_DEP_1) | instskip(SKIP_1) | instid1(VALU_DEP_2)
	v_div_scale_f32 v5, null, v4, v4, 0x42000000
	v_div_scale_f32 v4, vcc_lo, 0x42000000, v4, 0x42000000
	v_rcp_f32_e32 v7, v5
	v_nop
	s_delay_alu instid0(TRANS32_DEP_1) | instskip(NEXT) | instid1(VALU_DEP_1)
	v_fma_f32 v9, -v5, v7, 1.0
	v_fmac_f32_e32 v7, v9, v7
	s_delay_alu instid0(VALU_DEP_1) | instskip(NEXT) | instid1(VALU_DEP_1)
	v_mul_f32_e32 v9, v4, v7
	v_fma_f32 v10, -v5, v9, v4
	s_delay_alu instid0(VALU_DEP_1) | instskip(SKIP_1) | instid1(VALU_DEP_2)
	v_fmac_f32_e32 v9, v10, v7
	v_fma_f32 v10, 0x3fb8aa3b, |v1|, -v3
	v_fma_f32 v4, -v5, v9, v4
	s_delay_alu instid0(VALU_DEP_2) | instskip(NEXT) | instid1(VALU_DEP_2)
	v_fma_f32 v10, 0x32a5705f, |v1|, v10
	v_div_fmas_f32 v4, v4, v7, v9
	v_rndne_f32_e32 v9, v3
	v_cmp_ngt_f32_e64 vcc_lo, 0xc2ce8ed0, |v1|
	s_delay_alu instid0(VALU_DEP_3) | instskip(NEXT) | instid1(VALU_DEP_3)
	v_div_fixup_f32 v4, v4, |v1|, 0x42000000
	v_sub_f32_e32 v3, v3, v9
	v_cvt_i32_f32_e32 v9, v9
	s_delay_alu instid0(VALU_DEP_2) | instskip(NEXT) | instid1(VALU_DEP_1)
	v_dual_add_f32 v4, -2.0, v4 :: v_dual_add_f32 v3, v3, v10
	v_fmaak_f32 v5, s0, v4, 0x22a2dc57
	v_cmp_nlt_f32_e64 s0, 0x42b17218, |v1|
	s_delay_alu instid0(VALU_DEP_3) | instskip(NEXT) | instid1(VALU_DEP_2)
	v_exp_f32_e32 v3, v3
	v_fmaak_f32 v7, v4, v5, 0xa30aab6e
	s_delay_alu instid0(TRANS32_DEP_1) | instskip(NEXT) | instid1(VALU_DEP_2)
	v_ldexp_f32 v3, v3, v9
	v_add_f32_e32 v7, 0xa456751e, v7
	s_delay_alu instid0(VALU_DEP_2) | instskip(NEXT) | instid1(VALU_DEP_2)
	v_cndmask_b32_e32 v3, 0, v3, vcc_lo
	v_fma_f32 v5, v4, v7, -v5
	s_delay_alu instid0(VALU_DEP_2) | instskip(NEXT) | instid1(VALU_DEP_2)
	v_cndmask_b32_e64 v3, 0x7f800000, v3, s0
	v_add_f32_e32 v5, 0xa4140365, v5
	s_mov_b32 s0, exec_lo
	s_delay_alu instid0(VALU_DEP_1) | instskip(NEXT) | instid1(VALU_DEP_1)
	v_fma_f32 v7, v4, v5, -v7
	v_add_f32_e32 v7, 0x25aac8b0, v7
	s_delay_alu instid0(VALU_DEP_1) | instskip(NEXT) | instid1(VALU_DEP_1)
	v_fma_f32 v5, v4, v7, -v5
	v_add_f32_e32 v5, 0x25beb473, v5
	;; [unrolled: 3-line block ×21, first 2 shown]
	s_delay_alu instid0(VALU_DEP_1)
	v_sub_f32_e32 v5, v4, v7
	v_mul_f32_e64 v7, 0x4f800000, |v1|
                                        ; implicit-def: $vgpr4
	v_cmpx_ngt_f32_e32 0, v1
	s_xor_b32 s13, exec_lo, s0
	s_cbranch_execz .LBB18_1498
; %bb.1497:
	v_cmp_gt_f32_e64 vcc_lo, 0xf800000, |v1|
	v_mul_f32_e32 v5, 0.5, v5
	s_delay_alu instid0(VALU_DEP_2) | instskip(NEXT) | instid1(VALU_DEP_2)
	v_cndmask_b32_e64 v1, |v1|, v7, vcc_lo
	v_mul_f32_e32 v3, v3, v5
	s_delay_alu instid0(VALU_DEP_2) | instskip(SKIP_1) | instid1(TRANS32_DEP_1)
	v_sqrt_f32_e32 v4, v1
	v_nop
	v_dual_add_nc_u32 v7, -1, v4 :: v_dual_add_nc_u32 v9, 1, v4
	s_delay_alu instid0(VALU_DEP_1) | instskip(NEXT) | instid1(VALU_DEP_1)
	v_dual_fma_f32 v10, -v7, v4, v1 :: v_dual_fma_f32 v11, -v9, v4, v1
	v_cmp_ge_f32_e64 s0, 0, v10
	s_delay_alu instid0(VALU_DEP_1) | instskip(NEXT) | instid1(VALU_DEP_3)
	v_cndmask_b32_e64 v4, v4, v7, s0
	v_cmp_lt_f32_e64 s0, 0, v11
	s_delay_alu instid0(VALU_DEP_1) | instskip(NEXT) | instid1(VALU_DEP_1)
	v_cndmask_b32_e64 v4, v4, v9, s0
	v_mul_f32_e32 v7, 0x37800000, v4
	s_delay_alu instid0(VALU_DEP_1) | instskip(SKIP_1) | instid1(VALU_DEP_2)
	v_cndmask_b32_e32 v4, v4, v7, vcc_lo
	v_cmp_class_f32_e64 vcc_lo, v1, 0x260
	v_cndmask_b32_e32 v1, v4, v1, vcc_lo
	s_delay_alu instid0(VALU_DEP_1) | instskip(NEXT) | instid1(VALU_DEP_1)
	v_div_scale_f32 v4, null, v1, v1, v3
	v_rcp_f32_e32 v5, v4
	v_nop
	s_delay_alu instid0(TRANS32_DEP_1) | instskip(NEXT) | instid1(VALU_DEP_1)
	v_fma_f32 v7, -v4, v5, 1.0
	v_fmac_f32_e32 v5, v7, v5
	v_div_scale_f32 v7, vcc_lo, v3, v1, v3
	s_delay_alu instid0(VALU_DEP_1) | instskip(NEXT) | instid1(VALU_DEP_1)
	v_mul_f32_e32 v9, v7, v5
	v_fma_f32 v10, -v4, v9, v7
	s_delay_alu instid0(VALU_DEP_1) | instskip(NEXT) | instid1(VALU_DEP_1)
	v_fmac_f32_e32 v9, v10, v5
	v_fma_f32 v4, -v4, v9, v7
                                        ; implicit-def: $vgpr7
	s_delay_alu instid0(VALU_DEP_1) | instskip(NEXT) | instid1(VALU_DEP_1)
	v_div_fmas_f32 v4, v4, v5, v9
                                        ; implicit-def: $vgpr5
	v_div_fixup_f32 v4, v4, v1, v3
                                        ; implicit-def: $vgpr1
                                        ; implicit-def: $vgpr3
.LBB18_1498:
	s_and_not1_saveexec_b32 s13, s13
	s_cbranch_execz .LBB18_1500
; %bb.1499:
	v_cmp_gt_f32_e64 vcc_lo, 0xf800000, |v1|
	v_mul_f32_e32 v5, -0.5, v5
	s_delay_alu instid0(VALU_DEP_2) | instskip(NEXT) | instid1(VALU_DEP_2)
	v_cndmask_b32_e64 v1, |v1|, v7, vcc_lo
	v_mul_f32_e32 v3, v3, v5
	s_delay_alu instid0(VALU_DEP_2) | instskip(SKIP_1) | instid1(TRANS32_DEP_1)
	v_sqrt_f32_e32 v4, v1
	v_nop
	v_dual_add_nc_u32 v7, -1, v4 :: v_dual_add_nc_u32 v9, 1, v4
	s_delay_alu instid0(VALU_DEP_1) | instskip(NEXT) | instid1(VALU_DEP_1)
	v_dual_fma_f32 v10, -v7, v4, v1 :: v_dual_fma_f32 v11, -v9, v4, v1
	v_cmp_ge_f32_e64 s0, 0, v10
	s_delay_alu instid0(VALU_DEP_1) | instskip(NEXT) | instid1(VALU_DEP_3)
	v_cndmask_b32_e64 v4, v4, v7, s0
	v_cmp_lt_f32_e64 s0, 0, v11
	s_delay_alu instid0(VALU_DEP_1) | instskip(NEXT) | instid1(VALU_DEP_1)
	v_cndmask_b32_e64 v4, v4, v9, s0
	v_mul_f32_e32 v7, 0x37800000, v4
	s_delay_alu instid0(VALU_DEP_1) | instskip(SKIP_1) | instid1(VALU_DEP_2)
	v_cndmask_b32_e32 v4, v4, v7, vcc_lo
	v_cmp_class_f32_e64 vcc_lo, v1, 0x260
	v_cndmask_b32_e32 v1, v4, v1, vcc_lo
	s_delay_alu instid0(VALU_DEP_1) | instskip(NEXT) | instid1(VALU_DEP_1)
	v_div_scale_f32 v4, null, v1, v1, v3
	v_rcp_f32_e32 v5, v4
	v_nop
	s_delay_alu instid0(TRANS32_DEP_1) | instskip(NEXT) | instid1(VALU_DEP_1)
	v_fma_f32 v7, -v4, v5, 1.0
	v_fmac_f32_e32 v5, v7, v5
	v_div_scale_f32 v7, vcc_lo, v3, v1, v3
	s_delay_alu instid0(VALU_DEP_1) | instskip(NEXT) | instid1(VALU_DEP_1)
	v_mul_f32_e32 v9, v7, v5
	v_fma_f32 v10, -v4, v9, v7
	s_delay_alu instid0(VALU_DEP_1) | instskip(NEXT) | instid1(VALU_DEP_1)
	v_fmac_f32_e32 v9, v10, v5
	v_fma_f32 v4, -v4, v9, v7
	s_delay_alu instid0(VALU_DEP_1) | instskip(NEXT) | instid1(VALU_DEP_1)
	v_div_fmas_f32 v4, v4, v5, v9
	v_div_fixup_f32 v4, v4, v1, v3
.LBB18_1500:
	s_or_b32 exec_lo, exec_lo, s13
.LBB18_1501:
	s_delay_alu instid0(SALU_CYCLE_1) | instskip(SKIP_2) | instid1(VALU_DEP_1)
	s_or_b32 exec_lo, exec_lo, s12
	v_add_nc_u32_e32 v6, s3, v6
	s_cmp_lt_i32 s9, 11
	v_ashrrev_i32_e32 v7, 31, v6
	s_delay_alu instid0(VALU_DEP_1)
	v_add_nc_u64_e32 v[6:7], s[6:7], v[6:7]
	s_cbranch_scc1 .LBB18_1508
; %bb.1502:
	s_cmp_gt_i32 s9, 25
	s_mov_b32 s3, 0
	s_cbranch_scc0 .LBB18_1509
; %bb.1503:
	s_cmp_gt_i32 s9, 28
	s_cbranch_scc0 .LBB18_1510
; %bb.1504:
	s_cmp_gt_i32 s9, 43
	;; [unrolled: 3-line block ×3, first 2 shown]
	s_cbranch_scc0 .LBB18_1513
; %bb.1506:
	s_cmp_eq_u32 s9, 46
	s_mov_b32 s7, 0
	s_cbranch_scc0 .LBB18_1514
; %bb.1507:
	global_load_b32 v1, v[6:7], off
	s_mov_b32 s0, 0
	s_mov_b32 s6, -1
	s_wait_loadcnt 0x0
	v_lshlrev_b32_e32 v1, 16, v1
	s_branch .LBB18_1516
.LBB18_1508:
	s_mov_b32 s0, -1
	s_mov_b32 s6, 0
                                        ; implicit-def: $vgpr1
	s_branch .LBB18_1582
.LBB18_1509:
	s_mov_b32 s7, -1
	s_mov_b32 s6, 0
	s_mov_b32 s0, 0
                                        ; implicit-def: $vgpr1
	s_branch .LBB18_1545
.LBB18_1510:
	s_mov_b32 s7, -1
	s_mov_b32 s6, 0
	s_mov_b32 s0, 0
                                        ; implicit-def: $vgpr1
	s_branch .LBB18_1526
.LBB18_1511:
	s_mov_b32 s7, -1
	s_mov_b32 s6, 0
	s_mov_b32 s0, 0
                                        ; implicit-def: $vgpr1
	s_branch .LBB18_1521
.LBB18_1512:
	s_or_b32 s1, s1, exec_lo
	s_trap 2
	s_cbranch_execz .LBB18_1439
	s_branch .LBB18_1440
.LBB18_1513:
	s_mov_b32 s7, -1
	s_mov_b32 s6, 0
	s_mov_b32 s0, 0
	s_branch .LBB18_1515
.LBB18_1514:
	s_mov_b32 s0, -1
	s_mov_b32 s6, 0
.LBB18_1515:
                                        ; implicit-def: $vgpr1
.LBB18_1516:
	s_and_b32 vcc_lo, exec_lo, s7
	s_cbranch_vccz .LBB18_1520
; %bb.1517:
	s_cmp_eq_u32 s9, 44
	s_cbranch_scc0 .LBB18_1519
; %bb.1518:
	global_load_u8 v1, v[6:7], off
	s_mov_b32 s0, 0
	s_mov_b32 s6, -1
	s_wait_loadcnt 0x0
	v_lshlrev_b32_e32 v3, 23, v1
	v_cmp_ne_u32_e32 vcc_lo, 0xff, v1
	s_delay_alu instid0(VALU_DEP_2) | instskip(SKIP_1) | instid1(VALU_DEP_2)
	v_cndmask_b32_e32 v3, 0x7f800001, v3, vcc_lo
	v_cmp_ne_u32_e32 vcc_lo, 0, v1
	v_cndmask_b32_e32 v1, 0x400000, v3, vcc_lo
	s_branch .LBB18_1520
.LBB18_1519:
	s_mov_b32 s0, -1
                                        ; implicit-def: $vgpr1
.LBB18_1520:
	s_mov_b32 s7, 0
.LBB18_1521:
	s_delay_alu instid0(SALU_CYCLE_1)
	s_and_b32 vcc_lo, exec_lo, s7
	s_cbranch_vccz .LBB18_1525
; %bb.1522:
	s_cmp_eq_u32 s9, 29
	s_cbranch_scc0 .LBB18_1524
; %bb.1523:
	global_load_b64 v[10:11], v[6:7], off
	s_mov_b32 s0, 0
	s_mov_b32 s6, -1
	s_mov_b32 s7, 0
	s_wait_loadcnt 0x0
	v_clz_i32_u32_e32 v1, v11
	s_delay_alu instid0(VALU_DEP_1) | instskip(NEXT) | instid1(VALU_DEP_1)
	v_min_u32_e32 v1, 32, v1
	v_lshlrev_b64_e32 v[10:11], v1, v[10:11]
	v_sub_nc_u32_e32 v1, 32, v1
	s_delay_alu instid0(VALU_DEP_2) | instskip(NEXT) | instid1(VALU_DEP_1)
	v_min_u32_e32 v3, 1, v10
	v_or_b32_e32 v3, v11, v3
	s_delay_alu instid0(VALU_DEP_1) | instskip(NEXT) | instid1(VALU_DEP_1)
	v_cvt_f32_u32_e32 v3, v3
	v_ldexp_f32 v1, v3, v1
	s_branch .LBB18_1526
.LBB18_1524:
	s_mov_b32 s0, -1
                                        ; implicit-def: $vgpr1
.LBB18_1525:
	s_mov_b32 s7, 0
.LBB18_1526:
	s_delay_alu instid0(SALU_CYCLE_1)
	s_and_b32 vcc_lo, exec_lo, s7
	s_cbranch_vccz .LBB18_1544
; %bb.1527:
	s_cmp_lt_i32 s9, 27
	s_cbranch_scc1 .LBB18_1530
; %bb.1528:
	s_cmp_gt_i32 s9, 27
	s_cbranch_scc0 .LBB18_1531
; %bb.1529:
	global_load_b32 v1, v[6:7], off
	s_mov_b32 s6, 0
	s_wait_loadcnt 0x0
	v_cvt_f32_u32_e32 v1, v1
	s_branch .LBB18_1532
.LBB18_1530:
	s_mov_b32 s6, -1
                                        ; implicit-def: $vgpr1
	s_branch .LBB18_1535
.LBB18_1531:
	s_mov_b32 s6, -1
                                        ; implicit-def: $vgpr1
.LBB18_1532:
	s_delay_alu instid0(SALU_CYCLE_1)
	s_and_not1_b32 vcc_lo, exec_lo, s6
	s_cbranch_vccnz .LBB18_1534
; %bb.1533:
	global_load_u16 v1, v[6:7], off
	s_wait_loadcnt 0x0
	v_cvt_f32_u32_e32 v1, v1
.LBB18_1534:
	s_mov_b32 s6, 0
.LBB18_1535:
	s_delay_alu instid0(SALU_CYCLE_1)
	s_and_not1_b32 vcc_lo, exec_lo, s6
	s_cbranch_vccnz .LBB18_1543
; %bb.1536:
	global_load_u8 v3, v[6:7], off
	s_mov_b32 s6, 0
	s_mov_b32 s7, exec_lo
	s_wait_loadcnt 0x0
	v_cmpx_lt_i16_e32 0x7f, v3
	s_xor_b32 s7, exec_lo, s7
	s_cbranch_execz .LBB18_1557
; %bb.1537:
	s_mov_b32 s6, -1
	s_mov_b32 s12, exec_lo
	v_cmpx_eq_u16_e32 0x80, v3
; %bb.1538:
	s_xor_b32 s6, exec_lo, -1
; %bb.1539:
	s_or_b32 exec_lo, exec_lo, s12
	s_delay_alu instid0(SALU_CYCLE_1)
	s_and_b32 s6, s6, exec_lo
	s_or_saveexec_b32 s7, s7
	v_mov_b32_e32 v1, 0x7f800001
	s_xor_b32 exec_lo, exec_lo, s7
	s_cbranch_execnz .LBB18_1558
.LBB18_1540:
	s_or_b32 exec_lo, exec_lo, s7
	s_and_saveexec_b32 s7, s6
	s_cbranch_execz .LBB18_1542
.LBB18_1541:
	v_and_b32_e32 v1, 0xffff, v3
	s_delay_alu instid0(VALU_DEP_1) | instskip(SKIP_1) | instid1(VALU_DEP_2)
	v_dual_lshlrev_b32 v3, 24, v3 :: v_dual_bitop2_b32 v5, 7, v1 bitop3:0x40
	v_bfe_u32 v11, v1, 3, 4
	v_and_b32_e32 v3, 0x80000000, v3
	s_delay_alu instid0(VALU_DEP_3) | instskip(NEXT) | instid1(VALU_DEP_3)
	v_clz_i32_u32_e32 v9, v5
	v_cmp_eq_u32_e32 vcc_lo, 0, v11
	s_delay_alu instid0(VALU_DEP_2) | instskip(NEXT) | instid1(VALU_DEP_1)
	v_min_u32_e32 v9, 32, v9
	v_subrev_nc_u32_e32 v10, 28, v9
	v_sub_nc_u32_e32 v9, 29, v9
	s_delay_alu instid0(VALU_DEP_2) | instskip(NEXT) | instid1(VALU_DEP_2)
	v_lshlrev_b32_e32 v1, v10, v1
	v_cndmask_b32_e32 v9, v11, v9, vcc_lo
	s_delay_alu instid0(VALU_DEP_2) | instskip(NEXT) | instid1(VALU_DEP_1)
	v_and_b32_e32 v1, 7, v1
	v_cndmask_b32_e32 v1, v5, v1, vcc_lo
	s_delay_alu instid0(VALU_DEP_3) | instskip(NEXT) | instid1(VALU_DEP_2)
	v_lshl_add_u32 v5, v9, 23, 0x3b800000
	v_lshlrev_b32_e32 v1, 20, v1
	s_delay_alu instid0(VALU_DEP_1)
	v_or3_b32 v1, v3, v5, v1
.LBB18_1542:
	s_or_b32 exec_lo, exec_lo, s7
.LBB18_1543:
	s_mov_b32 s6, -1
.LBB18_1544:
	s_mov_b32 s7, 0
.LBB18_1545:
	s_delay_alu instid0(SALU_CYCLE_1)
	s_and_b32 vcc_lo, exec_lo, s7
	s_cbranch_vccz .LBB18_1578
; %bb.1546:
	s_cmp_gt_i32 s9, 22
	s_cbranch_scc0 .LBB18_1556
; %bb.1547:
	s_cmp_lt_i32 s9, 24
	s_cbranch_scc1 .LBB18_1559
; %bb.1548:
	s_cmp_gt_i32 s9, 24
	s_cbranch_scc0 .LBB18_1560
; %bb.1549:
	global_load_u8 v3, v[6:7], off
	s_mov_b32 s6, exec_lo
	s_wait_loadcnt 0x0
	v_cmpx_lt_i16_e32 0x7f, v3
	s_xor_b32 s6, exec_lo, s6
	s_cbranch_execz .LBB18_1572
; %bb.1550:
	s_mov_b32 s3, -1
	s_mov_b32 s7, exec_lo
	v_cmpx_eq_u16_e32 0x80, v3
; %bb.1551:
	s_xor_b32 s3, exec_lo, -1
; %bb.1552:
	s_or_b32 exec_lo, exec_lo, s7
	s_delay_alu instid0(SALU_CYCLE_1)
	s_and_b32 s3, s3, exec_lo
	s_or_saveexec_b32 s6, s6
	v_mov_b32_e32 v1, 0x7f800001
	s_xor_b32 exec_lo, exec_lo, s6
	s_cbranch_execnz .LBB18_1573
.LBB18_1553:
	s_or_b32 exec_lo, exec_lo, s6
	s_and_saveexec_b32 s6, s3
	s_cbranch_execz .LBB18_1555
.LBB18_1554:
	v_and_b32_e32 v1, 0xffff, v3
	s_delay_alu instid0(VALU_DEP_1) | instskip(SKIP_1) | instid1(VALU_DEP_2)
	v_dual_lshlrev_b32 v3, 24, v3 :: v_dual_bitop2_b32 v5, 3, v1 bitop3:0x40
	v_bfe_u32 v11, v1, 2, 5
	v_and_b32_e32 v3, 0x80000000, v3
	s_delay_alu instid0(VALU_DEP_3) | instskip(NEXT) | instid1(VALU_DEP_3)
	v_clz_i32_u32_e32 v9, v5
	v_cmp_eq_u32_e32 vcc_lo, 0, v11
	s_delay_alu instid0(VALU_DEP_2) | instskip(NEXT) | instid1(VALU_DEP_1)
	v_min_u32_e32 v9, 32, v9
	v_subrev_nc_u32_e32 v10, 29, v9
	v_sub_nc_u32_e32 v9, 30, v9
	s_delay_alu instid0(VALU_DEP_2) | instskip(NEXT) | instid1(VALU_DEP_2)
	v_lshlrev_b32_e32 v1, v10, v1
	v_cndmask_b32_e32 v9, v11, v9, vcc_lo
	s_delay_alu instid0(VALU_DEP_2) | instskip(NEXT) | instid1(VALU_DEP_1)
	v_and_b32_e32 v1, 3, v1
	v_cndmask_b32_e32 v1, v5, v1, vcc_lo
	s_delay_alu instid0(VALU_DEP_3) | instskip(NEXT) | instid1(VALU_DEP_2)
	v_lshl_add_u32 v5, v9, 23, 0x37800000
	v_lshlrev_b32_e32 v1, 21, v1
	s_delay_alu instid0(VALU_DEP_1)
	v_or3_b32 v1, v3, v5, v1
.LBB18_1555:
	s_or_b32 exec_lo, exec_lo, s6
	s_mov_b32 s3, 0
	s_branch .LBB18_1561
.LBB18_1556:
	s_mov_b32 s3, -1
                                        ; implicit-def: $vgpr1
	s_branch .LBB18_1567
.LBB18_1557:
	s_or_saveexec_b32 s7, s7
	v_mov_b32_e32 v1, 0x7f800001
	s_xor_b32 exec_lo, exec_lo, s7
	s_cbranch_execz .LBB18_1540
.LBB18_1558:
	v_cmp_ne_u16_e32 vcc_lo, 0, v3
	v_mov_b32_e32 v1, 0
	s_and_not1_b32 s6, s6, exec_lo
	s_and_b32 s12, vcc_lo, exec_lo
	s_delay_alu instid0(SALU_CYCLE_1)
	s_or_b32 s6, s6, s12
	s_or_b32 exec_lo, exec_lo, s7
	s_and_saveexec_b32 s7, s6
	s_cbranch_execnz .LBB18_1541
	s_branch .LBB18_1542
.LBB18_1559:
	s_mov_b32 s3, -1
                                        ; implicit-def: $vgpr1
	s_branch .LBB18_1564
.LBB18_1560:
	s_mov_b32 s3, -1
                                        ; implicit-def: $vgpr1
.LBB18_1561:
	s_delay_alu instid0(SALU_CYCLE_1)
	s_and_b32 vcc_lo, exec_lo, s3
	s_cbranch_vccz .LBB18_1563
; %bb.1562:
	global_load_u8 v1, v[6:7], off
	s_wait_loadcnt 0x0
	v_lshlrev_b32_e32 v1, 24, v1
	s_delay_alu instid0(VALU_DEP_1) | instskip(NEXT) | instid1(VALU_DEP_1)
	v_and_b32_e32 v3, 0x7f000000, v1
	v_clz_i32_u32_e32 v5, v3
	v_cmp_ne_u32_e32 vcc_lo, 0, v3
	v_add_nc_u32_e32 v10, 0x1000000, v3
	s_delay_alu instid0(VALU_DEP_3) | instskip(NEXT) | instid1(VALU_DEP_1)
	v_min_u32_e32 v5, 32, v5
	v_sub_nc_u32_e64 v5, v5, 4 clamp
	s_delay_alu instid0(VALU_DEP_1) | instskip(NEXT) | instid1(VALU_DEP_1)
	v_dual_lshlrev_b32 v9, v5, v3 :: v_dual_lshlrev_b32 v5, 23, v5
	v_lshrrev_b32_e32 v9, 4, v9
	s_delay_alu instid0(VALU_DEP_1) | instskip(NEXT) | instid1(VALU_DEP_1)
	v_dual_sub_nc_u32 v5, v9, v5 :: v_dual_ashrrev_i32 v9, 8, v10
	v_add_nc_u32_e32 v5, 0x3c000000, v5
	s_delay_alu instid0(VALU_DEP_1) | instskip(NEXT) | instid1(VALU_DEP_1)
	v_and_or_b32 v5, 0x7f800000, v9, v5
	v_cndmask_b32_e32 v3, 0, v5, vcc_lo
	s_delay_alu instid0(VALU_DEP_1)
	v_and_or_b32 v1, 0x80000000, v1, v3
.LBB18_1563:
	s_mov_b32 s3, 0
.LBB18_1564:
	s_delay_alu instid0(SALU_CYCLE_1)
	s_and_not1_b32 vcc_lo, exec_lo, s3
	s_cbranch_vccnz .LBB18_1566
; %bb.1565:
	global_load_u8 v1, v[6:7], off
	s_wait_loadcnt 0x0
	v_lshlrev_b32_e32 v3, 25, v1
	v_lshlrev_b16 v1, 8, v1
	s_delay_alu instid0(VALU_DEP_2) | instskip(NEXT) | instid1(VALU_DEP_2)
	v_cmp_gt_u32_e32 vcc_lo, 0x8000000, v3
	v_and_or_b32 v9, 0x7f00, v1, 0.5
	v_lshrrev_b32_e32 v5, 4, v3
	v_bfe_i32 v1, v1, 0, 16
	s_delay_alu instid0(VALU_DEP_3) | instskip(NEXT) | instid1(VALU_DEP_3)
	v_add_f32_e32 v9, -0.5, v9
	v_or_b32_e32 v5, 0x70000000, v5
	s_delay_alu instid0(VALU_DEP_1) | instskip(NEXT) | instid1(VALU_DEP_1)
	v_mul_f32_e32 v5, 0x7800000, v5
	v_cndmask_b32_e32 v3, v5, v9, vcc_lo
	s_delay_alu instid0(VALU_DEP_1)
	v_and_or_b32 v1, 0x80000000, v1, v3
.LBB18_1566:
	s_mov_b32 s3, 0
	s_mov_b32 s6, -1
.LBB18_1567:
	s_and_not1_b32 vcc_lo, exec_lo, s3
	s_mov_b32 s3, 0
	s_cbranch_vccnz .LBB18_1578
; %bb.1568:
	s_cmp_gt_i32 s9, 14
	s_cbranch_scc0 .LBB18_1571
; %bb.1569:
	s_cmp_eq_u32 s9, 15
	s_cbranch_scc0 .LBB18_1574
; %bb.1570:
	global_load_u16 v1, v[6:7], off
	s_mov_b32 s0, 0
	s_mov_b32 s6, -1
	s_wait_loadcnt 0x0
	v_lshlrev_b32_e32 v1, 16, v1
	s_branch .LBB18_1576
.LBB18_1571:
	s_mov_b32 s3, -1
	s_branch .LBB18_1575
.LBB18_1572:
	s_or_saveexec_b32 s6, s6
	v_mov_b32_e32 v1, 0x7f800001
	s_xor_b32 exec_lo, exec_lo, s6
	s_cbranch_execz .LBB18_1553
.LBB18_1573:
	v_cmp_ne_u16_e32 vcc_lo, 0, v3
	v_mov_b32_e32 v1, 0
	s_and_not1_b32 s3, s3, exec_lo
	s_and_b32 s7, vcc_lo, exec_lo
	s_delay_alu instid0(SALU_CYCLE_1)
	s_or_b32 s3, s3, s7
	s_or_b32 exec_lo, exec_lo, s6
	s_and_saveexec_b32 s6, s3
	s_cbranch_execnz .LBB18_1554
	s_branch .LBB18_1555
.LBB18_1574:
	s_mov_b32 s0, -1
.LBB18_1575:
                                        ; implicit-def: $vgpr1
.LBB18_1576:
	s_and_b32 vcc_lo, exec_lo, s3
	s_mov_b32 s3, 0
	s_cbranch_vccz .LBB18_1578
; %bb.1577:
	s_cmp_lg_u32 s9, 11
	s_mov_b32 s3, -1
	s_cselect_b32 s0, -1, 0
.LBB18_1578:
	s_delay_alu instid0(SALU_CYCLE_1)
	s_and_b32 vcc_lo, exec_lo, s0
	s_cbranch_vccnz .LBB18_2124
; %bb.1579:
	s_and_not1_b32 vcc_lo, exec_lo, s3
	s_cbranch_vccnz .LBB18_1581
.LBB18_1580:
	global_load_u8 v1, v[6:7], off
	s_mov_b32 s6, -1
	s_wait_loadcnt 0x0
	v_cmp_ne_u16_e32 vcc_lo, 0, v1
	v_cndmask_b32_e64 v1, 0, 1.0, vcc_lo
.LBB18_1581:
	s_mov_b32 s0, 0
.LBB18_1582:
	s_delay_alu instid0(SALU_CYCLE_1)
	s_and_b32 vcc_lo, exec_lo, s0
	s_cbranch_vccz .LBB18_1631
; %bb.1583:
	s_cmp_lt_i32 s9, 5
	s_cbranch_scc1 .LBB18_1588
; %bb.1584:
	s_cmp_lt_i32 s9, 8
	s_cbranch_scc1 .LBB18_1589
	;; [unrolled: 3-line block ×3, first 2 shown]
; %bb.1586:
	s_cmp_gt_i32 s9, 9
	s_cbranch_scc0 .LBB18_1591
; %bb.1587:
	global_load_b64 v[10:11], v[6:7], off
	s_mov_b32 s0, 0
	s_wait_loadcnt 0x0
	v_cvt_f32_f64_e32 v1, v[10:11]
	s_branch .LBB18_1592
.LBB18_1588:
	s_mov_b32 s0, -1
                                        ; implicit-def: $vgpr1
	s_branch .LBB18_1610
.LBB18_1589:
	s_mov_b32 s0, -1
                                        ; implicit-def: $vgpr1
	s_branch .LBB18_1598
.LBB18_1590:
	s_mov_b32 s0, -1
                                        ; implicit-def: $vgpr1
	s_branch .LBB18_1595
.LBB18_1591:
	s_mov_b32 s0, -1
                                        ; implicit-def: $vgpr1
.LBB18_1592:
	s_delay_alu instid0(SALU_CYCLE_1)
	s_and_not1_b32 vcc_lo, exec_lo, s0
	s_cbranch_vccnz .LBB18_1594
; %bb.1593:
	global_load_b32 v1, v[6:7], off
.LBB18_1594:
	s_mov_b32 s0, 0
.LBB18_1595:
	s_delay_alu instid0(SALU_CYCLE_1)
	s_and_not1_b32 vcc_lo, exec_lo, s0
	s_cbranch_vccnz .LBB18_1597
; %bb.1596:
	s_wait_loadcnt 0x0
	global_load_b32 v1, v[6:7], off
	s_wait_loadcnt 0x0
	v_cvt_f32_f16_e32 v1, v1
.LBB18_1597:
	s_mov_b32 s0, 0
.LBB18_1598:
	s_delay_alu instid0(SALU_CYCLE_1)
	s_and_not1_b32 vcc_lo, exec_lo, s0
	s_cbranch_vccnz .LBB18_1609
; %bb.1599:
	s_cmp_lt_i32 s9, 6
	s_cbranch_scc1 .LBB18_1602
; %bb.1600:
	s_cmp_gt_i32 s9, 6
	s_cbranch_scc0 .LBB18_1603
; %bb.1601:
	global_load_b64 v[10:11], v[6:7], off
	s_mov_b32 s0, 0
	s_wait_loadcnt 0x0
	v_cvt_f32_f64_e32 v1, v[10:11]
	s_branch .LBB18_1604
.LBB18_1602:
	s_mov_b32 s0, -1
                                        ; implicit-def: $vgpr1
	s_branch .LBB18_1607
.LBB18_1603:
	s_mov_b32 s0, -1
                                        ; implicit-def: $vgpr1
.LBB18_1604:
	s_delay_alu instid0(SALU_CYCLE_1)
	s_and_not1_b32 vcc_lo, exec_lo, s0
	s_cbranch_vccnz .LBB18_1606
; %bb.1605:
	s_wait_loadcnt 0x0
	global_load_b32 v1, v[6:7], off
.LBB18_1606:
	s_mov_b32 s0, 0
.LBB18_1607:
	s_delay_alu instid0(SALU_CYCLE_1)
	s_and_not1_b32 vcc_lo, exec_lo, s0
	s_cbranch_vccnz .LBB18_1609
; %bb.1608:
	s_wait_loadcnt 0x0
	global_load_u16 v1, v[6:7], off
	s_wait_loadcnt 0x0
	v_cvt_f32_f16_e32 v1, v1
.LBB18_1609:
	s_mov_b32 s0, 0
.LBB18_1610:
	s_delay_alu instid0(SALU_CYCLE_1)
	s_and_not1_b32 vcc_lo, exec_lo, s0
	s_cbranch_vccnz .LBB18_1630
; %bb.1611:
	s_cmp_lt_i32 s9, 2
	s_cbranch_scc1 .LBB18_1615
; %bb.1612:
	s_cmp_lt_i32 s9, 3
	s_cbranch_scc1 .LBB18_1616
; %bb.1613:
	s_cmp_gt_i32 s9, 3
	s_cbranch_scc0 .LBB18_1617
; %bb.1614:
	global_load_b64 v[10:11], v[6:7], off
	s_mov_b32 s0, 0
	s_wait_loadcnt 0x0
	v_xor_b32_e32 v1, v10, v11
	v_cls_i32_e32 v3, v11
	s_delay_alu instid0(VALU_DEP_2) | instskip(NEXT) | instid1(VALU_DEP_1)
	v_ashrrev_i32_e32 v1, 31, v1
	v_add_nc_u32_e32 v1, 32, v1
	s_delay_alu instid0(VALU_DEP_1) | instskip(NEXT) | instid1(VALU_DEP_1)
	v_add_min_u32_e64 v1, v3, -1, v1
	v_lshlrev_b64_e32 v[10:11], v1, v[10:11]
	v_sub_nc_u32_e32 v1, 32, v1
	s_delay_alu instid0(VALU_DEP_2) | instskip(NEXT) | instid1(VALU_DEP_1)
	v_min_u32_e32 v3, 1, v10
	v_or_b32_e32 v3, v11, v3
	s_delay_alu instid0(VALU_DEP_1) | instskip(NEXT) | instid1(VALU_DEP_1)
	v_cvt_f32_i32_e32 v3, v3
	v_ldexp_f32 v1, v3, v1
	s_branch .LBB18_1618
.LBB18_1615:
	s_mov_b32 s0, -1
                                        ; implicit-def: $vgpr1
	s_branch .LBB18_1624
.LBB18_1616:
	s_mov_b32 s0, -1
                                        ; implicit-def: $vgpr1
	s_branch .LBB18_1621
.LBB18_1617:
	s_mov_b32 s0, -1
                                        ; implicit-def: $vgpr1
.LBB18_1618:
	s_delay_alu instid0(SALU_CYCLE_1)
	s_and_not1_b32 vcc_lo, exec_lo, s0
	s_cbranch_vccnz .LBB18_1620
; %bb.1619:
	s_wait_loadcnt 0x0
	global_load_b32 v1, v[6:7], off
	s_wait_loadcnt 0x0
	v_cvt_f32_i32_e32 v1, v1
.LBB18_1620:
	s_mov_b32 s0, 0
.LBB18_1621:
	s_delay_alu instid0(SALU_CYCLE_1)
	s_and_not1_b32 vcc_lo, exec_lo, s0
	s_cbranch_vccnz .LBB18_1623
; %bb.1622:
	s_wait_loadcnt 0x0
	global_load_i16 v1, v[6:7], off
	s_wait_loadcnt 0x0
	v_cvt_f32_i32_e32 v1, v1
.LBB18_1623:
	s_mov_b32 s0, 0
.LBB18_1624:
	s_delay_alu instid0(SALU_CYCLE_1)
	s_and_not1_b32 vcc_lo, exec_lo, s0
	s_cbranch_vccnz .LBB18_1630
; %bb.1625:
	s_cmp_gt_i32 s9, 0
	s_mov_b32 s0, 0
	s_cbranch_scc0 .LBB18_1627
; %bb.1626:
	s_wait_loadcnt 0x0
	global_load_i8 v1, v[6:7], off
	s_wait_loadcnt 0x0
	v_cvt_f32_i32_e32 v1, v1
	s_branch .LBB18_1628
.LBB18_1627:
	s_mov_b32 s0, -1
                                        ; implicit-def: $vgpr1
.LBB18_1628:
	s_delay_alu instid0(SALU_CYCLE_1)
	s_and_not1_b32 vcc_lo, exec_lo, s0
	s_cbranch_vccnz .LBB18_1630
; %bb.1629:
	s_wait_loadcnt 0x0
	global_load_u8 v1, v[6:7], off
	s_wait_loadcnt 0x0
	v_cvt_f32_ubyte0_e32 v1, v1
.LBB18_1630:
	s_mov_b32 s6, -1
.LBB18_1631:
	s_delay_alu instid0(SALU_CYCLE_1)
	s_and_not1_b32 vcc_lo, exec_lo, s6
	s_cbranch_vccnz .LBB18_1722
; %bb.1632:
	s_wait_loadcnt 0x0
	s_delay_alu instid0(VALU_DEP_1)
	v_mul_f32_e64 v3, 0x3fb8aa3b, |v1|
	s_mov_b32 s3, exec_lo
                                        ; implicit-def: $vgpr6
	s_wait_xcnt 0x0
	v_cmpx_ge_f32_e64 0x41000000, |v1|
	s_xor_b32 s3, exec_lo, s3
	s_cbranch_execz .LBB18_1638
; %bb.1633:
	v_fma_f32 v5, |v1|, 0.5, -2.0
	v_rndne_f32_e32 v9, v3
	v_fma_f32 v10, 0x3fb8aa3b, |v1|, -v3
	s_mov_b32 s0, 0x224cf950
	v_cmp_ngt_f32_e64 vcc_lo, 0xc2ce8ed0, |v1|
	s_delay_alu instid0(VALU_DEP_3) | instskip(NEXT) | instid1(VALU_DEP_3)
	v_sub_f32_e32 v3, v3, v9
	v_fma_f32 v10, 0x32a5705f, |v1|, v10
	v_fmaak_f32 v6, s0, v5, 0xa3c2be86
	v_cmp_nlt_f32_e64 s0, 0x42b17218, |v1|
	s_delay_alu instid0(VALU_DEP_3) | instskip(NEXT) | instid1(VALU_DEP_3)
	v_add_f32_e32 v3, v3, v10
	v_fmaak_f32 v7, v5, v6, 0xa24cf950
	s_delay_alu instid0(VALU_DEP_2) | instskip(NEXT) | instid1(VALU_DEP_1)
	v_exp_f32_e32 v3, v3
	v_add_f32_e32 v7, 0x25331f1f, v7
	s_delay_alu instid0(VALU_DEP_1) | instskip(NEXT) | instid1(VALU_DEP_1)
	v_fma_f32 v6, v5, v7, -v6
	v_add_f32_e32 v6, 0xa69f5554, v6
	s_delay_alu instid0(VALU_DEP_1) | instskip(NEXT) | instid1(VALU_DEP_1)
	v_fma_f32 v7, v5, v6, -v7
	;; [unrolled: 3-line block ×25, first 2 shown]
	v_add_f32_e32 v6, 0xbe34a688, v6
	s_delay_alu instid0(VALU_DEP_1) | instskip(SKIP_1) | instid1(VALU_DEP_2)
	v_fma_f32 v5, v5, v6, -v7
	v_cvt_i32_f32_e32 v6, v9
	v_add_f32_e32 v5, 0x3e81531c, v5
	s_delay_alu instid0(VALU_DEP_2) | instskip(NEXT) | instid1(VALU_DEP_2)
	v_ldexp_f32 v3, v3, v6
	v_sub_f32_e32 v5, v5, v7
	s_delay_alu instid0(VALU_DEP_2) | instskip(SKIP_1) | instid1(VALU_DEP_3)
	v_cndmask_b32_e32 v6, 0, v3, vcc_lo
	v_cmp_ngt_f32_e32 vcc_lo, 0, v1
	v_mul_f32_e32 v5, 0.5, v5
	s_delay_alu instid0(VALU_DEP_1) | instskip(NEXT) | instid1(VALU_DEP_4)
	v_mul_f32_e64 v3, |v1|, v5
	v_cndmask_b32_e64 v1, 0x7f800000, v6, s0
                                        ; implicit-def: $vgpr6
	s_and_saveexec_b32 s0, vcc_lo
	s_delay_alu instid0(SALU_CYCLE_1)
	s_xor_b32 s0, exec_lo, s0
; %bb.1634:
	s_delay_alu instid0(VALU_DEP_1)
	v_mul_f32_e32 v6, v1, v3
                                        ; implicit-def: $vgpr1
                                        ; implicit-def: $vgpr3
; %bb.1635:
	s_and_not1_saveexec_b32 s0, s0
; %bb.1636:
	v_mul_f32_e64 v6, v3, -v1
; %bb.1637:
	s_or_b32 exec_lo, exec_lo, s0
                                        ; implicit-def: $vgpr1
                                        ; implicit-def: $vgpr3
.LBB18_1638:
	s_and_not1_saveexec_b32 s3, s3
	s_cbranch_execz .LBB18_1644
; %bb.1639:
	v_and_b32_e32 v5, 0x7fffffff, v1
	s_mov_b32 s0, 0x230aab6e
	s_delay_alu instid0(VALU_DEP_1) | instskip(SKIP_1) | instid1(VALU_DEP_2)
	v_div_scale_f32 v6, null, v5, v5, 0x42000000
	v_div_scale_f32 v5, vcc_lo, 0x42000000, v5, 0x42000000
	v_rcp_f32_e32 v7, v6
	v_nop
	s_delay_alu instid0(TRANS32_DEP_1) | instskip(NEXT) | instid1(VALU_DEP_1)
	v_fma_f32 v9, -v6, v7, 1.0
	v_fmac_f32_e32 v7, v9, v7
	s_delay_alu instid0(VALU_DEP_1) | instskip(NEXT) | instid1(VALU_DEP_1)
	v_mul_f32_e32 v9, v5, v7
	v_fma_f32 v10, -v6, v9, v5
	s_delay_alu instid0(VALU_DEP_1) | instskip(SKIP_1) | instid1(VALU_DEP_2)
	v_fmac_f32_e32 v9, v10, v7
	v_fma_f32 v10, 0x3fb8aa3b, |v1|, -v3
	v_fma_f32 v5, -v6, v9, v5
	s_delay_alu instid0(VALU_DEP_2) | instskip(NEXT) | instid1(VALU_DEP_2)
	v_fma_f32 v10, 0x32a5705f, |v1|, v10
	v_div_fmas_f32 v5, v5, v7, v9
	v_rndne_f32_e32 v9, v3
	v_cmp_ngt_f32_e64 vcc_lo, 0xc2ce8ed0, |v1|
	s_delay_alu instid0(VALU_DEP_3) | instskip(NEXT) | instid1(VALU_DEP_3)
	v_div_fixup_f32 v5, v5, |v1|, 0x42000000
	v_sub_f32_e32 v3, v3, v9
	v_cvt_i32_f32_e32 v9, v9
	s_delay_alu instid0(VALU_DEP_2) | instskip(NEXT) | instid1(VALU_DEP_1)
	v_dual_add_f32 v5, -2.0, v5 :: v_dual_add_f32 v3, v3, v10
	v_fmaak_f32 v6, s0, v5, 0x22a2dc57
	v_cmp_nlt_f32_e64 s0, 0x42b17218, |v1|
	s_delay_alu instid0(VALU_DEP_3) | instskip(NEXT) | instid1(VALU_DEP_2)
	v_exp_f32_e32 v3, v3
	v_fmaak_f32 v7, v5, v6, 0xa30aab6e
	s_delay_alu instid0(TRANS32_DEP_1) | instskip(NEXT) | instid1(VALU_DEP_2)
	v_ldexp_f32 v3, v3, v9
	v_add_f32_e32 v7, 0xa456751e, v7
	s_delay_alu instid0(VALU_DEP_2) | instskip(NEXT) | instid1(VALU_DEP_2)
	v_cndmask_b32_e32 v3, 0, v3, vcc_lo
	v_fma_f32 v6, v5, v7, -v6
	s_delay_alu instid0(VALU_DEP_2) | instskip(NEXT) | instid1(VALU_DEP_2)
	v_cndmask_b32_e64 v3, 0x7f800000, v3, s0
	v_add_f32_e32 v6, 0xa4140365, v6
	s_mov_b32 s0, exec_lo
	s_delay_alu instid0(VALU_DEP_1) | instskip(NEXT) | instid1(VALU_DEP_1)
	v_fma_f32 v7, v5, v6, -v7
	v_add_f32_e32 v7, 0x25aac8b0, v7
	s_delay_alu instid0(VALU_DEP_1) | instskip(NEXT) | instid1(VALU_DEP_1)
	v_fma_f32 v6, v5, v7, -v6
	v_add_f32_e32 v6, 0x25beb473, v6
	;; [unrolled: 3-line block ×20, first 2 shown]
	s_delay_alu instid0(VALU_DEP_1) | instskip(NEXT) | instid1(VALU_DEP_1)
	v_fma_f32 v5, v5, v6, -v7
                                        ; implicit-def: $vgpr6
	v_add_f32_e32 v5, 0x3f4750c6, v5
	s_delay_alu instid0(VALU_DEP_1)
	v_sub_f32_e32 v5, v5, v7
	v_mul_f32_e64 v7, 0x4f800000, |v1|
	v_cmpx_ngt_f32_e32 0, v1
	s_xor_b32 s6, exec_lo, s0
	s_cbranch_execz .LBB18_1641
; %bb.1640:
	v_cmp_gt_f32_e64 vcc_lo, 0xf800000, |v1|
	v_mul_f32_e32 v5, 0.5, v5
	s_delay_alu instid0(VALU_DEP_2) | instskip(NEXT) | instid1(VALU_DEP_2)
	v_cndmask_b32_e64 v1, |v1|, v7, vcc_lo
	v_mul_f32_e32 v3, v3, v5
	s_delay_alu instid0(VALU_DEP_2) | instskip(SKIP_1) | instid1(TRANS32_DEP_1)
	v_sqrt_f32_e32 v6, v1
	v_nop
	v_dual_add_nc_u32 v7, -1, v6 :: v_dual_add_nc_u32 v9, 1, v6
	s_delay_alu instid0(VALU_DEP_1) | instskip(NEXT) | instid1(VALU_DEP_1)
	v_dual_fma_f32 v10, -v7, v6, v1 :: v_dual_fma_f32 v11, -v9, v6, v1
	v_cmp_ge_f32_e64 s0, 0, v10
	s_delay_alu instid0(VALU_DEP_1) | instskip(NEXT) | instid1(VALU_DEP_3)
	v_cndmask_b32_e64 v6, v6, v7, s0
	v_cmp_lt_f32_e64 s0, 0, v11
	s_delay_alu instid0(VALU_DEP_1) | instskip(NEXT) | instid1(VALU_DEP_1)
	v_cndmask_b32_e64 v6, v6, v9, s0
	v_mul_f32_e32 v7, 0x37800000, v6
	s_delay_alu instid0(VALU_DEP_1) | instskip(SKIP_1) | instid1(VALU_DEP_2)
	v_cndmask_b32_e32 v6, v6, v7, vcc_lo
	v_cmp_class_f32_e64 vcc_lo, v1, 0x260
	v_cndmask_b32_e32 v1, v6, v1, vcc_lo
	s_delay_alu instid0(VALU_DEP_1) | instskip(NEXT) | instid1(VALU_DEP_1)
	v_div_scale_f32 v5, null, v1, v1, v3
	v_rcp_f32_e32 v6, v5
	v_nop
	s_delay_alu instid0(TRANS32_DEP_1) | instskip(NEXT) | instid1(VALU_DEP_1)
	v_fma_f32 v7, -v5, v6, 1.0
	v_fmac_f32_e32 v6, v7, v6
	v_div_scale_f32 v7, vcc_lo, v3, v1, v3
	s_delay_alu instid0(VALU_DEP_1) | instskip(NEXT) | instid1(VALU_DEP_1)
	v_mul_f32_e32 v9, v7, v6
	v_fma_f32 v10, -v5, v9, v7
	s_delay_alu instid0(VALU_DEP_1) | instskip(NEXT) | instid1(VALU_DEP_1)
	v_fmac_f32_e32 v9, v10, v6
	v_fma_f32 v5, -v5, v9, v7
                                        ; implicit-def: $vgpr7
	s_delay_alu instid0(VALU_DEP_1) | instskip(NEXT) | instid1(VALU_DEP_1)
	v_div_fmas_f32 v5, v5, v6, v9
	v_div_fixup_f32 v6, v5, v1, v3
                                        ; implicit-def: $vgpr1
                                        ; implicit-def: $vgpr5
                                        ; implicit-def: $vgpr3
.LBB18_1641:
	s_and_not1_saveexec_b32 s6, s6
	s_cbranch_execz .LBB18_1643
; %bb.1642:
	v_cmp_gt_f32_e64 vcc_lo, 0xf800000, |v1|
	v_mul_f32_e32 v5, -0.5, v5
	s_delay_alu instid0(VALU_DEP_2) | instskip(NEXT) | instid1(VALU_DEP_2)
	v_cndmask_b32_e64 v1, |v1|, v7, vcc_lo
	v_mul_f32_e32 v3, v3, v5
	s_delay_alu instid0(VALU_DEP_2) | instskip(SKIP_1) | instid1(TRANS32_DEP_1)
	v_sqrt_f32_e32 v6, v1
	v_nop
	v_dual_add_nc_u32 v7, -1, v6 :: v_dual_add_nc_u32 v9, 1, v6
	s_delay_alu instid0(VALU_DEP_1) | instskip(NEXT) | instid1(VALU_DEP_1)
	v_dual_fma_f32 v10, -v7, v6, v1 :: v_dual_fma_f32 v11, -v9, v6, v1
	v_cmp_ge_f32_e64 s0, 0, v10
	s_delay_alu instid0(VALU_DEP_1) | instskip(NEXT) | instid1(VALU_DEP_3)
	v_cndmask_b32_e64 v6, v6, v7, s0
	v_cmp_lt_f32_e64 s0, 0, v11
	s_delay_alu instid0(VALU_DEP_1) | instskip(NEXT) | instid1(VALU_DEP_1)
	v_cndmask_b32_e64 v6, v6, v9, s0
	v_mul_f32_e32 v7, 0x37800000, v6
	s_delay_alu instid0(VALU_DEP_1) | instskip(SKIP_1) | instid1(VALU_DEP_2)
	v_cndmask_b32_e32 v6, v6, v7, vcc_lo
	v_cmp_class_f32_e64 vcc_lo, v1, 0x260
	v_cndmask_b32_e32 v1, v6, v1, vcc_lo
	s_delay_alu instid0(VALU_DEP_1) | instskip(NEXT) | instid1(VALU_DEP_1)
	v_div_scale_f32 v5, null, v1, v1, v3
	v_rcp_f32_e32 v6, v5
	v_nop
	s_delay_alu instid0(TRANS32_DEP_1) | instskip(NEXT) | instid1(VALU_DEP_1)
	v_fma_f32 v7, -v5, v6, 1.0
	v_fmac_f32_e32 v6, v7, v6
	v_div_scale_f32 v7, vcc_lo, v3, v1, v3
	s_delay_alu instid0(VALU_DEP_1) | instskip(NEXT) | instid1(VALU_DEP_1)
	v_mul_f32_e32 v9, v7, v6
	v_fma_f32 v10, -v5, v9, v7
	s_delay_alu instid0(VALU_DEP_1) | instskip(NEXT) | instid1(VALU_DEP_1)
	v_fmac_f32_e32 v9, v10, v6
	v_fma_f32 v5, -v5, v9, v7
	s_delay_alu instid0(VALU_DEP_1) | instskip(NEXT) | instid1(VALU_DEP_1)
	v_div_fmas_f32 v5, v5, v6, v9
	v_div_fixup_f32 v6, v5, v1, v3
.LBB18_1643:
	s_or_b32 exec_lo, exec_lo, s6
.LBB18_1644:
	s_delay_alu instid0(SALU_CYCLE_1) | instskip(SKIP_2) | instid1(SALU_CYCLE_1)
	s_or_b32 exec_lo, exec_lo, s3
	v_mul_lo_u32 v8, s2, v8
	s_and_b32 s12, s8, 0xff
	s_cmp_lt_i32 s12, 11
	s_delay_alu instid0(VALU_DEP_1) | instskip(NEXT) | instid1(VALU_DEP_1)
	v_ashrrev_i32_e32 v9, 31, v8
	v_add_nc_u64_e32 v[10:11], s[4:5], v[8:9]
	s_cbranch_scc1 .LBB18_1767
; %bb.1645:
	s_and_b32 s3, 0xffff, s12
	s_mov_b32 s8, -1
	s_mov_b32 s6, 0
	s_cmp_gt_i32 s3, 25
	s_mov_b32 s7, 0
	s_mov_b32 s0, 0
	s_cbranch_scc0 .LBB18_1678
; %bb.1646:
	s_cmp_gt_i32 s3, 28
	s_cbranch_scc0 .LBB18_1661
; %bb.1647:
	s_cmp_gt_i32 s3, 43
	;; [unrolled: 3-line block ×3, first 2 shown]
	s_cbranch_scc0 .LBB18_1651
; %bb.1649:
	s_mov_b32 s0, -1
	s_mov_b32 s8, 0
	s_cmp_eq_u32 s3, 46
	s_cbranch_scc0 .LBB18_1651
; %bb.1650:
	v_bfe_u32 v1, v0, 16, 1
	v_cmp_o_f32_e32 vcc_lo, v0, v0
	s_mov_b32 s0, 0
	s_mov_b32 s7, -1
	s_delay_alu instid0(VALU_DEP_2) | instskip(NEXT) | instid1(VALU_DEP_1)
	v_add3_u32 v1, v0, v1, 0x7fff
	v_lshrrev_b32_e32 v1, 16, v1
	s_delay_alu instid0(VALU_DEP_1)
	v_cndmask_b32_e32 v1, 0x7fc0, v1, vcc_lo
	global_store_b32 v[10:11], v1, off
.LBB18_1651:
	s_and_b32 vcc_lo, exec_lo, s8
	s_cbranch_vccz .LBB18_1656
; %bb.1652:
	s_cmp_eq_u32 s3, 44
	s_mov_b32 s0, -1
	s_cbranch_scc0 .LBB18_1656
; %bb.1653:
	v_bfe_u32 v3, v0, 23, 8
	s_wait_xcnt 0x0
	v_mov_b32_e32 v1, 0xff
	s_mov_b32 s7, exec_lo
	s_delay_alu instid0(VALU_DEP_2)
	v_cmpx_ne_u32_e32 0xff, v3
	s_cbranch_execz .LBB18_1655
; %bb.1654:
	v_and_b32_e32 v1, 0x400000, v0
	v_and_or_b32 v3, 0x3fffff, v0, v3
	s_delay_alu instid0(VALU_DEP_2) | instskip(NEXT) | instid1(VALU_DEP_2)
	v_cmp_ne_u32_e32 vcc_lo, 0, v1
	v_cmp_ne_u32_e64 s0, 0, v3
	v_lshrrev_b32_e32 v1, 23, v0
	s_and_b32 s0, vcc_lo, s0
	s_delay_alu instid0(SALU_CYCLE_1) | instskip(NEXT) | instid1(VALU_DEP_1)
	v_cndmask_b32_e64 v3, 0, 1, s0
	v_add_nc_u32_e32 v1, v1, v3
.LBB18_1655:
	s_or_b32 exec_lo, exec_lo, s7
	s_mov_b32 s0, 0
	s_mov_b32 s7, -1
	global_store_b8 v[10:11], v1, off
.LBB18_1656:
	s_mov_b32 s8, 0
.LBB18_1657:
	s_delay_alu instid0(SALU_CYCLE_1)
	s_and_b32 vcc_lo, exec_lo, s8
	s_cbranch_vccz .LBB18_1660
; %bb.1658:
	s_cmp_eq_u32 s3, 29
	s_mov_b32 s0, -1
	s_cbranch_scc0 .LBB18_1660
; %bb.1659:
	s_wait_xcnt 0x0
	v_trunc_f32_e32 v1, v0
	s_mov_b32 s0, 0
	s_mov_b32 s7, -1
	s_delay_alu instid0(VALU_DEP_1) | instskip(NEXT) | instid1(VALU_DEP_1)
	v_mul_f32_e32 v3, 0x2f800000, v1
	v_floor_f32_e32 v3, v3
	s_delay_alu instid0(VALU_DEP_1) | instskip(SKIP_1) | instid1(VALU_DEP_2)
	v_fmamk_f32 v1, v3, 0xcf800000, v1
	v_cvt_u32_f32_e32 v13, v3
	v_cvt_u32_f32_e32 v12, v1
	global_store_b64 v[10:11], v[12:13], off
.LBB18_1660:
	s_mov_b32 s8, 0
.LBB18_1661:
	s_delay_alu instid0(SALU_CYCLE_1)
	s_and_b32 vcc_lo, exec_lo, s8
	s_cbranch_vccz .LBB18_1677
; %bb.1662:
	s_cmp_lt_i32 s3, 27
	s_mov_b32 s7, -1
	s_cbranch_scc1 .LBB18_1668
; %bb.1663:
	s_wait_xcnt 0x0
	v_cvt_u32_f32_e32 v1, v0
	s_cmp_gt_i32 s3, 27
	s_cbranch_scc0 .LBB18_1665
; %bb.1664:
	s_mov_b32 s7, 0
	global_store_b32 v[10:11], v1, off
.LBB18_1665:
	s_and_not1_b32 vcc_lo, exec_lo, s7
	s_cbranch_vccnz .LBB18_1667
; %bb.1666:
	global_store_b16 v[10:11], v1, off
.LBB18_1667:
	s_mov_b32 s7, 0
.LBB18_1668:
	s_delay_alu instid0(SALU_CYCLE_1)
	s_and_not1_b32 vcc_lo, exec_lo, s7
	s_cbranch_vccnz .LBB18_1676
; %bb.1669:
	s_wait_xcnt 0x0
	v_and_b32_e32 v1, 0x7fffffff, v0
	v_mov_b32_e32 v3, 0x80
	s_mov_b32 s7, exec_lo
	s_delay_alu instid0(VALU_DEP_2)
	v_cmpx_gt_u32_e32 0x43800000, v1
	s_cbranch_execz .LBB18_1675
; %bb.1670:
	v_cmp_lt_u32_e32 vcc_lo, 0x3bffffff, v1
	s_mov_b32 s8, 0
                                        ; implicit-def: $vgpr1
	s_and_saveexec_b32 s9, vcc_lo
	s_delay_alu instid0(SALU_CYCLE_1)
	s_xor_b32 s9, exec_lo, s9
	s_cbranch_execz .LBB18_2125
; %bb.1671:
	v_bfe_u32 v1, v0, 20, 1
	s_mov_b32 s8, exec_lo
	s_delay_alu instid0(VALU_DEP_1) | instskip(NEXT) | instid1(VALU_DEP_1)
	v_add3_u32 v1, v0, v1, 0x487ffff
	v_lshrrev_b32_e32 v1, 20, v1
	s_and_not1_saveexec_b32 s9, s9
	s_cbranch_execnz .LBB18_2126
.LBB18_1672:
	s_or_b32 exec_lo, exec_lo, s9
	v_mov_b32_e32 v3, 0
	s_and_saveexec_b32 s9, s8
.LBB18_1673:
	v_lshrrev_b32_e32 v3, 24, v0
	s_delay_alu instid0(VALU_DEP_1)
	v_and_or_b32 v3, 0x80, v3, v1
.LBB18_1674:
	s_or_b32 exec_lo, exec_lo, s9
.LBB18_1675:
	s_delay_alu instid0(SALU_CYCLE_1)
	s_or_b32 exec_lo, exec_lo, s7
	global_store_b8 v[10:11], v3, off
.LBB18_1676:
	s_mov_b32 s7, -1
.LBB18_1677:
	s_mov_b32 s8, 0
.LBB18_1678:
	s_delay_alu instid0(SALU_CYCLE_1)
	s_and_b32 vcc_lo, exec_lo, s8
	s_cbranch_vccz .LBB18_1718
; %bb.1679:
	s_cmp_gt_i32 s3, 22
	s_mov_b32 s6, -1
	s_cbranch_scc0 .LBB18_1711
; %bb.1680:
	s_cmp_lt_i32 s3, 24
	s_cbranch_scc1 .LBB18_1700
; %bb.1681:
	s_cmp_gt_i32 s3, 24
	s_cbranch_scc0 .LBB18_1689
; %bb.1682:
	s_wait_xcnt 0x0
	v_and_b32_e32 v1, 0x7fffffff, v0
	v_mov_b32_e32 v3, 0x80
	s_mov_b32 s6, exec_lo
	s_delay_alu instid0(VALU_DEP_2)
	v_cmpx_gt_u32_e32 0x47800000, v1
	s_cbranch_execz .LBB18_1688
; %bb.1683:
	v_cmp_lt_u32_e32 vcc_lo, 0x37ffffff, v1
	s_mov_b32 s7, 0
                                        ; implicit-def: $vgpr1
	s_and_saveexec_b32 s8, vcc_lo
	s_delay_alu instid0(SALU_CYCLE_1)
	s_xor_b32 s8, exec_lo, s8
	s_cbranch_execz .LBB18_2128
; %bb.1684:
	v_bfe_u32 v1, v0, 21, 1
	s_mov_b32 s7, exec_lo
	s_delay_alu instid0(VALU_DEP_1) | instskip(NEXT) | instid1(VALU_DEP_1)
	v_add3_u32 v1, v0, v1, 0x88fffff
	v_lshrrev_b32_e32 v1, 21, v1
	s_and_not1_saveexec_b32 s8, s8
	s_cbranch_execnz .LBB18_2129
.LBB18_1685:
	s_or_b32 exec_lo, exec_lo, s8
	v_mov_b32_e32 v3, 0
	s_and_saveexec_b32 s8, s7
.LBB18_1686:
	v_lshrrev_b32_e32 v3, 24, v0
	s_delay_alu instid0(VALU_DEP_1)
	v_and_or_b32 v3, 0x80, v3, v1
.LBB18_1687:
	s_or_b32 exec_lo, exec_lo, s8
.LBB18_1688:
	s_delay_alu instid0(SALU_CYCLE_1)
	s_or_b32 exec_lo, exec_lo, s6
	s_mov_b32 s6, 0
	global_store_b8 v[10:11], v3, off
.LBB18_1689:
	s_and_b32 vcc_lo, exec_lo, s6
	s_cbranch_vccz .LBB18_1699
; %bb.1690:
	s_wait_xcnt 0x0
	v_and_b32_e32 v3, 0x7fffffff, v0
	s_mov_b32 s6, exec_lo
                                        ; implicit-def: $vgpr1
	s_delay_alu instid0(VALU_DEP_1)
	v_cmpx_gt_u32_e32 0x43f00000, v3
	s_xor_b32 s6, exec_lo, s6
	s_cbranch_execz .LBB18_1696
; %bb.1691:
	s_mov_b32 s7, exec_lo
                                        ; implicit-def: $vgpr1
	v_cmpx_lt_u32_e32 0x3c7fffff, v3
	s_xor_b32 s7, exec_lo, s7
; %bb.1692:
	v_bfe_u32 v1, v0, 20, 1
	s_delay_alu instid0(VALU_DEP_1) | instskip(NEXT) | instid1(VALU_DEP_1)
	v_add3_u32 v1, v0, v1, 0x407ffff
	v_and_b32_e32 v3, 0xff00000, v1
	v_lshrrev_b32_e32 v1, 20, v1
	s_delay_alu instid0(VALU_DEP_2) | instskip(NEXT) | instid1(VALU_DEP_2)
	v_cmp_ne_u32_e32 vcc_lo, 0x7f00000, v3
	v_cndmask_b32_e32 v1, 0x7e, v1, vcc_lo
; %bb.1693:
	s_and_not1_saveexec_b32 s7, s7
; %bb.1694:
	v_add_f32_e64 v1, 0x46800000, |v0|
; %bb.1695:
	s_or_b32 exec_lo, exec_lo, s7
                                        ; implicit-def: $vgpr3
.LBB18_1696:
	s_and_not1_saveexec_b32 s6, s6
; %bb.1697:
	v_mov_b32_e32 v1, 0x7f
	v_cmp_lt_u32_e32 vcc_lo, 0x7f800000, v3
	s_delay_alu instid0(VALU_DEP_2)
	v_cndmask_b32_e32 v1, 0x7e, v1, vcc_lo
; %bb.1698:
	s_or_b32 exec_lo, exec_lo, s6
	v_lshrrev_b32_e32 v3, 24, v0
	s_delay_alu instid0(VALU_DEP_1)
	v_and_or_b32 v1, 0x80, v3, v1
	global_store_b8 v[10:11], v1, off
.LBB18_1699:
	s_mov_b32 s6, 0
.LBB18_1700:
	s_delay_alu instid0(SALU_CYCLE_1)
	s_and_not1_b32 vcc_lo, exec_lo, s6
	s_cbranch_vccnz .LBB18_1710
; %bb.1701:
	s_wait_xcnt 0x0
	v_and_b32_e32 v3, 0x7fffffff, v0
	s_mov_b32 s6, exec_lo
                                        ; implicit-def: $vgpr1
	s_delay_alu instid0(VALU_DEP_1)
	v_cmpx_gt_u32_e32 0x47800000, v3
	s_xor_b32 s6, exec_lo, s6
	s_cbranch_execz .LBB18_1707
; %bb.1702:
	s_mov_b32 s7, exec_lo
                                        ; implicit-def: $vgpr1
	v_cmpx_lt_u32_e32 0x387fffff, v3
	s_xor_b32 s7, exec_lo, s7
; %bb.1703:
	v_bfe_u32 v1, v0, 21, 1
	s_delay_alu instid0(VALU_DEP_1) | instskip(NEXT) | instid1(VALU_DEP_1)
	v_add3_u32 v1, v0, v1, 0x80fffff
	v_lshrrev_b32_e32 v1, 21, v1
; %bb.1704:
	s_and_not1_saveexec_b32 s7, s7
; %bb.1705:
	v_add_f32_e64 v1, 0x43000000, |v0|
; %bb.1706:
	s_or_b32 exec_lo, exec_lo, s7
                                        ; implicit-def: $vgpr3
.LBB18_1707:
	s_and_not1_saveexec_b32 s6, s6
; %bb.1708:
	v_mov_b32_e32 v1, 0x7f
	v_cmp_lt_u32_e32 vcc_lo, 0x7f800000, v3
	s_delay_alu instid0(VALU_DEP_2)
	v_cndmask_b32_e32 v1, 0x7c, v1, vcc_lo
; %bb.1709:
	s_or_b32 exec_lo, exec_lo, s6
	v_lshrrev_b32_e32 v3, 24, v0
	s_delay_alu instid0(VALU_DEP_1)
	v_and_or_b32 v1, 0x80, v3, v1
	global_store_b8 v[10:11], v1, off
.LBB18_1710:
	s_mov_b32 s6, 0
	s_mov_b32 s7, -1
.LBB18_1711:
	s_and_not1_b32 vcc_lo, exec_lo, s6
	s_mov_b32 s6, 0
	s_cbranch_vccnz .LBB18_1718
; %bb.1712:
	s_cmp_gt_i32 s3, 14
	s_mov_b32 s6, -1
	s_cbranch_scc0 .LBB18_1716
; %bb.1713:
	s_cmp_eq_u32 s3, 15
	s_mov_b32 s0, -1
	s_cbranch_scc0 .LBB18_1715
; %bb.1714:
	s_wait_xcnt 0x0
	v_bfe_u32 v1, v0, 16, 1
	v_cmp_o_f32_e32 vcc_lo, v0, v0
	s_mov_b32 s0, 0
	s_mov_b32 s7, -1
	s_delay_alu instid0(VALU_DEP_2) | instskip(NEXT) | instid1(VALU_DEP_1)
	v_add3_u32 v1, v0, v1, 0x7fff
	v_lshrrev_b32_e32 v1, 16, v1
	s_delay_alu instid0(VALU_DEP_1)
	v_cndmask_b32_e32 v1, 0x7fc0, v1, vcc_lo
	global_store_b16 v[10:11], v1, off
.LBB18_1715:
	s_mov_b32 s6, 0
.LBB18_1716:
	s_delay_alu instid0(SALU_CYCLE_1)
	s_and_b32 vcc_lo, exec_lo, s6
	s_mov_b32 s6, 0
	s_cbranch_vccz .LBB18_1718
; %bb.1717:
	s_cmp_lg_u32 s3, 11
	s_mov_b32 s6, -1
	s_cselect_b32 s0, -1, 0
.LBB18_1718:
	s_delay_alu instid0(SALU_CYCLE_1)
	s_and_b32 vcc_lo, exec_lo, s0
	s_cbranch_vccnz .LBB18_2127
; %bb.1719:
	s_and_not1_b32 vcc_lo, exec_lo, s6
	s_cbranch_vccnz .LBB18_1721
.LBB18_1720:
	v_cmp_neq_f32_e32 vcc_lo, 0, v0
	s_mov_b32 s7, -1
	s_wait_xcnt 0x0
	v_cndmask_b32_e64 v1, 0, 1, vcc_lo
	global_store_b8 v[10:11], v1, off
.LBB18_1721:
	s_mov_b32 s0, 0
	s_branch .LBB18_1768
.LBB18_1722:
	s_mov_b32 s0, 0
	s_mov_b32 s3, 0
                                        ; implicit-def: $sgpr12
                                        ; implicit-def: $vgpr0_vgpr1
                                        ; implicit-def: $vgpr6
.LBB18_1723:
	s_and_not1_b32 s2, s11, exec_lo
	s_and_b32 s4, s1, exec_lo
	s_and_b32 s0, s0, exec_lo
	;; [unrolled: 1-line block ×3, first 2 shown]
	s_or_b32 s11, s2, s4
.LBB18_1724:
	s_wait_xcnt 0x0
	s_or_b32 exec_lo, exec_lo, s10
	s_and_saveexec_b32 s2, s11
	s_cbranch_execz .LBB18_1727
; %bb.1725:
	; divergent unreachable
	s_or_b32 exec_lo, exec_lo, s2
	s_and_saveexec_b32 s2, s1
	s_delay_alu instid0(SALU_CYCLE_1)
	s_xor_b32 s1, exec_lo, s2
	s_cbranch_execnz .LBB18_1728
.LBB18_1726:
	s_or_b32 exec_lo, exec_lo, s1
	s_and_saveexec_b32 s1, s0
	s_cbranch_execnz .LBB18_1729
	s_branch .LBB18_1766
.LBB18_1727:
	s_or_b32 exec_lo, exec_lo, s2
	s_and_saveexec_b32 s2, s1
	s_delay_alu instid0(SALU_CYCLE_1)
	s_xor_b32 s1, exec_lo, s2
	s_cbranch_execz .LBB18_1726
.LBB18_1728:
	v_cmp_neq_f32_e32 vcc_lo, 0, v6
	s_wait_loadcnt 0x0
	v_cndmask_b32_e64 v2, 0, 1, vcc_lo
	global_store_b8 v[0:1], v2, off
	s_wait_xcnt 0x0
	s_or_b32 exec_lo, exec_lo, s1
	s_and_saveexec_b32 s1, s0
	s_cbranch_execz .LBB18_1766
.LBB18_1729:
	s_sext_i32_i16 s1, s12
	s_mov_b32 s0, -1
	s_cmp_lt_i32 s1, 5
	s_cbranch_scc1 .LBB18_1750
; %bb.1730:
	s_cmp_lt_i32 s1, 8
	s_cbranch_scc1 .LBB18_1740
; %bb.1731:
	s_cmp_lt_i32 s1, 9
	s_cbranch_scc1 .LBB18_1737
; %bb.1732:
	s_cmp_gt_i32 s1, 9
	s_cbranch_scc0 .LBB18_1734
; %bb.1733:
	s_wait_loadcnt 0x0
	v_cvt_f64_f32_e32 v[2:3], v6
	v_mov_b32_e32 v4, 0
	s_mov_b32 s0, 0
	s_delay_alu instid0(VALU_DEP_1)
	v_mov_b32_e32 v5, v4
	global_store_b128 v[0:1], v[2:5], off
.LBB18_1734:
	s_and_not1_b32 vcc_lo, exec_lo, s0
	s_cbranch_vccnz .LBB18_1736
; %bb.1735:
	v_mov_b32_e32 v7, 0
	s_wait_loadcnt 0x0
	global_store_b64 v[0:1], v[6:7], off
.LBB18_1736:
	s_mov_b32 s0, 0
.LBB18_1737:
	s_delay_alu instid0(SALU_CYCLE_1)
	s_and_not1_b32 vcc_lo, exec_lo, s0
	s_cbranch_vccnz .LBB18_1739
; %bb.1738:
	s_wait_loadcnt 0x0
	v_cvt_f16_f32_e32 v2, v6
	s_delay_alu instid0(VALU_DEP_1)
	v_and_b32_e32 v2, 0xffff, v2
	global_store_b32 v[0:1], v2, off
.LBB18_1739:
	s_mov_b32 s0, 0
.LBB18_1740:
	s_delay_alu instid0(SALU_CYCLE_1)
	s_and_not1_b32 vcc_lo, exec_lo, s0
	s_cbranch_vccnz .LBB18_1749
; %bb.1741:
	s_sext_i32_i16 s1, s12
	s_mov_b32 s0, -1
	s_cmp_lt_i32 s1, 6
	s_cbranch_scc1 .LBB18_1747
; %bb.1742:
	s_cmp_gt_i32 s1, 6
	s_cbranch_scc0 .LBB18_1744
; %bb.1743:
	s_wait_loadcnt 0x0
	v_cvt_f64_f32_e32 v[2:3], v6
	s_mov_b32 s0, 0
	global_store_b64 v[0:1], v[2:3], off
.LBB18_1744:
	s_and_not1_b32 vcc_lo, exec_lo, s0
	s_cbranch_vccnz .LBB18_1746
; %bb.1745:
	s_wait_loadcnt 0x0
	global_store_b32 v[0:1], v6, off
.LBB18_1746:
	s_mov_b32 s0, 0
.LBB18_1747:
	s_delay_alu instid0(SALU_CYCLE_1)
	s_and_not1_b32 vcc_lo, exec_lo, s0
	s_cbranch_vccnz .LBB18_1749
; %bb.1748:
	s_wait_loadcnt 0x0
	v_cvt_f16_f32_e32 v2, v6
	global_store_b16 v[0:1], v2, off
.LBB18_1749:
	s_mov_b32 s0, 0
.LBB18_1750:
	s_delay_alu instid0(SALU_CYCLE_1)
	s_and_not1_b32 vcc_lo, exec_lo, s0
	s_cbranch_vccnz .LBB18_1766
; %bb.1751:
	s_sext_i32_i16 s1, s12
	s_mov_b32 s0, -1
	s_cmp_lt_i32 s1, 2
	s_cbranch_scc1 .LBB18_1761
; %bb.1752:
	s_cmp_lt_i32 s1, 3
	s_cbranch_scc1 .LBB18_1758
; %bb.1753:
	s_cmp_gt_i32 s1, 3
	s_cbranch_scc0 .LBB18_1755
; %bb.1754:
	s_wait_loadcnt 0x0
	v_trunc_f32_e32 v2, v6
	s_mov_b32 s0, 0
	s_delay_alu instid0(VALU_DEP_1) | instskip(NEXT) | instid1(VALU_DEP_1)
	v_mul_f32_e64 v3, 0x2f800000, |v2|
	v_floor_f32_e32 v3, v3
	s_delay_alu instid0(VALU_DEP_1) | instskip(SKIP_2) | instid1(VALU_DEP_3)
	v_fma_f32 v4, 0xcf800000, v3, |v2|
	v_ashrrev_i32_e32 v2, 31, v2
	v_cvt_u32_f32_e32 v5, v3
	v_cvt_u32_f32_e32 v4, v4
	s_delay_alu instid0(VALU_DEP_2) | instskip(NEXT) | instid1(VALU_DEP_2)
	v_dual_mov_b32 v3, v2 :: v_dual_bitop2_b32 v5, v5, v2 bitop3:0x14
	v_xor_b32_e32 v4, v4, v2
	s_delay_alu instid0(VALU_DEP_1)
	v_sub_nc_u64_e32 v[2:3], v[4:5], v[2:3]
	global_store_b64 v[0:1], v[2:3], off
.LBB18_1755:
	s_and_not1_b32 vcc_lo, exec_lo, s0
	s_cbranch_vccnz .LBB18_1757
; %bb.1756:
	s_wait_loadcnt 0x0
	v_cvt_i32_f32_e32 v2, v6
	global_store_b32 v[0:1], v2, off
.LBB18_1757:
	s_mov_b32 s0, 0
.LBB18_1758:
	s_delay_alu instid0(SALU_CYCLE_1)
	s_and_not1_b32 vcc_lo, exec_lo, s0
	s_cbranch_vccnz .LBB18_1760
; %bb.1759:
	s_wait_loadcnt 0x0
	v_cvt_i32_f32_e32 v2, v6
	global_store_b16 v[0:1], v2, off
.LBB18_1760:
	s_mov_b32 s0, 0
.LBB18_1761:
	s_delay_alu instid0(SALU_CYCLE_1)
	s_and_not1_b32 vcc_lo, exec_lo, s0
	s_cbranch_vccnz .LBB18_1766
; %bb.1762:
	s_sext_i32_i16 s0, s12
	s_delay_alu instid0(SALU_CYCLE_1)
	s_cmp_gt_i32 s0, 0
	s_mov_b32 s0, -1
	s_cbranch_scc0 .LBB18_1764
; %bb.1763:
	s_wait_loadcnt 0x0
	v_cvt_i32_f32_e32 v2, v6
	s_mov_b32 s0, 0
	global_store_b8 v[0:1], v2, off
.LBB18_1764:
	s_and_not1_b32 vcc_lo, exec_lo, s0
	s_cbranch_vccnz .LBB18_1766
; %bb.1765:
	s_wait_loadcnt 0x0
	v_trunc_f32_e32 v2, v6
	s_delay_alu instid0(VALU_DEP_1) | instskip(NEXT) | instid1(VALU_DEP_1)
	v_mul_f32_e64 v3, 0x2f800000, |v2|
	v_floor_f32_e32 v3, v3
	s_delay_alu instid0(VALU_DEP_1) | instskip(SKIP_1) | instid1(VALU_DEP_2)
	v_fma_f32 v3, 0xcf800000, v3, |v2|
	v_ashrrev_i32_e32 v2, 31, v2
	v_cvt_u32_f32_e32 v3, v3
	s_delay_alu instid0(VALU_DEP_1) | instskip(NEXT) | instid1(VALU_DEP_1)
	v_xor_b32_e32 v3, v3, v2
	v_sub_nc_u32_e32 v2, v3, v2
	global_store_b8 v[0:1], v2, off
	s_endpgm
.LBB18_1766:
	s_endpgm
.LBB18_1767:
	s_mov_b32 s0, -1
	s_mov_b32 s7, 0
.LBB18_1768:
	s_and_b32 vcc_lo, exec_lo, s0
	s_cbranch_vccz .LBB18_1807
; %bb.1769:
	s_and_b32 s0, 0xffff, s12
	s_mov_b32 s3, -1
	s_cmp_lt_i32 s0, 5
	s_cbranch_scc1 .LBB18_1790
; %bb.1770:
	s_cmp_lt_i32 s0, 8
	s_cbranch_scc1 .LBB18_1780
; %bb.1771:
	s_cmp_lt_i32 s0, 9
	s_cbranch_scc1 .LBB18_1777
; %bb.1772:
	s_cmp_gt_i32 s0, 9
	s_cbranch_scc0 .LBB18_1774
; %bb.1773:
	s_wait_xcnt 0x0
	v_cvt_f64_f32_e32 v[12:13], v0
	v_mov_b32_e32 v14, 0
	s_mov_b32 s3, 0
	s_delay_alu instid0(VALU_DEP_1)
	v_mov_b32_e32 v15, v14
	global_store_b128 v[10:11], v[12:15], off
.LBB18_1774:
	s_and_not1_b32 vcc_lo, exec_lo, s3
	s_cbranch_vccnz .LBB18_1776
; %bb.1775:
	s_wait_xcnt 0x0
	v_mov_b32_e32 v1, 0
	global_store_b64 v[10:11], v[0:1], off
.LBB18_1776:
	s_mov_b32 s3, 0
.LBB18_1777:
	s_delay_alu instid0(SALU_CYCLE_1)
	s_and_not1_b32 vcc_lo, exec_lo, s3
	s_cbranch_vccnz .LBB18_1779
; %bb.1778:
	s_wait_xcnt 0x0
	v_cvt_f16_f32_e32 v1, v0
	s_delay_alu instid0(VALU_DEP_1)
	v_and_b32_e32 v1, 0xffff, v1
	global_store_b32 v[10:11], v1, off
.LBB18_1779:
	s_mov_b32 s3, 0
.LBB18_1780:
	s_delay_alu instid0(SALU_CYCLE_1)
	s_and_not1_b32 vcc_lo, exec_lo, s3
	s_cbranch_vccnz .LBB18_1789
; %bb.1781:
	s_cmp_lt_i32 s0, 6
	s_mov_b32 s3, -1
	s_cbranch_scc1 .LBB18_1787
; %bb.1782:
	s_cmp_gt_i32 s0, 6
	s_cbranch_scc0 .LBB18_1784
; %bb.1783:
	s_wait_xcnt 0x0
	v_cvt_f64_f32_e32 v[12:13], v0
	s_mov_b32 s3, 0
	global_store_b64 v[10:11], v[12:13], off
.LBB18_1784:
	s_and_not1_b32 vcc_lo, exec_lo, s3
	s_cbranch_vccnz .LBB18_1786
; %bb.1785:
	global_store_b32 v[10:11], v0, off
.LBB18_1786:
	s_mov_b32 s3, 0
.LBB18_1787:
	s_delay_alu instid0(SALU_CYCLE_1)
	s_and_not1_b32 vcc_lo, exec_lo, s3
	s_cbranch_vccnz .LBB18_1789
; %bb.1788:
	s_wait_xcnt 0x0
	v_cvt_f16_f32_e32 v1, v0
	global_store_b16 v[10:11], v1, off
.LBB18_1789:
	s_mov_b32 s3, 0
.LBB18_1790:
	s_delay_alu instid0(SALU_CYCLE_1)
	s_and_not1_b32 vcc_lo, exec_lo, s3
	s_cbranch_vccnz .LBB18_1806
; %bb.1791:
	s_cmp_lt_i32 s0, 2
	s_mov_b32 s3, -1
	s_cbranch_scc1 .LBB18_1801
; %bb.1792:
	s_cmp_lt_i32 s0, 3
	s_cbranch_scc1 .LBB18_1798
; %bb.1793:
	s_cmp_gt_i32 s0, 3
	s_cbranch_scc0 .LBB18_1795
; %bb.1794:
	s_wait_xcnt 0x0
	v_trunc_f32_e32 v1, v0
	s_mov_b32 s3, 0
	s_delay_alu instid0(VALU_DEP_1) | instskip(SKIP_1) | instid1(VALU_DEP_2)
	v_mul_f32_e64 v3, 0x2f800000, |v1|
	v_ashrrev_i32_e32 v12, 31, v1
	v_floor_f32_e32 v3, v3
	s_delay_alu instid0(VALU_DEP_1) | instskip(SKIP_1) | instid1(VALU_DEP_4)
	v_fma_f32 v5, 0xcf800000, v3, |v1|
	v_cvt_u32_f32_e32 v1, v3
	v_mov_b32_e32 v13, v12
	s_delay_alu instid0(VALU_DEP_3) | instskip(NEXT) | instid1(VALU_DEP_3)
	v_cvt_u32_f32_e32 v3, v5
	v_xor_b32_e32 v15, v1, v12
	s_delay_alu instid0(VALU_DEP_2) | instskip(NEXT) | instid1(VALU_DEP_1)
	v_xor_b32_e32 v14, v3, v12
	v_sub_nc_u64_e32 v[12:13], v[14:15], v[12:13]
	global_store_b64 v[10:11], v[12:13], off
.LBB18_1795:
	s_and_not1_b32 vcc_lo, exec_lo, s3
	s_cbranch_vccnz .LBB18_1797
; %bb.1796:
	s_wait_xcnt 0x0
	v_cvt_i32_f32_e32 v1, v0
	global_store_b32 v[10:11], v1, off
.LBB18_1797:
	s_mov_b32 s3, 0
.LBB18_1798:
	s_delay_alu instid0(SALU_CYCLE_1)
	s_and_not1_b32 vcc_lo, exec_lo, s3
	s_cbranch_vccnz .LBB18_1800
; %bb.1799:
	s_wait_xcnt 0x0
	v_cvt_i32_f32_e32 v1, v0
	global_store_b16 v[10:11], v1, off
.LBB18_1800:
	s_mov_b32 s3, 0
.LBB18_1801:
	s_delay_alu instid0(SALU_CYCLE_1)
	s_and_not1_b32 vcc_lo, exec_lo, s3
	s_cbranch_vccnz .LBB18_1806
; %bb.1802:
	s_cmp_gt_i32 s0, 0
	s_mov_b32 s0, -1
	s_cbranch_scc0 .LBB18_1804
; %bb.1803:
	s_wait_xcnt 0x0
	v_cvt_i32_f32_e32 v1, v0
	s_mov_b32 s0, 0
	global_store_b8 v[10:11], v1, off
.LBB18_1804:
	s_and_not1_b32 vcc_lo, exec_lo, s0
	s_cbranch_vccnz .LBB18_1806
; %bb.1805:
	s_wait_xcnt 0x0
	v_trunc_f32_e32 v0, v0
	s_delay_alu instid0(VALU_DEP_1) | instskip(NEXT) | instid1(VALU_DEP_1)
	v_mul_f32_e64 v1, 0x2f800000, |v0|
	v_floor_f32_e32 v1, v1
	s_delay_alu instid0(VALU_DEP_1) | instskip(SKIP_1) | instid1(VALU_DEP_2)
	v_fma_f32 v1, 0xcf800000, v1, |v0|
	v_ashrrev_i32_e32 v0, 31, v0
	v_cvt_u32_f32_e32 v1, v1
	s_delay_alu instid0(VALU_DEP_1) | instskip(NEXT) | instid1(VALU_DEP_1)
	v_xor_b32_e32 v1, v1, v0
	v_sub_nc_u32_e32 v0, v1, v0
	global_store_b8 v[10:11], v0, off
.LBB18_1806:
	s_mov_b32 s7, -1
.LBB18_1807:
	s_delay_alu instid0(SALU_CYCLE_1)
	s_and_not1_b32 vcc_lo, exec_lo, s7
	s_cbranch_vccnz .LBB18_2122
; %bb.1808:
	s_lshl_b32 s2, s2, 7
	s_cmp_lt_i32 s12, 11
	s_wait_xcnt 0x0
	v_add_nc_u32_e32 v0, s2, v8
	s_delay_alu instid0(VALU_DEP_1) | instskip(NEXT) | instid1(VALU_DEP_1)
	v_ashrrev_i32_e32 v1, 31, v0
	v_add_nc_u64_e32 v[8:9], s[4:5], v[0:1]
	s_cbranch_scc1 .LBB18_1886
; %bb.1809:
	s_and_b32 s3, 0xffff, s12
	s_mov_b32 s8, -1
	s_mov_b32 s6, 0
	s_cmp_gt_i32 s3, 25
	s_mov_b32 s7, 0
	s_mov_b32 s0, 0
	s_cbranch_scc0 .LBB18_1842
; %bb.1810:
	s_cmp_gt_i32 s3, 28
	s_cbranch_scc0 .LBB18_1825
; %bb.1811:
	s_cmp_gt_i32 s3, 43
	;; [unrolled: 3-line block ×3, first 2 shown]
	s_cbranch_scc0 .LBB18_1815
; %bb.1813:
	s_mov_b32 s0, -1
	s_mov_b32 s8, 0
	s_cmp_eq_u32 s3, 46
	s_cbranch_scc0 .LBB18_1815
; %bb.1814:
	v_bfe_u32 v1, v2, 16, 1
	v_cmp_o_f32_e32 vcc_lo, v2, v2
	s_mov_b32 s0, 0
	s_mov_b32 s7, -1
	s_delay_alu instid0(VALU_DEP_2) | instskip(NEXT) | instid1(VALU_DEP_1)
	v_add3_u32 v1, v2, v1, 0x7fff
	v_lshrrev_b32_e32 v1, 16, v1
	s_delay_alu instid0(VALU_DEP_1)
	v_cndmask_b32_e32 v1, 0x7fc0, v1, vcc_lo
	global_store_b32 v[8:9], v1, off
.LBB18_1815:
	s_and_b32 vcc_lo, exec_lo, s8
	s_cbranch_vccz .LBB18_1820
; %bb.1816:
	s_cmp_eq_u32 s3, 44
	s_mov_b32 s0, -1
	s_cbranch_scc0 .LBB18_1820
; %bb.1817:
	v_bfe_u32 v3, v2, 23, 8
	s_wait_xcnt 0x0
	v_mov_b32_e32 v1, 0xff
	s_mov_b32 s7, exec_lo
	s_delay_alu instid0(VALU_DEP_2)
	v_cmpx_ne_u32_e32 0xff, v3
	s_cbranch_execz .LBB18_1819
; %bb.1818:
	v_and_b32_e32 v1, 0x400000, v2
	v_and_or_b32 v3, 0x3fffff, v2, v3
	s_delay_alu instid0(VALU_DEP_2) | instskip(NEXT) | instid1(VALU_DEP_2)
	v_cmp_ne_u32_e32 vcc_lo, 0, v1
	v_cmp_ne_u32_e64 s0, 0, v3
	v_lshrrev_b32_e32 v1, 23, v2
	s_and_b32 s0, vcc_lo, s0
	s_delay_alu instid0(SALU_CYCLE_1) | instskip(NEXT) | instid1(VALU_DEP_1)
	v_cndmask_b32_e64 v3, 0, 1, s0
	v_add_nc_u32_e32 v1, v1, v3
.LBB18_1819:
	s_or_b32 exec_lo, exec_lo, s7
	s_mov_b32 s0, 0
	s_mov_b32 s7, -1
	global_store_b8 v[8:9], v1, off
.LBB18_1820:
	s_mov_b32 s8, 0
.LBB18_1821:
	s_delay_alu instid0(SALU_CYCLE_1)
	s_and_b32 vcc_lo, exec_lo, s8
	s_cbranch_vccz .LBB18_1824
; %bb.1822:
	s_cmp_eq_u32 s3, 29
	s_mov_b32 s0, -1
	s_cbranch_scc0 .LBB18_1824
; %bb.1823:
	s_wait_xcnt 0x0
	v_trunc_f32_e32 v1, v2
	s_mov_b32 s0, 0
	s_mov_b32 s7, -1
	s_delay_alu instid0(VALU_DEP_1) | instskip(NEXT) | instid1(VALU_DEP_1)
	v_mul_f32_e32 v3, 0x2f800000, v1
	v_floor_f32_e32 v3, v3
	s_delay_alu instid0(VALU_DEP_1) | instskip(SKIP_1) | instid1(VALU_DEP_2)
	v_fmamk_f32 v1, v3, 0xcf800000, v1
	v_cvt_u32_f32_e32 v11, v3
	v_cvt_u32_f32_e32 v10, v1
	global_store_b64 v[8:9], v[10:11], off
.LBB18_1824:
	s_mov_b32 s8, 0
.LBB18_1825:
	s_delay_alu instid0(SALU_CYCLE_1)
	s_and_b32 vcc_lo, exec_lo, s8
	s_cbranch_vccz .LBB18_1841
; %bb.1826:
	s_cmp_lt_i32 s3, 27
	s_mov_b32 s7, -1
	s_cbranch_scc1 .LBB18_1832
; %bb.1827:
	s_wait_xcnt 0x0
	v_cvt_u32_f32_e32 v1, v2
	s_cmp_gt_i32 s3, 27
	s_cbranch_scc0 .LBB18_1829
; %bb.1828:
	s_mov_b32 s7, 0
	global_store_b32 v[8:9], v1, off
.LBB18_1829:
	s_and_not1_b32 vcc_lo, exec_lo, s7
	s_cbranch_vccnz .LBB18_1831
; %bb.1830:
	global_store_b16 v[8:9], v1, off
.LBB18_1831:
	s_mov_b32 s7, 0
.LBB18_1832:
	s_delay_alu instid0(SALU_CYCLE_1)
	s_and_not1_b32 vcc_lo, exec_lo, s7
	s_cbranch_vccnz .LBB18_1840
; %bb.1833:
	s_wait_xcnt 0x0
	v_and_b32_e32 v1, 0x7fffffff, v2
	v_mov_b32_e32 v3, 0x80
	s_mov_b32 s7, exec_lo
	s_delay_alu instid0(VALU_DEP_2)
	v_cmpx_gt_u32_e32 0x43800000, v1
	s_cbranch_execz .LBB18_1839
; %bb.1834:
	v_cmp_lt_u32_e32 vcc_lo, 0x3bffffff, v1
	s_mov_b32 s8, 0
                                        ; implicit-def: $vgpr1
	s_and_saveexec_b32 s9, vcc_lo
	s_delay_alu instid0(SALU_CYCLE_1)
	s_xor_b32 s9, exec_lo, s9
	s_cbranch_execz .LBB18_2130
; %bb.1835:
	v_bfe_u32 v1, v2, 20, 1
	s_mov_b32 s8, exec_lo
	s_delay_alu instid0(VALU_DEP_1) | instskip(NEXT) | instid1(VALU_DEP_1)
	v_add3_u32 v1, v2, v1, 0x487ffff
	v_lshrrev_b32_e32 v1, 20, v1
	s_and_not1_saveexec_b32 s9, s9
	s_cbranch_execnz .LBB18_2131
.LBB18_1836:
	s_or_b32 exec_lo, exec_lo, s9
	v_mov_b32_e32 v3, 0
	s_and_saveexec_b32 s9, s8
.LBB18_1837:
	v_lshrrev_b32_e32 v3, 24, v2
	s_delay_alu instid0(VALU_DEP_1)
	v_and_or_b32 v3, 0x80, v3, v1
.LBB18_1838:
	s_or_b32 exec_lo, exec_lo, s9
.LBB18_1839:
	s_delay_alu instid0(SALU_CYCLE_1)
	s_or_b32 exec_lo, exec_lo, s7
	global_store_b8 v[8:9], v3, off
.LBB18_1840:
	s_mov_b32 s7, -1
.LBB18_1841:
	s_mov_b32 s8, 0
.LBB18_1842:
	s_delay_alu instid0(SALU_CYCLE_1)
	s_and_b32 vcc_lo, exec_lo, s8
	s_cbranch_vccz .LBB18_1882
; %bb.1843:
	s_cmp_gt_i32 s3, 22
	s_mov_b32 s6, -1
	s_cbranch_scc0 .LBB18_1875
; %bb.1844:
	s_cmp_lt_i32 s3, 24
	s_cbranch_scc1 .LBB18_1864
; %bb.1845:
	s_cmp_gt_i32 s3, 24
	s_cbranch_scc0 .LBB18_1853
; %bb.1846:
	s_wait_xcnt 0x0
	v_and_b32_e32 v1, 0x7fffffff, v2
	v_mov_b32_e32 v3, 0x80
	s_mov_b32 s6, exec_lo
	s_delay_alu instid0(VALU_DEP_2)
	v_cmpx_gt_u32_e32 0x47800000, v1
	s_cbranch_execz .LBB18_1852
; %bb.1847:
	v_cmp_lt_u32_e32 vcc_lo, 0x37ffffff, v1
	s_mov_b32 s7, 0
                                        ; implicit-def: $vgpr1
	s_and_saveexec_b32 s8, vcc_lo
	s_delay_alu instid0(SALU_CYCLE_1)
	s_xor_b32 s8, exec_lo, s8
	s_cbranch_execz .LBB18_2133
; %bb.1848:
	v_bfe_u32 v1, v2, 21, 1
	s_mov_b32 s7, exec_lo
	s_delay_alu instid0(VALU_DEP_1) | instskip(NEXT) | instid1(VALU_DEP_1)
	v_add3_u32 v1, v2, v1, 0x88fffff
	v_lshrrev_b32_e32 v1, 21, v1
	s_and_not1_saveexec_b32 s8, s8
	s_cbranch_execnz .LBB18_2134
.LBB18_1849:
	s_or_b32 exec_lo, exec_lo, s8
	v_mov_b32_e32 v3, 0
	s_and_saveexec_b32 s8, s7
.LBB18_1850:
	v_lshrrev_b32_e32 v3, 24, v2
	s_delay_alu instid0(VALU_DEP_1)
	v_and_or_b32 v3, 0x80, v3, v1
.LBB18_1851:
	s_or_b32 exec_lo, exec_lo, s8
.LBB18_1852:
	s_delay_alu instid0(SALU_CYCLE_1)
	s_or_b32 exec_lo, exec_lo, s6
	s_mov_b32 s6, 0
	global_store_b8 v[8:9], v3, off
.LBB18_1853:
	s_and_b32 vcc_lo, exec_lo, s6
	s_cbranch_vccz .LBB18_1863
; %bb.1854:
	s_wait_xcnt 0x0
	v_and_b32_e32 v3, 0x7fffffff, v2
	s_mov_b32 s6, exec_lo
                                        ; implicit-def: $vgpr1
	s_delay_alu instid0(VALU_DEP_1)
	v_cmpx_gt_u32_e32 0x43f00000, v3
	s_xor_b32 s6, exec_lo, s6
	s_cbranch_execz .LBB18_1860
; %bb.1855:
	s_mov_b32 s7, exec_lo
                                        ; implicit-def: $vgpr1
	v_cmpx_lt_u32_e32 0x3c7fffff, v3
	s_xor_b32 s7, exec_lo, s7
; %bb.1856:
	v_bfe_u32 v1, v2, 20, 1
	s_delay_alu instid0(VALU_DEP_1) | instskip(NEXT) | instid1(VALU_DEP_1)
	v_add3_u32 v1, v2, v1, 0x407ffff
	v_and_b32_e32 v3, 0xff00000, v1
	v_lshrrev_b32_e32 v1, 20, v1
	s_delay_alu instid0(VALU_DEP_2) | instskip(NEXT) | instid1(VALU_DEP_2)
	v_cmp_ne_u32_e32 vcc_lo, 0x7f00000, v3
	v_cndmask_b32_e32 v1, 0x7e, v1, vcc_lo
; %bb.1857:
	s_and_not1_saveexec_b32 s7, s7
; %bb.1858:
	v_add_f32_e64 v1, 0x46800000, |v2|
; %bb.1859:
	s_or_b32 exec_lo, exec_lo, s7
                                        ; implicit-def: $vgpr3
.LBB18_1860:
	s_and_not1_saveexec_b32 s6, s6
; %bb.1861:
	v_mov_b32_e32 v1, 0x7f
	v_cmp_lt_u32_e32 vcc_lo, 0x7f800000, v3
	s_delay_alu instid0(VALU_DEP_2)
	v_cndmask_b32_e32 v1, 0x7e, v1, vcc_lo
; %bb.1862:
	s_or_b32 exec_lo, exec_lo, s6
	v_lshrrev_b32_e32 v3, 24, v2
	s_delay_alu instid0(VALU_DEP_1)
	v_and_or_b32 v1, 0x80, v3, v1
	global_store_b8 v[8:9], v1, off
.LBB18_1863:
	s_mov_b32 s6, 0
.LBB18_1864:
	s_delay_alu instid0(SALU_CYCLE_1)
	s_and_not1_b32 vcc_lo, exec_lo, s6
	s_cbranch_vccnz .LBB18_1874
; %bb.1865:
	s_wait_xcnt 0x0
	v_and_b32_e32 v3, 0x7fffffff, v2
	s_mov_b32 s6, exec_lo
                                        ; implicit-def: $vgpr1
	s_delay_alu instid0(VALU_DEP_1)
	v_cmpx_gt_u32_e32 0x47800000, v3
	s_xor_b32 s6, exec_lo, s6
	s_cbranch_execz .LBB18_1871
; %bb.1866:
	s_mov_b32 s7, exec_lo
                                        ; implicit-def: $vgpr1
	v_cmpx_lt_u32_e32 0x387fffff, v3
	s_xor_b32 s7, exec_lo, s7
; %bb.1867:
	v_bfe_u32 v1, v2, 21, 1
	s_delay_alu instid0(VALU_DEP_1) | instskip(NEXT) | instid1(VALU_DEP_1)
	v_add3_u32 v1, v2, v1, 0x80fffff
	v_lshrrev_b32_e32 v1, 21, v1
; %bb.1868:
	s_and_not1_saveexec_b32 s7, s7
; %bb.1869:
	v_add_f32_e64 v1, 0x43000000, |v2|
; %bb.1870:
	s_or_b32 exec_lo, exec_lo, s7
                                        ; implicit-def: $vgpr3
.LBB18_1871:
	s_and_not1_saveexec_b32 s6, s6
; %bb.1872:
	v_mov_b32_e32 v1, 0x7f
	v_cmp_lt_u32_e32 vcc_lo, 0x7f800000, v3
	s_delay_alu instid0(VALU_DEP_2)
	v_cndmask_b32_e32 v1, 0x7c, v1, vcc_lo
; %bb.1873:
	s_or_b32 exec_lo, exec_lo, s6
	v_lshrrev_b32_e32 v3, 24, v2
	s_delay_alu instid0(VALU_DEP_1)
	v_and_or_b32 v1, 0x80, v3, v1
	global_store_b8 v[8:9], v1, off
.LBB18_1874:
	s_mov_b32 s6, 0
	s_mov_b32 s7, -1
.LBB18_1875:
	s_and_not1_b32 vcc_lo, exec_lo, s6
	s_mov_b32 s6, 0
	s_cbranch_vccnz .LBB18_1882
; %bb.1876:
	s_cmp_gt_i32 s3, 14
	s_mov_b32 s6, -1
	s_cbranch_scc0 .LBB18_1880
; %bb.1877:
	s_cmp_eq_u32 s3, 15
	s_mov_b32 s0, -1
	s_cbranch_scc0 .LBB18_1879
; %bb.1878:
	s_wait_xcnt 0x0
	v_bfe_u32 v1, v2, 16, 1
	v_cmp_o_f32_e32 vcc_lo, v2, v2
	s_mov_b32 s0, 0
	s_mov_b32 s7, -1
	s_delay_alu instid0(VALU_DEP_2) | instskip(NEXT) | instid1(VALU_DEP_1)
	v_add3_u32 v1, v2, v1, 0x7fff
	v_lshrrev_b32_e32 v1, 16, v1
	s_delay_alu instid0(VALU_DEP_1)
	v_cndmask_b32_e32 v1, 0x7fc0, v1, vcc_lo
	global_store_b16 v[8:9], v1, off
.LBB18_1879:
	s_mov_b32 s6, 0
.LBB18_1880:
	s_delay_alu instid0(SALU_CYCLE_1)
	s_and_b32 vcc_lo, exec_lo, s6
	s_mov_b32 s6, 0
	s_cbranch_vccz .LBB18_1882
; %bb.1881:
	s_cmp_lg_u32 s3, 11
	s_mov_b32 s6, -1
	s_cselect_b32 s0, -1, 0
.LBB18_1882:
	s_delay_alu instid0(SALU_CYCLE_1)
	s_and_b32 vcc_lo, exec_lo, s0
	s_cbranch_vccnz .LBB18_2132
; %bb.1883:
	s_and_not1_b32 vcc_lo, exec_lo, s6
	s_cbranch_vccnz .LBB18_1885
.LBB18_1884:
	v_cmp_neq_f32_e32 vcc_lo, 0, v2
	s_mov_b32 s7, -1
	s_wait_xcnt 0x0
	v_cndmask_b32_e64 v1, 0, 1, vcc_lo
	global_store_b8 v[8:9], v1, off
.LBB18_1885:
	s_mov_b32 s0, 0
	s_branch .LBB18_1887
.LBB18_1886:
	s_mov_b32 s0, -1
	s_mov_b32 s7, 0
.LBB18_1887:
	s_and_b32 vcc_lo, exec_lo, s0
	s_cbranch_vccz .LBB18_1926
; %bb.1888:
	s_and_b32 s0, 0xffff, s12
	s_mov_b32 s3, -1
	s_cmp_lt_i32 s0, 5
	s_cbranch_scc1 .LBB18_1909
; %bb.1889:
	s_cmp_lt_i32 s0, 8
	s_cbranch_scc1 .LBB18_1899
; %bb.1890:
	;; [unrolled: 3-line block ×3, first 2 shown]
	s_cmp_gt_i32 s0, 9
	s_cbranch_scc0 .LBB18_1893
; %bb.1892:
	s_wait_xcnt 0x0
	v_cvt_f64_f32_e32 v[10:11], v2
	v_mov_b32_e32 v12, 0
	s_mov_b32 s3, 0
	s_delay_alu instid0(VALU_DEP_1)
	v_mov_b32_e32 v13, v12
	global_store_b128 v[8:9], v[10:13], off
.LBB18_1893:
	s_and_not1_b32 vcc_lo, exec_lo, s3
	s_cbranch_vccnz .LBB18_1895
; %bb.1894:
	s_wait_xcnt 0x0
	v_mov_b32_e32 v3, 0
	global_store_b64 v[8:9], v[2:3], off
.LBB18_1895:
	s_mov_b32 s3, 0
.LBB18_1896:
	s_delay_alu instid0(SALU_CYCLE_1)
	s_and_not1_b32 vcc_lo, exec_lo, s3
	s_cbranch_vccnz .LBB18_1898
; %bb.1897:
	s_wait_xcnt 0x0
	v_cvt_f16_f32_e32 v1, v2
	s_delay_alu instid0(VALU_DEP_1)
	v_and_b32_e32 v1, 0xffff, v1
	global_store_b32 v[8:9], v1, off
.LBB18_1898:
	s_mov_b32 s3, 0
.LBB18_1899:
	s_delay_alu instid0(SALU_CYCLE_1)
	s_and_not1_b32 vcc_lo, exec_lo, s3
	s_cbranch_vccnz .LBB18_1908
; %bb.1900:
	s_cmp_lt_i32 s0, 6
	s_mov_b32 s3, -1
	s_cbranch_scc1 .LBB18_1906
; %bb.1901:
	s_cmp_gt_i32 s0, 6
	s_cbranch_scc0 .LBB18_1903
; %bb.1902:
	s_wait_xcnt 0x0
	v_cvt_f64_f32_e32 v[10:11], v2
	s_mov_b32 s3, 0
	global_store_b64 v[8:9], v[10:11], off
.LBB18_1903:
	s_and_not1_b32 vcc_lo, exec_lo, s3
	s_cbranch_vccnz .LBB18_1905
; %bb.1904:
	global_store_b32 v[8:9], v2, off
.LBB18_1905:
	s_mov_b32 s3, 0
.LBB18_1906:
	s_delay_alu instid0(SALU_CYCLE_1)
	s_and_not1_b32 vcc_lo, exec_lo, s3
	s_cbranch_vccnz .LBB18_1908
; %bb.1907:
	s_wait_xcnt 0x0
	v_cvt_f16_f32_e32 v1, v2
	global_store_b16 v[8:9], v1, off
.LBB18_1908:
	s_mov_b32 s3, 0
.LBB18_1909:
	s_delay_alu instid0(SALU_CYCLE_1)
	s_and_not1_b32 vcc_lo, exec_lo, s3
	s_cbranch_vccnz .LBB18_1925
; %bb.1910:
	s_cmp_lt_i32 s0, 2
	s_mov_b32 s3, -1
	s_cbranch_scc1 .LBB18_1920
; %bb.1911:
	s_cmp_lt_i32 s0, 3
	s_cbranch_scc1 .LBB18_1917
; %bb.1912:
	s_cmp_gt_i32 s0, 3
	s_cbranch_scc0 .LBB18_1914
; %bb.1913:
	s_wait_xcnt 0x0
	v_trunc_f32_e32 v1, v2
	s_mov_b32 s3, 0
	s_delay_alu instid0(VALU_DEP_1) | instskip(SKIP_1) | instid1(VALU_DEP_2)
	v_mul_f32_e64 v3, 0x2f800000, |v1|
	v_ashrrev_i32_e32 v10, 31, v1
	v_floor_f32_e32 v3, v3
	s_delay_alu instid0(VALU_DEP_1) | instskip(SKIP_1) | instid1(VALU_DEP_4)
	v_fma_f32 v5, 0xcf800000, v3, |v1|
	v_cvt_u32_f32_e32 v1, v3
	v_mov_b32_e32 v11, v10
	s_delay_alu instid0(VALU_DEP_3) | instskip(NEXT) | instid1(VALU_DEP_3)
	v_cvt_u32_f32_e32 v3, v5
	v_xor_b32_e32 v13, v1, v10
	s_delay_alu instid0(VALU_DEP_2) | instskip(NEXT) | instid1(VALU_DEP_1)
	v_xor_b32_e32 v12, v3, v10
	v_sub_nc_u64_e32 v[10:11], v[12:13], v[10:11]
	global_store_b64 v[8:9], v[10:11], off
.LBB18_1914:
	s_and_not1_b32 vcc_lo, exec_lo, s3
	s_cbranch_vccnz .LBB18_1916
; %bb.1915:
	s_wait_xcnt 0x0
	v_cvt_i32_f32_e32 v1, v2
	global_store_b32 v[8:9], v1, off
.LBB18_1916:
	s_mov_b32 s3, 0
.LBB18_1917:
	s_delay_alu instid0(SALU_CYCLE_1)
	s_and_not1_b32 vcc_lo, exec_lo, s3
	s_cbranch_vccnz .LBB18_1919
; %bb.1918:
	s_wait_xcnt 0x0
	v_cvt_i32_f32_e32 v1, v2
	global_store_b16 v[8:9], v1, off
.LBB18_1919:
	s_mov_b32 s3, 0
.LBB18_1920:
	s_delay_alu instid0(SALU_CYCLE_1)
	s_and_not1_b32 vcc_lo, exec_lo, s3
	s_cbranch_vccnz .LBB18_1925
; %bb.1921:
	s_cmp_gt_i32 s0, 0
	s_mov_b32 s0, -1
	s_cbranch_scc0 .LBB18_1923
; %bb.1922:
	s_wait_xcnt 0x0
	v_cvt_i32_f32_e32 v1, v2
	s_mov_b32 s0, 0
	global_store_b8 v[8:9], v1, off
.LBB18_1923:
	s_and_not1_b32 vcc_lo, exec_lo, s0
	s_cbranch_vccnz .LBB18_1925
; %bb.1924:
	s_wait_xcnt 0x0
	v_trunc_f32_e32 v1, v2
	s_delay_alu instid0(VALU_DEP_1) | instskip(NEXT) | instid1(VALU_DEP_1)
	v_mul_f32_e64 v2, 0x2f800000, |v1|
	v_floor_f32_e32 v2, v2
	s_delay_alu instid0(VALU_DEP_1) | instskip(SKIP_1) | instid1(VALU_DEP_2)
	v_fma_f32 v2, 0xcf800000, v2, |v1|
	v_ashrrev_i32_e32 v1, 31, v1
	v_cvt_u32_f32_e32 v2, v2
	s_delay_alu instid0(VALU_DEP_1) | instskip(NEXT) | instid1(VALU_DEP_1)
	v_xor_b32_e32 v2, v2, v1
	v_sub_nc_u32_e32 v1, v2, v1
	global_store_b8 v[8:9], v1, off
.LBB18_1925:
	s_mov_b32 s7, -1
.LBB18_1926:
	s_delay_alu instid0(SALU_CYCLE_1)
	s_and_not1_b32 vcc_lo, exec_lo, s7
	s_cbranch_vccnz .LBB18_2122
; %bb.1927:
	v_add_nc_u32_e32 v0, s2, v0
	s_cmp_lt_i32 s12, 11
	s_wait_xcnt 0x0
	s_delay_alu instid0(VALU_DEP_1) | instskip(NEXT) | instid1(VALU_DEP_1)
	v_ashrrev_i32_e32 v1, 31, v0
	v_add_nc_u64_e32 v[2:3], s[4:5], v[0:1]
	s_cbranch_scc1 .LBB18_2005
; %bb.1928:
	s_and_b32 s3, 0xffff, s12
	s_mov_b32 s8, -1
	s_mov_b32 s6, 0
	s_cmp_gt_i32 s3, 25
	s_mov_b32 s7, 0
	s_mov_b32 s0, 0
	s_cbranch_scc0 .LBB18_1961
; %bb.1929:
	s_cmp_gt_i32 s3, 28
	s_cbranch_scc0 .LBB18_1944
; %bb.1930:
	s_cmp_gt_i32 s3, 43
	;; [unrolled: 3-line block ×3, first 2 shown]
	s_cbranch_scc0 .LBB18_1934
; %bb.1932:
	s_mov_b32 s0, -1
	s_mov_b32 s8, 0
	s_cmp_eq_u32 s3, 46
	s_cbranch_scc0 .LBB18_1934
; %bb.1933:
	v_bfe_u32 v1, v4, 16, 1
	v_cmp_o_f32_e32 vcc_lo, v4, v4
	s_mov_b32 s0, 0
	s_mov_b32 s7, -1
	s_delay_alu instid0(VALU_DEP_2) | instskip(NEXT) | instid1(VALU_DEP_1)
	v_add3_u32 v1, v4, v1, 0x7fff
	v_lshrrev_b32_e32 v1, 16, v1
	s_delay_alu instid0(VALU_DEP_1)
	v_cndmask_b32_e32 v1, 0x7fc0, v1, vcc_lo
	global_store_b32 v[2:3], v1, off
.LBB18_1934:
	s_and_b32 vcc_lo, exec_lo, s8
	s_cbranch_vccz .LBB18_1939
; %bb.1935:
	s_cmp_eq_u32 s3, 44
	s_mov_b32 s0, -1
	s_cbranch_scc0 .LBB18_1939
; %bb.1936:
	v_bfe_u32 v5, v4, 23, 8
	s_wait_xcnt 0x0
	v_mov_b32_e32 v1, 0xff
	s_mov_b32 s7, exec_lo
	s_delay_alu instid0(VALU_DEP_2)
	v_cmpx_ne_u32_e32 0xff, v5
	s_cbranch_execz .LBB18_1938
; %bb.1937:
	v_and_b32_e32 v1, 0x400000, v4
	v_and_or_b32 v5, 0x3fffff, v4, v5
	s_delay_alu instid0(VALU_DEP_2) | instskip(NEXT) | instid1(VALU_DEP_2)
	v_cmp_ne_u32_e32 vcc_lo, 0, v1
	v_cmp_ne_u32_e64 s0, 0, v5
	v_lshrrev_b32_e32 v1, 23, v4
	s_and_b32 s0, vcc_lo, s0
	s_delay_alu instid0(SALU_CYCLE_1) | instskip(NEXT) | instid1(VALU_DEP_1)
	v_cndmask_b32_e64 v5, 0, 1, s0
	v_add_nc_u32_e32 v1, v1, v5
.LBB18_1938:
	s_or_b32 exec_lo, exec_lo, s7
	s_mov_b32 s0, 0
	s_mov_b32 s7, -1
	global_store_b8 v[2:3], v1, off
.LBB18_1939:
	s_mov_b32 s8, 0
.LBB18_1940:
	s_delay_alu instid0(SALU_CYCLE_1)
	s_and_b32 vcc_lo, exec_lo, s8
	s_cbranch_vccz .LBB18_1943
; %bb.1941:
	s_cmp_eq_u32 s3, 29
	s_mov_b32 s0, -1
	s_cbranch_scc0 .LBB18_1943
; %bb.1942:
	s_wait_xcnt 0x0
	v_trunc_f32_e32 v1, v4
	s_mov_b32 s0, 0
	s_mov_b32 s7, -1
	s_delay_alu instid0(VALU_DEP_1) | instskip(NEXT) | instid1(VALU_DEP_1)
	v_mul_f32_e32 v5, 0x2f800000, v1
	v_floor_f32_e32 v5, v5
	s_delay_alu instid0(VALU_DEP_1) | instskip(SKIP_1) | instid1(VALU_DEP_2)
	v_fmamk_f32 v1, v5, 0xcf800000, v1
	v_cvt_u32_f32_e32 v9, v5
	v_cvt_u32_f32_e32 v8, v1
	global_store_b64 v[2:3], v[8:9], off
.LBB18_1943:
	s_mov_b32 s8, 0
.LBB18_1944:
	s_delay_alu instid0(SALU_CYCLE_1)
	s_and_b32 vcc_lo, exec_lo, s8
	s_cbranch_vccz .LBB18_1960
; %bb.1945:
	s_cmp_lt_i32 s3, 27
	s_mov_b32 s7, -1
	s_cbranch_scc1 .LBB18_1951
; %bb.1946:
	s_wait_xcnt 0x0
	v_cvt_u32_f32_e32 v1, v4
	s_cmp_gt_i32 s3, 27
	s_cbranch_scc0 .LBB18_1948
; %bb.1947:
	s_mov_b32 s7, 0
	global_store_b32 v[2:3], v1, off
.LBB18_1948:
	s_and_not1_b32 vcc_lo, exec_lo, s7
	s_cbranch_vccnz .LBB18_1950
; %bb.1949:
	global_store_b16 v[2:3], v1, off
.LBB18_1950:
	s_mov_b32 s7, 0
.LBB18_1951:
	s_delay_alu instid0(SALU_CYCLE_1)
	s_and_not1_b32 vcc_lo, exec_lo, s7
	s_cbranch_vccnz .LBB18_1959
; %bb.1952:
	s_wait_xcnt 0x0
	v_and_b32_e32 v1, 0x7fffffff, v4
	v_mov_b32_e32 v5, 0x80
	s_mov_b32 s7, exec_lo
	s_delay_alu instid0(VALU_DEP_2)
	v_cmpx_gt_u32_e32 0x43800000, v1
	s_cbranch_execz .LBB18_1958
; %bb.1953:
	v_cmp_lt_u32_e32 vcc_lo, 0x3bffffff, v1
	s_mov_b32 s8, 0
                                        ; implicit-def: $vgpr1
	s_and_saveexec_b32 s9, vcc_lo
	s_delay_alu instid0(SALU_CYCLE_1)
	s_xor_b32 s9, exec_lo, s9
	s_cbranch_execz .LBB18_2135
; %bb.1954:
	v_bfe_u32 v1, v4, 20, 1
	s_mov_b32 s8, exec_lo
	s_delay_alu instid0(VALU_DEP_1) | instskip(NEXT) | instid1(VALU_DEP_1)
	v_add3_u32 v1, v4, v1, 0x487ffff
	v_lshrrev_b32_e32 v1, 20, v1
	s_and_not1_saveexec_b32 s9, s9
	s_cbranch_execnz .LBB18_2136
.LBB18_1955:
	s_or_b32 exec_lo, exec_lo, s9
	v_mov_b32_e32 v5, 0
	s_and_saveexec_b32 s9, s8
.LBB18_1956:
	v_lshrrev_b32_e32 v5, 24, v4
	s_delay_alu instid0(VALU_DEP_1)
	v_and_or_b32 v5, 0x80, v5, v1
.LBB18_1957:
	s_or_b32 exec_lo, exec_lo, s9
.LBB18_1958:
	s_delay_alu instid0(SALU_CYCLE_1)
	s_or_b32 exec_lo, exec_lo, s7
	global_store_b8 v[2:3], v5, off
.LBB18_1959:
	s_mov_b32 s7, -1
.LBB18_1960:
	s_mov_b32 s8, 0
.LBB18_1961:
	s_delay_alu instid0(SALU_CYCLE_1)
	s_and_b32 vcc_lo, exec_lo, s8
	s_cbranch_vccz .LBB18_2001
; %bb.1962:
	s_cmp_gt_i32 s3, 22
	s_mov_b32 s6, -1
	s_cbranch_scc0 .LBB18_1994
; %bb.1963:
	s_cmp_lt_i32 s3, 24
	s_cbranch_scc1 .LBB18_1983
; %bb.1964:
	s_cmp_gt_i32 s3, 24
	s_cbranch_scc0 .LBB18_1972
; %bb.1965:
	s_wait_xcnt 0x0
	v_and_b32_e32 v1, 0x7fffffff, v4
	v_mov_b32_e32 v5, 0x80
	s_mov_b32 s6, exec_lo
	s_delay_alu instid0(VALU_DEP_2)
	v_cmpx_gt_u32_e32 0x47800000, v1
	s_cbranch_execz .LBB18_1971
; %bb.1966:
	v_cmp_lt_u32_e32 vcc_lo, 0x37ffffff, v1
	s_mov_b32 s7, 0
                                        ; implicit-def: $vgpr1
	s_and_saveexec_b32 s8, vcc_lo
	s_delay_alu instid0(SALU_CYCLE_1)
	s_xor_b32 s8, exec_lo, s8
	s_cbranch_execz .LBB18_2138
; %bb.1967:
	v_bfe_u32 v1, v4, 21, 1
	s_mov_b32 s7, exec_lo
	s_delay_alu instid0(VALU_DEP_1) | instskip(NEXT) | instid1(VALU_DEP_1)
	v_add3_u32 v1, v4, v1, 0x88fffff
	v_lshrrev_b32_e32 v1, 21, v1
	s_and_not1_saveexec_b32 s8, s8
	s_cbranch_execnz .LBB18_2139
.LBB18_1968:
	s_or_b32 exec_lo, exec_lo, s8
	v_mov_b32_e32 v5, 0
	s_and_saveexec_b32 s8, s7
.LBB18_1969:
	v_lshrrev_b32_e32 v5, 24, v4
	s_delay_alu instid0(VALU_DEP_1)
	v_and_or_b32 v5, 0x80, v5, v1
.LBB18_1970:
	s_or_b32 exec_lo, exec_lo, s8
.LBB18_1971:
	s_delay_alu instid0(SALU_CYCLE_1)
	s_or_b32 exec_lo, exec_lo, s6
	s_mov_b32 s6, 0
	global_store_b8 v[2:3], v5, off
.LBB18_1972:
	s_and_b32 vcc_lo, exec_lo, s6
	s_cbranch_vccz .LBB18_1982
; %bb.1973:
	s_wait_xcnt 0x0
	v_and_b32_e32 v5, 0x7fffffff, v4
	s_mov_b32 s6, exec_lo
                                        ; implicit-def: $vgpr1
	s_delay_alu instid0(VALU_DEP_1)
	v_cmpx_gt_u32_e32 0x43f00000, v5
	s_xor_b32 s6, exec_lo, s6
	s_cbranch_execz .LBB18_1979
; %bb.1974:
	s_mov_b32 s7, exec_lo
                                        ; implicit-def: $vgpr1
	v_cmpx_lt_u32_e32 0x3c7fffff, v5
	s_xor_b32 s7, exec_lo, s7
; %bb.1975:
	v_bfe_u32 v1, v4, 20, 1
	s_delay_alu instid0(VALU_DEP_1) | instskip(NEXT) | instid1(VALU_DEP_1)
	v_add3_u32 v1, v4, v1, 0x407ffff
	v_and_b32_e32 v5, 0xff00000, v1
	v_lshrrev_b32_e32 v1, 20, v1
	s_delay_alu instid0(VALU_DEP_2) | instskip(NEXT) | instid1(VALU_DEP_2)
	v_cmp_ne_u32_e32 vcc_lo, 0x7f00000, v5
	v_cndmask_b32_e32 v1, 0x7e, v1, vcc_lo
; %bb.1976:
	s_and_not1_saveexec_b32 s7, s7
; %bb.1977:
	v_add_f32_e64 v1, 0x46800000, |v4|
; %bb.1978:
	s_or_b32 exec_lo, exec_lo, s7
                                        ; implicit-def: $vgpr5
.LBB18_1979:
	s_and_not1_saveexec_b32 s6, s6
; %bb.1980:
	v_mov_b32_e32 v1, 0x7f
	v_cmp_lt_u32_e32 vcc_lo, 0x7f800000, v5
	s_delay_alu instid0(VALU_DEP_2)
	v_cndmask_b32_e32 v1, 0x7e, v1, vcc_lo
; %bb.1981:
	s_or_b32 exec_lo, exec_lo, s6
	v_lshrrev_b32_e32 v5, 24, v4
	s_delay_alu instid0(VALU_DEP_1)
	v_and_or_b32 v1, 0x80, v5, v1
	global_store_b8 v[2:3], v1, off
.LBB18_1982:
	s_mov_b32 s6, 0
.LBB18_1983:
	s_delay_alu instid0(SALU_CYCLE_1)
	s_and_not1_b32 vcc_lo, exec_lo, s6
	s_cbranch_vccnz .LBB18_1993
; %bb.1984:
	s_wait_xcnt 0x0
	v_and_b32_e32 v5, 0x7fffffff, v4
	s_mov_b32 s6, exec_lo
                                        ; implicit-def: $vgpr1
	s_delay_alu instid0(VALU_DEP_1)
	v_cmpx_gt_u32_e32 0x47800000, v5
	s_xor_b32 s6, exec_lo, s6
	s_cbranch_execz .LBB18_1990
; %bb.1985:
	s_mov_b32 s7, exec_lo
                                        ; implicit-def: $vgpr1
	v_cmpx_lt_u32_e32 0x387fffff, v5
	s_xor_b32 s7, exec_lo, s7
; %bb.1986:
	v_bfe_u32 v1, v4, 21, 1
	s_delay_alu instid0(VALU_DEP_1) | instskip(NEXT) | instid1(VALU_DEP_1)
	v_add3_u32 v1, v4, v1, 0x80fffff
	v_lshrrev_b32_e32 v1, 21, v1
; %bb.1987:
	s_and_not1_saveexec_b32 s7, s7
; %bb.1988:
	v_add_f32_e64 v1, 0x43000000, |v4|
; %bb.1989:
	s_or_b32 exec_lo, exec_lo, s7
                                        ; implicit-def: $vgpr5
.LBB18_1990:
	s_and_not1_saveexec_b32 s6, s6
; %bb.1991:
	v_mov_b32_e32 v1, 0x7f
	v_cmp_lt_u32_e32 vcc_lo, 0x7f800000, v5
	s_delay_alu instid0(VALU_DEP_2)
	v_cndmask_b32_e32 v1, 0x7c, v1, vcc_lo
; %bb.1992:
	s_or_b32 exec_lo, exec_lo, s6
	v_lshrrev_b32_e32 v5, 24, v4
	s_delay_alu instid0(VALU_DEP_1)
	v_and_or_b32 v1, 0x80, v5, v1
	global_store_b8 v[2:3], v1, off
.LBB18_1993:
	s_mov_b32 s6, 0
	s_mov_b32 s7, -1
.LBB18_1994:
	s_and_not1_b32 vcc_lo, exec_lo, s6
	s_mov_b32 s6, 0
	s_cbranch_vccnz .LBB18_2001
; %bb.1995:
	s_cmp_gt_i32 s3, 14
	s_mov_b32 s6, -1
	s_cbranch_scc0 .LBB18_1999
; %bb.1996:
	s_cmp_eq_u32 s3, 15
	s_mov_b32 s0, -1
	s_cbranch_scc0 .LBB18_1998
; %bb.1997:
	s_wait_xcnt 0x0
	v_bfe_u32 v1, v4, 16, 1
	v_cmp_o_f32_e32 vcc_lo, v4, v4
	s_mov_b32 s0, 0
	s_mov_b32 s7, -1
	s_delay_alu instid0(VALU_DEP_2) | instskip(NEXT) | instid1(VALU_DEP_1)
	v_add3_u32 v1, v4, v1, 0x7fff
	v_lshrrev_b32_e32 v1, 16, v1
	s_delay_alu instid0(VALU_DEP_1)
	v_cndmask_b32_e32 v1, 0x7fc0, v1, vcc_lo
	global_store_b16 v[2:3], v1, off
.LBB18_1998:
	s_mov_b32 s6, 0
.LBB18_1999:
	s_delay_alu instid0(SALU_CYCLE_1)
	s_and_b32 vcc_lo, exec_lo, s6
	s_mov_b32 s6, 0
	s_cbranch_vccz .LBB18_2001
; %bb.2000:
	s_cmp_lg_u32 s3, 11
	s_mov_b32 s6, -1
	s_cselect_b32 s0, -1, 0
.LBB18_2001:
	s_delay_alu instid0(SALU_CYCLE_1)
	s_and_b32 vcc_lo, exec_lo, s0
	s_cbranch_vccnz .LBB18_2137
; %bb.2002:
	s_and_not1_b32 vcc_lo, exec_lo, s6
	s_cbranch_vccnz .LBB18_2004
.LBB18_2003:
	v_cmp_neq_f32_e32 vcc_lo, 0, v4
	s_mov_b32 s7, -1
	s_wait_xcnt 0x0
	v_cndmask_b32_e64 v1, 0, 1, vcc_lo
	global_store_b8 v[2:3], v1, off
.LBB18_2004:
	s_mov_b32 s0, 0
	s_branch .LBB18_2006
.LBB18_2005:
	s_mov_b32 s0, -1
	s_mov_b32 s7, 0
.LBB18_2006:
	s_and_b32 vcc_lo, exec_lo, s0
	s_cbranch_vccz .LBB18_2045
; %bb.2007:
	s_and_b32 s0, 0xffff, s12
	s_mov_b32 s3, -1
	s_cmp_lt_i32 s0, 5
	s_cbranch_scc1 .LBB18_2028
; %bb.2008:
	s_cmp_lt_i32 s0, 8
	s_cbranch_scc1 .LBB18_2018
; %bb.2009:
	s_cmp_lt_i32 s0, 9
	s_cbranch_scc1 .LBB18_2015
; %bb.2010:
	s_cmp_gt_i32 s0, 9
	s_cbranch_scc0 .LBB18_2012
; %bb.2011:
	s_wait_xcnt 0x0
	v_cvt_f64_f32_e32 v[8:9], v4
	v_mov_b32_e32 v10, 0
	s_mov_b32 s3, 0
	s_delay_alu instid0(VALU_DEP_1)
	v_mov_b32_e32 v11, v10
	global_store_b128 v[2:3], v[8:11], off
.LBB18_2012:
	s_and_not1_b32 vcc_lo, exec_lo, s3
	s_cbranch_vccnz .LBB18_2014
; %bb.2013:
	s_wait_xcnt 0x0
	v_mov_b32_e32 v5, 0
	global_store_b64 v[2:3], v[4:5], off
.LBB18_2014:
	s_mov_b32 s3, 0
.LBB18_2015:
	s_delay_alu instid0(SALU_CYCLE_1)
	s_and_not1_b32 vcc_lo, exec_lo, s3
	s_cbranch_vccnz .LBB18_2017
; %bb.2016:
	s_wait_xcnt 0x0
	v_cvt_f16_f32_e32 v1, v4
	s_delay_alu instid0(VALU_DEP_1)
	v_and_b32_e32 v1, 0xffff, v1
	global_store_b32 v[2:3], v1, off
.LBB18_2017:
	s_mov_b32 s3, 0
.LBB18_2018:
	s_delay_alu instid0(SALU_CYCLE_1)
	s_and_not1_b32 vcc_lo, exec_lo, s3
	s_cbranch_vccnz .LBB18_2027
; %bb.2019:
	s_cmp_lt_i32 s0, 6
	s_mov_b32 s3, -1
	s_cbranch_scc1 .LBB18_2025
; %bb.2020:
	s_cmp_gt_i32 s0, 6
	s_cbranch_scc0 .LBB18_2022
; %bb.2021:
	s_wait_xcnt 0x0
	v_cvt_f64_f32_e32 v[8:9], v4
	s_mov_b32 s3, 0
	global_store_b64 v[2:3], v[8:9], off
.LBB18_2022:
	s_and_not1_b32 vcc_lo, exec_lo, s3
	s_cbranch_vccnz .LBB18_2024
; %bb.2023:
	global_store_b32 v[2:3], v4, off
.LBB18_2024:
	s_mov_b32 s3, 0
.LBB18_2025:
	s_delay_alu instid0(SALU_CYCLE_1)
	s_and_not1_b32 vcc_lo, exec_lo, s3
	s_cbranch_vccnz .LBB18_2027
; %bb.2026:
	s_wait_xcnt 0x0
	v_cvt_f16_f32_e32 v1, v4
	global_store_b16 v[2:3], v1, off
.LBB18_2027:
	s_mov_b32 s3, 0
.LBB18_2028:
	s_delay_alu instid0(SALU_CYCLE_1)
	s_and_not1_b32 vcc_lo, exec_lo, s3
	s_cbranch_vccnz .LBB18_2044
; %bb.2029:
	s_cmp_lt_i32 s0, 2
	s_mov_b32 s3, -1
	s_cbranch_scc1 .LBB18_2039
; %bb.2030:
	s_cmp_lt_i32 s0, 3
	s_cbranch_scc1 .LBB18_2036
; %bb.2031:
	s_cmp_gt_i32 s0, 3
	s_cbranch_scc0 .LBB18_2033
; %bb.2032:
	s_wait_xcnt 0x0
	v_trunc_f32_e32 v1, v4
	s_mov_b32 s3, 0
	s_delay_alu instid0(VALU_DEP_1) | instskip(SKIP_1) | instid1(VALU_DEP_2)
	v_mul_f32_e64 v5, 0x2f800000, |v1|
	v_ashrrev_i32_e32 v8, 31, v1
	v_floor_f32_e32 v5, v5
	s_delay_alu instid0(VALU_DEP_1) | instskip(SKIP_1) | instid1(VALU_DEP_4)
	v_fma_f32 v7, 0xcf800000, v5, |v1|
	v_cvt_u32_f32_e32 v1, v5
	v_mov_b32_e32 v9, v8
	s_delay_alu instid0(VALU_DEP_3) | instskip(NEXT) | instid1(VALU_DEP_3)
	v_cvt_u32_f32_e32 v5, v7
	v_xor_b32_e32 v11, v1, v8
	s_delay_alu instid0(VALU_DEP_2) | instskip(NEXT) | instid1(VALU_DEP_1)
	v_xor_b32_e32 v10, v5, v8
	v_sub_nc_u64_e32 v[8:9], v[10:11], v[8:9]
	global_store_b64 v[2:3], v[8:9], off
.LBB18_2033:
	s_and_not1_b32 vcc_lo, exec_lo, s3
	s_cbranch_vccnz .LBB18_2035
; %bb.2034:
	s_wait_xcnt 0x0
	v_cvt_i32_f32_e32 v1, v4
	global_store_b32 v[2:3], v1, off
.LBB18_2035:
	s_mov_b32 s3, 0
.LBB18_2036:
	s_delay_alu instid0(SALU_CYCLE_1)
	s_and_not1_b32 vcc_lo, exec_lo, s3
	s_cbranch_vccnz .LBB18_2038
; %bb.2037:
	s_wait_xcnt 0x0
	v_cvt_i32_f32_e32 v1, v4
	global_store_b16 v[2:3], v1, off
.LBB18_2038:
	s_mov_b32 s3, 0
.LBB18_2039:
	s_delay_alu instid0(SALU_CYCLE_1)
	s_and_not1_b32 vcc_lo, exec_lo, s3
	s_cbranch_vccnz .LBB18_2044
; %bb.2040:
	s_cmp_gt_i32 s0, 0
	s_mov_b32 s0, -1
	s_cbranch_scc0 .LBB18_2042
; %bb.2041:
	s_wait_xcnt 0x0
	v_cvt_i32_f32_e32 v1, v4
	s_mov_b32 s0, 0
	global_store_b8 v[2:3], v1, off
.LBB18_2042:
	s_and_not1_b32 vcc_lo, exec_lo, s0
	s_cbranch_vccnz .LBB18_2044
; %bb.2043:
	s_wait_xcnt 0x0
	v_trunc_f32_e32 v1, v4
	s_delay_alu instid0(VALU_DEP_1) | instskip(NEXT) | instid1(VALU_DEP_1)
	v_mul_f32_e64 v4, 0x2f800000, |v1|
	v_floor_f32_e32 v4, v4
	s_delay_alu instid0(VALU_DEP_1) | instskip(SKIP_1) | instid1(VALU_DEP_2)
	v_fma_f32 v4, 0xcf800000, v4, |v1|
	v_ashrrev_i32_e32 v1, 31, v1
	v_cvt_u32_f32_e32 v4, v4
	s_delay_alu instid0(VALU_DEP_1) | instskip(NEXT) | instid1(VALU_DEP_1)
	v_xor_b32_e32 v4, v4, v1
	v_sub_nc_u32_e32 v1, v4, v1
	global_store_b8 v[2:3], v1, off
.LBB18_2044:
	s_mov_b32 s7, -1
.LBB18_2045:
	s_delay_alu instid0(SALU_CYCLE_1)
	s_and_not1_b32 vcc_lo, exec_lo, s7
	s_cbranch_vccnz .LBB18_2122
; %bb.2046:
	v_add_nc_u32_e32 v0, s2, v0
	s_cmp_lt_i32 s12, 11
	s_wait_xcnt 0x0
	s_delay_alu instid0(VALU_DEP_1) | instskip(NEXT) | instid1(VALU_DEP_1)
	v_ashrrev_i32_e32 v1, 31, v0
	v_add_nc_u64_e32 v[0:1], s[4:5], v[0:1]
	s_cbranch_scc1 .LBB18_2123
; %bb.2047:
	s_and_b32 s2, 0xffff, s12
	s_mov_b32 s4, -1
	s_mov_b32 s3, 0
	s_cmp_gt_i32 s2, 25
	s_mov_b32 s0, 0
	s_cbranch_scc0 .LBB18_2080
; %bb.2048:
	s_cmp_gt_i32 s2, 28
	s_cbranch_scc0 .LBB18_2064
; %bb.2049:
	s_cmp_gt_i32 s2, 43
	;; [unrolled: 3-line block ×3, first 2 shown]
	s_cbranch_scc0 .LBB18_2054
; %bb.2051:
	s_cmp_eq_u32 s2, 46
	s_mov_b32 s0, -1
	s_cbranch_scc0 .LBB18_2053
; %bb.2052:
	v_bfe_u32 v2, v6, 16, 1
	v_cmp_o_f32_e32 vcc_lo, v6, v6
	s_mov_b32 s0, 0
	s_delay_alu instid0(VALU_DEP_2) | instskip(NEXT) | instid1(VALU_DEP_1)
	v_add3_u32 v2, v6, v2, 0x7fff
	v_lshrrev_b32_e32 v2, 16, v2
	s_delay_alu instid0(VALU_DEP_1)
	v_cndmask_b32_e32 v2, 0x7fc0, v2, vcc_lo
	global_store_b32 v[0:1], v2, off
.LBB18_2053:
	s_mov_b32 s4, 0
.LBB18_2054:
	s_delay_alu instid0(SALU_CYCLE_1)
	s_and_b32 vcc_lo, exec_lo, s4
	s_cbranch_vccz .LBB18_2059
; %bb.2055:
	s_cmp_eq_u32 s2, 44
	s_mov_b32 s0, -1
	s_cbranch_scc0 .LBB18_2059
; %bb.2056:
	v_bfe_u32 v3, v6, 23, 8
	s_wait_xcnt 0x0
	v_mov_b32_e32 v2, 0xff
	s_mov_b32 s4, exec_lo
	s_delay_alu instid0(VALU_DEP_2)
	v_cmpx_ne_u32_e32 0xff, v3
	s_cbranch_execz .LBB18_2058
; %bb.2057:
	v_and_b32_e32 v2, 0x400000, v6
	v_and_or_b32 v3, 0x3fffff, v6, v3
	s_delay_alu instid0(VALU_DEP_2) | instskip(NEXT) | instid1(VALU_DEP_2)
	v_cmp_ne_u32_e32 vcc_lo, 0, v2
	v_cmp_ne_u32_e64 s0, 0, v3
	v_lshrrev_b32_e32 v2, 23, v6
	s_and_b32 s0, vcc_lo, s0
	s_delay_alu instid0(SALU_CYCLE_1) | instskip(NEXT) | instid1(VALU_DEP_1)
	v_cndmask_b32_e64 v3, 0, 1, s0
	v_add_nc_u32_e32 v2, v2, v3
.LBB18_2058:
	s_or_b32 exec_lo, exec_lo, s4
	s_mov_b32 s0, 0
	global_store_b8 v[0:1], v2, off
.LBB18_2059:
	s_mov_b32 s4, 0
.LBB18_2060:
	s_delay_alu instid0(SALU_CYCLE_1)
	s_and_b32 vcc_lo, exec_lo, s4
	s_cbranch_vccz .LBB18_2063
; %bb.2061:
	s_cmp_eq_u32 s2, 29
	s_mov_b32 s0, -1
	s_cbranch_scc0 .LBB18_2063
; %bb.2062:
	s_wait_xcnt 0x0
	v_trunc_f32_e32 v2, v6
	s_mov_b32 s0, 0
	s_delay_alu instid0(VALU_DEP_1) | instskip(NEXT) | instid1(VALU_DEP_1)
	v_mul_f32_e32 v3, 0x2f800000, v2
	v_floor_f32_e32 v3, v3
	s_delay_alu instid0(VALU_DEP_1) | instskip(SKIP_1) | instid1(VALU_DEP_2)
	v_fmamk_f32 v2, v3, 0xcf800000, v2
	v_cvt_u32_f32_e32 v3, v3
	v_cvt_u32_f32_e32 v2, v2
	global_store_b64 v[0:1], v[2:3], off
.LBB18_2063:
	s_mov_b32 s4, 0
.LBB18_2064:
	s_delay_alu instid0(SALU_CYCLE_1)
	s_and_b32 vcc_lo, exec_lo, s4
	s_cbranch_vccz .LBB18_2079
; %bb.2065:
	s_cmp_lt_i32 s2, 27
	s_mov_b32 s4, -1
	s_cbranch_scc1 .LBB18_2071
; %bb.2066:
	s_wait_xcnt 0x0
	v_cvt_u32_f32_e32 v2, v6
	s_cmp_gt_i32 s2, 27
	s_cbranch_scc0 .LBB18_2068
; %bb.2067:
	s_mov_b32 s4, 0
	global_store_b32 v[0:1], v2, off
.LBB18_2068:
	s_and_not1_b32 vcc_lo, exec_lo, s4
	s_cbranch_vccnz .LBB18_2070
; %bb.2069:
	global_store_b16 v[0:1], v2, off
.LBB18_2070:
	s_mov_b32 s4, 0
.LBB18_2071:
	s_delay_alu instid0(SALU_CYCLE_1)
	s_and_not1_b32 vcc_lo, exec_lo, s4
	s_cbranch_vccnz .LBB18_2079
; %bb.2072:
	s_wait_xcnt 0x0
	v_and_b32_e32 v2, 0x7fffffff, v6
	v_mov_b32_e32 v3, 0x80
	s_mov_b32 s4, exec_lo
	s_delay_alu instid0(VALU_DEP_2)
	v_cmpx_gt_u32_e32 0x43800000, v2
	s_cbranch_execz .LBB18_2078
; %bb.2073:
	v_cmp_lt_u32_e32 vcc_lo, 0x3bffffff, v2
	s_mov_b32 s5, 0
                                        ; implicit-def: $vgpr2
	s_and_saveexec_b32 s6, vcc_lo
	s_delay_alu instid0(SALU_CYCLE_1)
	s_xor_b32 s6, exec_lo, s6
	s_cbranch_execz .LBB18_2140
; %bb.2074:
	v_bfe_u32 v2, v6, 20, 1
	s_mov_b32 s5, exec_lo
	s_delay_alu instid0(VALU_DEP_1) | instskip(NEXT) | instid1(VALU_DEP_1)
	v_add3_u32 v2, v6, v2, 0x487ffff
	v_lshrrev_b32_e32 v2, 20, v2
	s_and_not1_saveexec_b32 s6, s6
	s_cbranch_execnz .LBB18_2141
.LBB18_2075:
	s_or_b32 exec_lo, exec_lo, s6
	v_mov_b32_e32 v3, 0
	s_and_saveexec_b32 s6, s5
.LBB18_2076:
	v_lshrrev_b32_e32 v3, 24, v6
	s_delay_alu instid0(VALU_DEP_1)
	v_and_or_b32 v3, 0x80, v3, v2
.LBB18_2077:
	s_or_b32 exec_lo, exec_lo, s6
.LBB18_2078:
	s_delay_alu instid0(SALU_CYCLE_1)
	s_or_b32 exec_lo, exec_lo, s4
	global_store_b8 v[0:1], v3, off
.LBB18_2079:
	s_mov_b32 s4, 0
.LBB18_2080:
	s_delay_alu instid0(SALU_CYCLE_1)
	s_and_b32 vcc_lo, exec_lo, s4
	s_cbranch_vccz .LBB18_2120
; %bb.2081:
	s_cmp_gt_i32 s2, 22
	s_mov_b32 s3, -1
	s_cbranch_scc0 .LBB18_2113
; %bb.2082:
	s_cmp_lt_i32 s2, 24
	s_cbranch_scc1 .LBB18_2102
; %bb.2083:
	s_cmp_gt_i32 s2, 24
	s_cbranch_scc0 .LBB18_2091
; %bb.2084:
	s_wait_xcnt 0x0
	v_and_b32_e32 v2, 0x7fffffff, v6
	v_mov_b32_e32 v3, 0x80
	s_mov_b32 s3, exec_lo
	s_delay_alu instid0(VALU_DEP_2)
	v_cmpx_gt_u32_e32 0x47800000, v2
	s_cbranch_execz .LBB18_2090
; %bb.2085:
	v_cmp_lt_u32_e32 vcc_lo, 0x37ffffff, v2
	s_mov_b32 s4, 0
                                        ; implicit-def: $vgpr2
	s_and_saveexec_b32 s5, vcc_lo
	s_delay_alu instid0(SALU_CYCLE_1)
	s_xor_b32 s5, exec_lo, s5
	s_cbranch_execz .LBB18_2143
; %bb.2086:
	v_bfe_u32 v2, v6, 21, 1
	s_mov_b32 s4, exec_lo
	s_delay_alu instid0(VALU_DEP_1) | instskip(NEXT) | instid1(VALU_DEP_1)
	v_add3_u32 v2, v6, v2, 0x88fffff
	v_lshrrev_b32_e32 v2, 21, v2
	s_and_not1_saveexec_b32 s5, s5
	s_cbranch_execnz .LBB18_2144
.LBB18_2087:
	s_or_b32 exec_lo, exec_lo, s5
	v_mov_b32_e32 v3, 0
	s_and_saveexec_b32 s5, s4
.LBB18_2088:
	v_lshrrev_b32_e32 v3, 24, v6
	s_delay_alu instid0(VALU_DEP_1)
	v_and_or_b32 v3, 0x80, v3, v2
.LBB18_2089:
	s_or_b32 exec_lo, exec_lo, s5
.LBB18_2090:
	s_delay_alu instid0(SALU_CYCLE_1)
	s_or_b32 exec_lo, exec_lo, s3
	s_mov_b32 s3, 0
	global_store_b8 v[0:1], v3, off
.LBB18_2091:
	s_and_b32 vcc_lo, exec_lo, s3
	s_cbranch_vccz .LBB18_2101
; %bb.2092:
	s_wait_xcnt 0x0
	v_and_b32_e32 v3, 0x7fffffff, v6
	s_mov_b32 s3, exec_lo
                                        ; implicit-def: $vgpr2
	s_delay_alu instid0(VALU_DEP_1)
	v_cmpx_gt_u32_e32 0x43f00000, v3
	s_xor_b32 s3, exec_lo, s3
	s_cbranch_execz .LBB18_2098
; %bb.2093:
	s_mov_b32 s4, exec_lo
                                        ; implicit-def: $vgpr2
	v_cmpx_lt_u32_e32 0x3c7fffff, v3
	s_xor_b32 s4, exec_lo, s4
; %bb.2094:
	v_bfe_u32 v2, v6, 20, 1
	s_delay_alu instid0(VALU_DEP_1) | instskip(NEXT) | instid1(VALU_DEP_1)
	v_add3_u32 v2, v6, v2, 0x407ffff
	v_and_b32_e32 v3, 0xff00000, v2
	v_lshrrev_b32_e32 v2, 20, v2
	s_delay_alu instid0(VALU_DEP_2) | instskip(NEXT) | instid1(VALU_DEP_2)
	v_cmp_ne_u32_e32 vcc_lo, 0x7f00000, v3
	v_cndmask_b32_e32 v2, 0x7e, v2, vcc_lo
; %bb.2095:
	s_and_not1_saveexec_b32 s4, s4
; %bb.2096:
	v_add_f32_e64 v2, 0x46800000, |v6|
; %bb.2097:
	s_or_b32 exec_lo, exec_lo, s4
                                        ; implicit-def: $vgpr3
.LBB18_2098:
	s_and_not1_saveexec_b32 s3, s3
; %bb.2099:
	v_mov_b32_e32 v2, 0x7f
	v_cmp_lt_u32_e32 vcc_lo, 0x7f800000, v3
	s_delay_alu instid0(VALU_DEP_2)
	v_cndmask_b32_e32 v2, 0x7e, v2, vcc_lo
; %bb.2100:
	s_or_b32 exec_lo, exec_lo, s3
	v_lshrrev_b32_e32 v3, 24, v6
	s_delay_alu instid0(VALU_DEP_1)
	v_and_or_b32 v2, 0x80, v3, v2
	global_store_b8 v[0:1], v2, off
.LBB18_2101:
	s_mov_b32 s3, 0
.LBB18_2102:
	s_delay_alu instid0(SALU_CYCLE_1)
	s_and_not1_b32 vcc_lo, exec_lo, s3
	s_cbranch_vccnz .LBB18_2112
; %bb.2103:
	s_wait_xcnt 0x0
	v_and_b32_e32 v3, 0x7fffffff, v6
	s_mov_b32 s3, exec_lo
                                        ; implicit-def: $vgpr2
	s_delay_alu instid0(VALU_DEP_1)
	v_cmpx_gt_u32_e32 0x47800000, v3
	s_xor_b32 s3, exec_lo, s3
	s_cbranch_execz .LBB18_2109
; %bb.2104:
	s_mov_b32 s4, exec_lo
                                        ; implicit-def: $vgpr2
	v_cmpx_lt_u32_e32 0x387fffff, v3
	s_xor_b32 s4, exec_lo, s4
; %bb.2105:
	v_bfe_u32 v2, v6, 21, 1
	s_delay_alu instid0(VALU_DEP_1) | instskip(NEXT) | instid1(VALU_DEP_1)
	v_add3_u32 v2, v6, v2, 0x80fffff
	v_lshrrev_b32_e32 v2, 21, v2
; %bb.2106:
	s_and_not1_saveexec_b32 s4, s4
; %bb.2107:
	v_add_f32_e64 v2, 0x43000000, |v6|
; %bb.2108:
	s_or_b32 exec_lo, exec_lo, s4
                                        ; implicit-def: $vgpr3
.LBB18_2109:
	s_and_not1_saveexec_b32 s3, s3
; %bb.2110:
	v_mov_b32_e32 v2, 0x7f
	v_cmp_lt_u32_e32 vcc_lo, 0x7f800000, v3
	s_delay_alu instid0(VALU_DEP_2)
	v_cndmask_b32_e32 v2, 0x7c, v2, vcc_lo
; %bb.2111:
	s_or_b32 exec_lo, exec_lo, s3
	v_lshrrev_b32_e32 v3, 24, v6
	s_delay_alu instid0(VALU_DEP_1)
	v_and_or_b32 v2, 0x80, v3, v2
	global_store_b8 v[0:1], v2, off
.LBB18_2112:
	s_mov_b32 s3, 0
.LBB18_2113:
	s_delay_alu instid0(SALU_CYCLE_1)
	s_and_not1_b32 vcc_lo, exec_lo, s3
	s_mov_b32 s3, 0
	s_cbranch_vccnz .LBB18_2120
; %bb.2114:
	s_cmp_gt_i32 s2, 14
	s_mov_b32 s3, -1
	s_cbranch_scc0 .LBB18_2118
; %bb.2115:
	s_cmp_eq_u32 s2, 15
	s_mov_b32 s0, -1
	s_cbranch_scc0 .LBB18_2117
; %bb.2116:
	s_wait_xcnt 0x0
	v_bfe_u32 v2, v6, 16, 1
	v_cmp_o_f32_e32 vcc_lo, v6, v6
	s_mov_b32 s0, 0
	s_delay_alu instid0(VALU_DEP_2) | instskip(NEXT) | instid1(VALU_DEP_1)
	v_add3_u32 v2, v6, v2, 0x7fff
	v_lshrrev_b32_e32 v2, 16, v2
	s_delay_alu instid0(VALU_DEP_1)
	v_cndmask_b32_e32 v2, 0x7fc0, v2, vcc_lo
	global_store_b16 v[0:1], v2, off
.LBB18_2117:
	s_mov_b32 s3, 0
.LBB18_2118:
	s_delay_alu instid0(SALU_CYCLE_1)
	s_and_b32 vcc_lo, exec_lo, s3
	s_mov_b32 s3, 0
	s_cbranch_vccz .LBB18_2120
; %bb.2119:
	s_cmp_lg_u32 s2, 11
	s_mov_b32 s3, -1
	s_cselect_b32 s0, -1, 0
.LBB18_2120:
	s_delay_alu instid0(SALU_CYCLE_1)
	s_and_b32 vcc_lo, exec_lo, s0
	s_cbranch_vccnz .LBB18_2142
.LBB18_2121:
	s_mov_b32 s0, 0
	s_branch .LBB18_1723
.LBB18_2122:
	s_mov_b32 s0, 0
	s_mov_b32 s3, 0
                                        ; implicit-def: $sgpr12
                                        ; implicit-def: $vgpr0_vgpr1
	s_branch .LBB18_1723
.LBB18_2123:
	s_mov_b32 s3, 0
	s_mov_b32 s0, -1
	s_branch .LBB18_1723
.LBB18_2124:
	s_or_b32 s1, s1, exec_lo
	s_trap 2
	s_cbranch_execz .LBB18_1580
	s_branch .LBB18_1581
.LBB18_2125:
	s_and_not1_saveexec_b32 s9, s9
	s_cbranch_execz .LBB18_1672
.LBB18_2126:
	v_add_f32_e64 v1, 0x46000000, |v0|
	s_and_not1_b32 s8, s8, exec_lo
	s_delay_alu instid0(VALU_DEP_1) | instskip(NEXT) | instid1(VALU_DEP_1)
	v_and_b32_e32 v1, 0xff, v1
	v_cmp_ne_u32_e32 vcc_lo, 0, v1
	s_and_b32 s13, vcc_lo, exec_lo
	s_delay_alu instid0(SALU_CYCLE_1)
	s_or_b32 s8, s8, s13
	s_or_b32 exec_lo, exec_lo, s9
	v_mov_b32_e32 v3, 0
	s_and_saveexec_b32 s9, s8
	s_cbranch_execnz .LBB18_1673
	s_branch .LBB18_1674
.LBB18_2127:
	s_or_b32 s1, s1, exec_lo
	s_trap 2
	s_cbranch_execz .LBB18_1720
	s_branch .LBB18_1721
.LBB18_2128:
	s_and_not1_saveexec_b32 s8, s8
	s_cbranch_execz .LBB18_1685
.LBB18_2129:
	v_add_f32_e64 v1, 0x42800000, |v0|
	s_and_not1_b32 s7, s7, exec_lo
	s_delay_alu instid0(VALU_DEP_1) | instskip(NEXT) | instid1(VALU_DEP_1)
	v_and_b32_e32 v1, 0xff, v1
	v_cmp_ne_u32_e32 vcc_lo, 0, v1
	s_and_b32 s9, vcc_lo, exec_lo
	s_delay_alu instid0(SALU_CYCLE_1)
	s_or_b32 s7, s7, s9
	s_or_b32 exec_lo, exec_lo, s8
	v_mov_b32_e32 v3, 0
	s_and_saveexec_b32 s8, s7
	s_cbranch_execnz .LBB18_1686
	s_branch .LBB18_1687
.LBB18_2130:
	s_and_not1_saveexec_b32 s9, s9
	s_cbranch_execz .LBB18_1836
.LBB18_2131:
	v_add_f32_e64 v1, 0x46000000, |v2|
	s_and_not1_b32 s8, s8, exec_lo
	s_delay_alu instid0(VALU_DEP_1) | instskip(NEXT) | instid1(VALU_DEP_1)
	v_and_b32_e32 v1, 0xff, v1
	v_cmp_ne_u32_e32 vcc_lo, 0, v1
	s_and_b32 s13, vcc_lo, exec_lo
	s_delay_alu instid0(SALU_CYCLE_1)
	s_or_b32 s8, s8, s13
	s_or_b32 exec_lo, exec_lo, s9
	v_mov_b32_e32 v3, 0
	s_and_saveexec_b32 s9, s8
	s_cbranch_execnz .LBB18_1837
	s_branch .LBB18_1838
.LBB18_2132:
	s_or_b32 s1, s1, exec_lo
	s_trap 2
	s_cbranch_execz .LBB18_1884
	s_branch .LBB18_1885
.LBB18_2133:
	s_and_not1_saveexec_b32 s8, s8
	s_cbranch_execz .LBB18_1849
.LBB18_2134:
	v_add_f32_e64 v1, 0x42800000, |v2|
	s_and_not1_b32 s7, s7, exec_lo
	s_delay_alu instid0(VALU_DEP_1) | instskip(NEXT) | instid1(VALU_DEP_1)
	v_and_b32_e32 v1, 0xff, v1
	v_cmp_ne_u32_e32 vcc_lo, 0, v1
	s_and_b32 s9, vcc_lo, exec_lo
	s_delay_alu instid0(SALU_CYCLE_1)
	s_or_b32 s7, s7, s9
	s_or_b32 exec_lo, exec_lo, s8
	v_mov_b32_e32 v3, 0
	s_and_saveexec_b32 s8, s7
	s_cbranch_execnz .LBB18_1850
	s_branch .LBB18_1851
.LBB18_2135:
	s_and_not1_saveexec_b32 s9, s9
	s_cbranch_execz .LBB18_1955
.LBB18_2136:
	v_add_f32_e64 v1, 0x46000000, |v4|
	s_and_not1_b32 s8, s8, exec_lo
	s_delay_alu instid0(VALU_DEP_1) | instskip(NEXT) | instid1(VALU_DEP_1)
	v_and_b32_e32 v1, 0xff, v1
	v_cmp_ne_u32_e32 vcc_lo, 0, v1
	s_and_b32 s13, vcc_lo, exec_lo
	s_delay_alu instid0(SALU_CYCLE_1)
	s_or_b32 s8, s8, s13
	s_or_b32 exec_lo, exec_lo, s9
	v_mov_b32_e32 v5, 0
	s_and_saveexec_b32 s9, s8
	s_cbranch_execnz .LBB18_1956
	s_branch .LBB18_1957
.LBB18_2137:
	s_or_b32 s1, s1, exec_lo
	s_trap 2
	s_cbranch_execz .LBB18_2003
	s_branch .LBB18_2004
.LBB18_2138:
	s_and_not1_saveexec_b32 s8, s8
	s_cbranch_execz .LBB18_1968
.LBB18_2139:
	v_add_f32_e64 v1, 0x42800000, |v4|
	s_and_not1_b32 s7, s7, exec_lo
	s_delay_alu instid0(VALU_DEP_1) | instskip(NEXT) | instid1(VALU_DEP_1)
	v_and_b32_e32 v1, 0xff, v1
	v_cmp_ne_u32_e32 vcc_lo, 0, v1
	s_and_b32 s9, vcc_lo, exec_lo
	s_delay_alu instid0(SALU_CYCLE_1)
	s_or_b32 s7, s7, s9
	s_or_b32 exec_lo, exec_lo, s8
	v_mov_b32_e32 v5, 0
	s_and_saveexec_b32 s8, s7
	s_cbranch_execnz .LBB18_1969
	s_branch .LBB18_1970
.LBB18_2140:
	s_and_not1_saveexec_b32 s6, s6
	s_cbranch_execz .LBB18_2075
.LBB18_2141:
	v_add_f32_e64 v2, 0x46000000, |v6|
	s_and_not1_b32 s5, s5, exec_lo
	s_delay_alu instid0(VALU_DEP_1) | instskip(NEXT) | instid1(VALU_DEP_1)
	v_and_b32_e32 v2, 0xff, v2
	v_cmp_ne_u32_e32 vcc_lo, 0, v2
	s_and_b32 s7, vcc_lo, exec_lo
	s_delay_alu instid0(SALU_CYCLE_1)
	s_or_b32 s5, s5, s7
	s_or_b32 exec_lo, exec_lo, s6
	v_mov_b32_e32 v3, 0
	s_and_saveexec_b32 s6, s5
	s_cbranch_execnz .LBB18_2076
	s_branch .LBB18_2077
.LBB18_2142:
	s_mov_b32 s3, 0
	s_or_b32 s1, s1, exec_lo
	s_trap 2
	s_branch .LBB18_2121
.LBB18_2143:
	s_and_not1_saveexec_b32 s5, s5
	s_cbranch_execz .LBB18_2087
.LBB18_2144:
	v_add_f32_e64 v2, 0x42800000, |v6|
	s_and_not1_b32 s4, s4, exec_lo
	s_delay_alu instid0(VALU_DEP_1) | instskip(NEXT) | instid1(VALU_DEP_1)
	v_and_b32_e32 v2, 0xff, v2
	v_cmp_ne_u32_e32 vcc_lo, 0, v2
	s_and_b32 s6, vcc_lo, exec_lo
	s_delay_alu instid0(SALU_CYCLE_1)
	s_or_b32 s4, s4, s6
	s_or_b32 exec_lo, exec_lo, s5
	v_mov_b32_e32 v3, 0
	s_and_saveexec_b32 s5, s4
	s_cbranch_execnz .LBB18_2088
	s_branch .LBB18_2089
	.section	.rodata,"a",@progbits
	.p2align	6, 0x0
	.amdhsa_kernel _ZN2at6native32elementwise_kernel_manual_unrollILi128ELi4EZNS0_15gpu_kernel_implIZZZNS0_12_GLOBAL__N_130modified_bessel_i1_kernel_cudaERNS_18TensorIteratorBaseEENKUlvE_clEvENKUlvE0_clEvEUlfE_EEvS5_RKT_EUlibE_EEviT1_
		.amdhsa_group_segment_fixed_size 0
		.amdhsa_private_segment_fixed_size 0
		.amdhsa_kernarg_size 40
		.amdhsa_user_sgpr_count 2
		.amdhsa_user_sgpr_dispatch_ptr 0
		.amdhsa_user_sgpr_queue_ptr 0
		.amdhsa_user_sgpr_kernarg_segment_ptr 1
		.amdhsa_user_sgpr_dispatch_id 0
		.amdhsa_user_sgpr_kernarg_preload_length 0
		.amdhsa_user_sgpr_kernarg_preload_offset 0
		.amdhsa_user_sgpr_private_segment_size 0
		.amdhsa_wavefront_size32 1
		.amdhsa_uses_dynamic_stack 0
		.amdhsa_enable_private_segment 0
		.amdhsa_system_sgpr_workgroup_id_x 1
		.amdhsa_system_sgpr_workgroup_id_y 0
		.amdhsa_system_sgpr_workgroup_id_z 0
		.amdhsa_system_sgpr_workgroup_info 0
		.amdhsa_system_vgpr_workitem_id 0
		.amdhsa_next_free_vgpr 16
		.amdhsa_next_free_sgpr 26
		.amdhsa_named_barrier_count 0
		.amdhsa_reserve_vcc 1
		.amdhsa_float_round_mode_32 0
		.amdhsa_float_round_mode_16_64 0
		.amdhsa_float_denorm_mode_32 3
		.amdhsa_float_denorm_mode_16_64 3
		.amdhsa_fp16_overflow 0
		.amdhsa_memory_ordered 1
		.amdhsa_forward_progress 1
		.amdhsa_inst_pref_size 255
		.amdhsa_round_robin_scheduling 0
		.amdhsa_exception_fp_ieee_invalid_op 0
		.amdhsa_exception_fp_denorm_src 0
		.amdhsa_exception_fp_ieee_div_zero 0
		.amdhsa_exception_fp_ieee_overflow 0
		.amdhsa_exception_fp_ieee_underflow 0
		.amdhsa_exception_fp_ieee_inexact 0
		.amdhsa_exception_int_div_zero 0
	.end_amdhsa_kernel
	.section	.text._ZN2at6native32elementwise_kernel_manual_unrollILi128ELi4EZNS0_15gpu_kernel_implIZZZNS0_12_GLOBAL__N_130modified_bessel_i1_kernel_cudaERNS_18TensorIteratorBaseEENKUlvE_clEvENKUlvE0_clEvEUlfE_EEvS5_RKT_EUlibE_EEviT1_,"axG",@progbits,_ZN2at6native32elementwise_kernel_manual_unrollILi128ELi4EZNS0_15gpu_kernel_implIZZZNS0_12_GLOBAL__N_130modified_bessel_i1_kernel_cudaERNS_18TensorIteratorBaseEENKUlvE_clEvENKUlvE0_clEvEUlfE_EEvS5_RKT_EUlibE_EEviT1_,comdat
.Lfunc_end18:
	.size	_ZN2at6native32elementwise_kernel_manual_unrollILi128ELi4EZNS0_15gpu_kernel_implIZZZNS0_12_GLOBAL__N_130modified_bessel_i1_kernel_cudaERNS_18TensorIteratorBaseEENKUlvE_clEvENKUlvE0_clEvEUlfE_EEvS5_RKT_EUlibE_EEviT1_, .Lfunc_end18-_ZN2at6native32elementwise_kernel_manual_unrollILi128ELi4EZNS0_15gpu_kernel_implIZZZNS0_12_GLOBAL__N_130modified_bessel_i1_kernel_cudaERNS_18TensorIteratorBaseEENKUlvE_clEvENKUlvE0_clEvEUlfE_EEvS5_RKT_EUlibE_EEviT1_
                                        ; -- End function
	.set _ZN2at6native32elementwise_kernel_manual_unrollILi128ELi4EZNS0_15gpu_kernel_implIZZZNS0_12_GLOBAL__N_130modified_bessel_i1_kernel_cudaERNS_18TensorIteratorBaseEENKUlvE_clEvENKUlvE0_clEvEUlfE_EEvS5_RKT_EUlibE_EEviT1_.num_vgpr, 16
	.set _ZN2at6native32elementwise_kernel_manual_unrollILi128ELi4EZNS0_15gpu_kernel_implIZZZNS0_12_GLOBAL__N_130modified_bessel_i1_kernel_cudaERNS_18TensorIteratorBaseEENKUlvE_clEvENKUlvE0_clEvEUlfE_EEvS5_RKT_EUlibE_EEviT1_.num_agpr, 0
	.set _ZN2at6native32elementwise_kernel_manual_unrollILi128ELi4EZNS0_15gpu_kernel_implIZZZNS0_12_GLOBAL__N_130modified_bessel_i1_kernel_cudaERNS_18TensorIteratorBaseEENKUlvE_clEvENKUlvE0_clEvEUlfE_EEvS5_RKT_EUlibE_EEviT1_.numbered_sgpr, 26
	.set _ZN2at6native32elementwise_kernel_manual_unrollILi128ELi4EZNS0_15gpu_kernel_implIZZZNS0_12_GLOBAL__N_130modified_bessel_i1_kernel_cudaERNS_18TensorIteratorBaseEENKUlvE_clEvENKUlvE0_clEvEUlfE_EEvS5_RKT_EUlibE_EEviT1_.num_named_barrier, 0
	.set _ZN2at6native32elementwise_kernel_manual_unrollILi128ELi4EZNS0_15gpu_kernel_implIZZZNS0_12_GLOBAL__N_130modified_bessel_i1_kernel_cudaERNS_18TensorIteratorBaseEENKUlvE_clEvENKUlvE0_clEvEUlfE_EEvS5_RKT_EUlibE_EEviT1_.private_seg_size, 0
	.set _ZN2at6native32elementwise_kernel_manual_unrollILi128ELi4EZNS0_15gpu_kernel_implIZZZNS0_12_GLOBAL__N_130modified_bessel_i1_kernel_cudaERNS_18TensorIteratorBaseEENKUlvE_clEvENKUlvE0_clEvEUlfE_EEvS5_RKT_EUlibE_EEviT1_.uses_vcc, 1
	.set _ZN2at6native32elementwise_kernel_manual_unrollILi128ELi4EZNS0_15gpu_kernel_implIZZZNS0_12_GLOBAL__N_130modified_bessel_i1_kernel_cudaERNS_18TensorIteratorBaseEENKUlvE_clEvENKUlvE0_clEvEUlfE_EEvS5_RKT_EUlibE_EEviT1_.uses_flat_scratch, 0
	.set _ZN2at6native32elementwise_kernel_manual_unrollILi128ELi4EZNS0_15gpu_kernel_implIZZZNS0_12_GLOBAL__N_130modified_bessel_i1_kernel_cudaERNS_18TensorIteratorBaseEENKUlvE_clEvENKUlvE0_clEvEUlfE_EEvS5_RKT_EUlibE_EEviT1_.has_dyn_sized_stack, 0
	.set _ZN2at6native32elementwise_kernel_manual_unrollILi128ELi4EZNS0_15gpu_kernel_implIZZZNS0_12_GLOBAL__N_130modified_bessel_i1_kernel_cudaERNS_18TensorIteratorBaseEENKUlvE_clEvENKUlvE0_clEvEUlfE_EEvS5_RKT_EUlibE_EEviT1_.has_recursion, 0
	.set _ZN2at6native32elementwise_kernel_manual_unrollILi128ELi4EZNS0_15gpu_kernel_implIZZZNS0_12_GLOBAL__N_130modified_bessel_i1_kernel_cudaERNS_18TensorIteratorBaseEENKUlvE_clEvENKUlvE0_clEvEUlfE_EEvS5_RKT_EUlibE_EEviT1_.has_indirect_call, 0
	.section	.AMDGPU.csdata,"",@progbits
; Kernel info:
; codeLenInByte = 53392
; TotalNumSgprs: 28
; NumVgprs: 16
; ScratchSize: 0
; MemoryBound: 1
; FloatMode: 240
; IeeeMode: 1
; LDSByteSize: 0 bytes/workgroup (compile time only)
; SGPRBlocks: 0
; VGPRBlocks: 0
; NumSGPRsForWavesPerEU: 28
; NumVGPRsForWavesPerEU: 16
; NamedBarCnt: 0
; Occupancy: 16
; WaveLimiterHint : 0
; COMPUTE_PGM_RSRC2:SCRATCH_EN: 0
; COMPUTE_PGM_RSRC2:USER_SGPR: 2
; COMPUTE_PGM_RSRC2:TRAP_HANDLER: 0
; COMPUTE_PGM_RSRC2:TGID_X_EN: 1
; COMPUTE_PGM_RSRC2:TGID_Y_EN: 0
; COMPUTE_PGM_RSRC2:TGID_Z_EN: 0
; COMPUTE_PGM_RSRC2:TIDIG_COMP_CNT: 0
	.section	.text._ZN2at6native32elementwise_kernel_manual_unrollILi128ELi4EZNS0_15gpu_kernel_implIZZZNS0_12_GLOBAL__N_130modified_bessel_i1_kernel_cudaERNS_18TensorIteratorBaseEENKUlvE_clEvENKUlvE0_clEvEUlfE_EEvS5_RKT_EUlibE0_EEviT1_,"axG",@progbits,_ZN2at6native32elementwise_kernel_manual_unrollILi128ELi4EZNS0_15gpu_kernel_implIZZZNS0_12_GLOBAL__N_130modified_bessel_i1_kernel_cudaERNS_18TensorIteratorBaseEENKUlvE_clEvENKUlvE0_clEvEUlfE_EEvS5_RKT_EUlibE0_EEviT1_,comdat
	.globl	_ZN2at6native32elementwise_kernel_manual_unrollILi128ELi4EZNS0_15gpu_kernel_implIZZZNS0_12_GLOBAL__N_130modified_bessel_i1_kernel_cudaERNS_18TensorIteratorBaseEENKUlvE_clEvENKUlvE0_clEvEUlfE_EEvS5_RKT_EUlibE0_EEviT1_ ; -- Begin function _ZN2at6native32elementwise_kernel_manual_unrollILi128ELi4EZNS0_15gpu_kernel_implIZZZNS0_12_GLOBAL__N_130modified_bessel_i1_kernel_cudaERNS_18TensorIteratorBaseEENKUlvE_clEvENKUlvE0_clEvEUlfE_EEvS5_RKT_EUlibE0_EEviT1_
	.p2align	8
	.type	_ZN2at6native32elementwise_kernel_manual_unrollILi128ELi4EZNS0_15gpu_kernel_implIZZZNS0_12_GLOBAL__N_130modified_bessel_i1_kernel_cudaERNS_18TensorIteratorBaseEENKUlvE_clEvENKUlvE0_clEvEUlfE_EEvS5_RKT_EUlibE0_EEviT1_,@function
_ZN2at6native32elementwise_kernel_manual_unrollILi128ELi4EZNS0_15gpu_kernel_implIZZZNS0_12_GLOBAL__N_130modified_bessel_i1_kernel_cudaERNS_18TensorIteratorBaseEENKUlvE_clEvENKUlvE0_clEvEUlfE_EEvS5_RKT_EUlibE0_EEviT1_: ; @_ZN2at6native32elementwise_kernel_manual_unrollILi128ELi4EZNS0_15gpu_kernel_implIZZZNS0_12_GLOBAL__N_130modified_bessel_i1_kernel_cudaERNS_18TensorIteratorBaseEENKUlvE_clEvENKUlvE0_clEvEUlfE_EEvS5_RKT_EUlibE0_EEviT1_
; %bb.0:
	s_clause 0x1
	s_load_b32 s28, s[0:1], 0x8
	s_load_b32 s36, s[0:1], 0x0
	s_bfe_u32 s2, ttmp6, 0x4000c
	s_and_b32 s3, ttmp6, 15
	s_add_co_i32 s2, s2, 1
	s_getreg_b32 s4, hwreg(HW_REG_IB_STS2, 6, 4)
	s_mul_i32 s2, ttmp9, s2
	s_mov_b32 s30, 0
	s_add_co_i32 s3, s3, s2
	s_cmp_eq_u32 s4, 0
	s_mov_b32 s22, -1
	s_cselect_b32 s2, ttmp9, s3
	s_mov_b32 s8, 0
	v_lshl_or_b32 v0, s2, 9, v0
	s_add_nc_u64 s[2:3], s[0:1], 8
	s_wait_xcnt 0x0
	s_mov_b32 s0, exec_lo
	s_delay_alu instid0(VALU_DEP_1) | instskip(SKIP_2) | instid1(SALU_CYCLE_1)
	v_or_b32_e32 v9, 0x180, v0
	s_wait_kmcnt 0x0
	s_add_co_i32 s29, s28, -1
	s_cmp_gt_u32 s29, 1
	s_cselect_b32 s31, -1, 0
	v_cmpx_le_i32_e64 s36, v9
	s_xor_b32 s33, exec_lo, s0
	s_cbranch_execz .LBB19_1144
; %bb.1:
	v_mov_b32_e32 v1, 0
	s_clause 0x3
	s_load_b128 s[12:15], s[2:3], 0x4
	s_load_b64 s[0:1], s[2:3], 0x14
	s_load_b128 s[8:11], s[2:3], 0xc4
	s_load_b128 s[4:7], s[2:3], 0x148
	s_cmp_lg_u32 s28, 0
	s_mov_b32 s17, 0
	s_cselect_b32 s38, -1, 0
	global_load_u16 v1, v1, s[2:3] offset:345
	s_min_u32 s37, s29, 15
	s_cmp_gt_u32 s28, 1
	s_add_nc_u64 s[20:21], s[2:3], 0xc4
	s_cselect_b32 s35, -1, 0
	s_mov_b32 s19, s17
	s_mov_b32 s40, s17
	;; [unrolled: 1-line block ×3, first 2 shown]
	s_mov_b32 s41, exec_lo
	s_wait_kmcnt 0x0
	s_mov_b32 s16, s13
	s_mov_b32 s18, s0
	s_wait_loadcnt 0x0
	v_readfirstlane_b32 s34, v1
	s_and_b32 s13, 0xffff, s34
	s_delay_alu instid0(SALU_CYCLE_1)
	s_lshr_b32 s13, s13, 8
	v_cmpx_gt_i32_e64 s36, v0
	s_cbranch_execz .LBB19_279
; %bb.2:
	s_and_not1_b32 vcc_lo, exec_lo, s31
	s_cbranch_vccnz .LBB19_8
; %bb.3:
	s_and_not1_b32 vcc_lo, exec_lo, s38
	s_cbranch_vccnz .LBB19_9
; %bb.4:
	s_add_co_i32 s0, s37, 1
	s_cmp_eq_u32 s29, 2
	s_cbranch_scc1 .LBB19_10
; %bb.5:
	v_dual_mov_b32 v2, 0 :: v_dual_mov_b32 v4, 0
	v_mov_b32_e32 v1, v0
	s_and_b32 s22, s0, 28
	s_mov_b32 s23, 0
	s_mov_b64 s[24:25], s[2:3]
	s_mov_b64 s[26:27], s[20:21]
.LBB19_6:                               ; =>This Inner Loop Header: Depth=1
	s_clause 0x1
	s_load_b256 s[44:51], s[24:25], 0x4
	s_load_b128 s[60:63], s[24:25], 0x24
	s_load_b256 s[52:59], s[26:27], 0x0
	s_add_co_i32 s23, s23, 4
	s_wait_xcnt 0x0
	s_add_nc_u64 s[24:25], s[24:25], 48
	s_cmp_lg_u32 s22, s23
	s_add_nc_u64 s[26:27], s[26:27], 32
	s_wait_kmcnt 0x0
	v_mul_hi_u32 v3, s45, v1
	s_delay_alu instid0(VALU_DEP_1) | instskip(NEXT) | instid1(VALU_DEP_1)
	v_add_nc_u32_e32 v3, v1, v3
	v_lshrrev_b32_e32 v3, s46, v3
	s_delay_alu instid0(VALU_DEP_1) | instskip(NEXT) | instid1(VALU_DEP_1)
	v_mul_hi_u32 v5, s48, v3
	v_add_nc_u32_e32 v5, v3, v5
	s_delay_alu instid0(VALU_DEP_1) | instskip(NEXT) | instid1(VALU_DEP_1)
	v_lshrrev_b32_e32 v5, s49, v5
	v_mul_hi_u32 v6, s51, v5
	s_delay_alu instid0(VALU_DEP_1) | instskip(SKIP_1) | instid1(VALU_DEP_1)
	v_add_nc_u32_e32 v6, v5, v6
	v_mul_lo_u32 v7, v3, s44
	v_sub_nc_u32_e32 v1, v1, v7
	v_mul_lo_u32 v7, v5, s47
	s_delay_alu instid0(VALU_DEP_4) | instskip(NEXT) | instid1(VALU_DEP_3)
	v_lshrrev_b32_e32 v6, s60, v6
	v_mad_u32 v4, v1, s53, v4
	v_mad_u32 v1, v1, s52, v2
	s_delay_alu instid0(VALU_DEP_4) | instskip(NEXT) | instid1(VALU_DEP_4)
	v_sub_nc_u32_e32 v2, v3, v7
	v_mul_hi_u32 v8, s62, v6
	v_mul_lo_u32 v3, v6, s50
	s_delay_alu instid0(VALU_DEP_3) | instskip(SKIP_1) | instid1(VALU_DEP_3)
	v_mad_u32 v4, v2, s55, v4
	v_mad_u32 v2, v2, s54, v1
	v_dual_add_nc_u32 v7, v6, v8 :: v_dual_sub_nc_u32 v3, v5, v3
	s_delay_alu instid0(VALU_DEP_1) | instskip(NEXT) | instid1(VALU_DEP_2)
	v_lshrrev_b32_e32 v1, s63, v7
	v_mad_u32 v4, v3, s57, v4
	s_delay_alu instid0(VALU_DEP_4) | instskip(NEXT) | instid1(VALU_DEP_3)
	v_mad_u32 v2, v3, s56, v2
	v_mul_lo_u32 v5, v1, s61
	s_delay_alu instid0(VALU_DEP_1) | instskip(NEXT) | instid1(VALU_DEP_1)
	v_sub_nc_u32_e32 v3, v6, v5
	v_mad_u32 v4, v3, s59, v4
	s_delay_alu instid0(VALU_DEP_4)
	v_mad_u32 v2, v3, s58, v2
	s_cbranch_scc1 .LBB19_6
; %bb.7:
	s_delay_alu instid0(VALU_DEP_2)
	v_mov_b32_e32 v3, v4
	s_and_b32 s0, s0, 3
	s_mov_b32 s23, 0
	s_cmp_eq_u32 s0, 0
	s_cbranch_scc0 .LBB19_11
	s_branch .LBB19_14
.LBB19_8:
                                        ; implicit-def: $vgpr4
                                        ; implicit-def: $vgpr2
	s_branch .LBB19_15
.LBB19_9:
	v_dual_mov_b32 v4, 0 :: v_dual_mov_b32 v2, 0
	s_branch .LBB19_14
.LBB19_10:
	v_mov_b64_e32 v[2:3], 0
	v_mov_b32_e32 v1, v0
	s_mov_b32 s22, 0
                                        ; implicit-def: $vgpr4
	s_and_b32 s0, s0, 3
	s_mov_b32 s23, 0
	s_cmp_eq_u32 s0, 0
	s_cbranch_scc1 .LBB19_14
.LBB19_11:
	s_lshl_b32 s24, s22, 3
	s_mov_b32 s25, s23
	s_mul_u64 s[26:27], s[22:23], 12
	s_add_nc_u64 s[24:25], s[2:3], s[24:25]
	s_delay_alu instid0(SALU_CYCLE_1)
	s_add_nc_u64 s[22:23], s[24:25], 0xc4
	s_add_nc_u64 s[24:25], s[2:3], s[26:27]
.LBB19_12:                              ; =>This Inner Loop Header: Depth=1
	s_load_b96 s[44:46], s[24:25], 0x4
	s_load_b64 s[26:27], s[22:23], 0x0
	s_add_co_i32 s0, s0, -1
	s_wait_xcnt 0x0
	s_add_nc_u64 s[24:25], s[24:25], 12
	s_cmp_lg_u32 s0, 0
	s_add_nc_u64 s[22:23], s[22:23], 8
	s_wait_kmcnt 0x0
	v_mul_hi_u32 v4, s45, v1
	s_delay_alu instid0(VALU_DEP_1) | instskip(NEXT) | instid1(VALU_DEP_1)
	v_add_nc_u32_e32 v4, v1, v4
	v_lshrrev_b32_e32 v4, s46, v4
	s_delay_alu instid0(VALU_DEP_1) | instskip(NEXT) | instid1(VALU_DEP_1)
	v_mul_lo_u32 v5, v4, s44
	v_sub_nc_u32_e32 v1, v1, v5
	s_delay_alu instid0(VALU_DEP_1)
	v_mad_u32 v3, v1, s27, v3
	v_mad_u32 v2, v1, s26, v2
	v_mov_b32_e32 v1, v4
	s_cbranch_scc1 .LBB19_12
; %bb.13:
	s_delay_alu instid0(VALU_DEP_3)
	v_mov_b32_e32 v4, v3
.LBB19_14:
	s_cbranch_execnz .LBB19_17
.LBB19_15:
	v_mov_b32_e32 v1, 0
	s_and_not1_b32 vcc_lo, exec_lo, s35
	s_delay_alu instid0(VALU_DEP_1) | instskip(NEXT) | instid1(VALU_DEP_1)
	v_mul_u64_e32 v[2:3], s[16:17], v[0:1]
	v_add_nc_u32_e32 v2, v0, v3
	s_delay_alu instid0(VALU_DEP_1) | instskip(NEXT) | instid1(VALU_DEP_1)
	v_lshrrev_b32_e32 v6, s14, v2
	v_mul_lo_u32 v2, v6, s12
	s_delay_alu instid0(VALU_DEP_1) | instskip(NEXT) | instid1(VALU_DEP_1)
	v_sub_nc_u32_e32 v2, v0, v2
	v_mul_lo_u32 v4, v2, s9
	v_mul_lo_u32 v2, v2, s8
	s_cbranch_vccnz .LBB19_17
; %bb.16:
	v_mov_b32_e32 v7, v1
	s_delay_alu instid0(VALU_DEP_1) | instskip(NEXT) | instid1(VALU_DEP_1)
	v_mul_u64_e32 v[8:9], s[18:19], v[6:7]
	v_add_nc_u32_e32 v1, v6, v9
	s_delay_alu instid0(VALU_DEP_1) | instskip(NEXT) | instid1(VALU_DEP_1)
	v_lshrrev_b32_e32 v1, s1, v1
	v_mul_lo_u32 v1, v1, s15
	s_delay_alu instid0(VALU_DEP_1) | instskip(NEXT) | instid1(VALU_DEP_1)
	v_sub_nc_u32_e32 v1, v6, v1
	v_mad_u32 v2, v1, s10, v2
	v_mad_u32 v4, v1, s11, v4
.LBB19_17:
	v_mov_b32_e32 v5, 0
	s_and_b32 s0, 0xffff, s13
	s_delay_alu instid0(SALU_CYCLE_1) | instskip(NEXT) | instid1(VALU_DEP_1)
	s_cmp_lt_i32 s0, 11
	v_add_nc_u64_e32 v[4:5], s[6:7], v[4:5]
	s_cbranch_scc1 .LBB19_24
; %bb.18:
	s_cmp_gt_i32 s0, 25
	s_cbranch_scc0 .LBB19_45
; %bb.19:
	s_cmp_gt_i32 s0, 28
	s_cbranch_scc0 .LBB19_48
	;; [unrolled: 3-line block ×4, first 2 shown]
; %bb.22:
	s_cmp_eq_u32 s0, 46
	s_mov_b32 s24, 0
	s_cbranch_scc0 .LBB19_54
; %bb.23:
	global_load_b32 v1, v[4:5], off
	s_mov_b32 s23, -1
	s_mov_b32 s22, 0
	s_wait_loadcnt 0x0
	v_lshlrev_b32_e32 v1, 16, v1
	s_branch .LBB19_56
.LBB19_24:
	s_mov_b32 s22, 0
	s_mov_b32 s23, 0
                                        ; implicit-def: $vgpr1
	s_cbranch_execnz .LBB19_229
.LBB19_25:
	s_and_not1_b32 vcc_lo, exec_lo, s23
	s_cbranch_vccnz .LBB19_276
.LBB19_26:
	s_mov_b32 s23, exec_lo
                                        ; implicit-def: $vgpr4
	s_wait_loadcnt 0x0
	s_delay_alu instid0(VALU_DEP_1)
	v_cmpx_ge_f32_e64 0x41000000, |v1|
	s_xor_b32 s23, exec_lo, s23
	s_cbranch_execz .LBB19_32
; %bb.27:
	v_fma_f32 v3, |v1|, 0.5, -2.0
	s_mov_b32 s0, 0x224cf950
	v_mul_f32_e64 v6, 0x3fb8aa3b, |v1|
	v_cmp_ngt_f32_e64 vcc_lo, 0xc2ce8ed0, |v1|
	s_delay_alu instid0(VALU_DEP_3) | instskip(SKIP_1) | instid1(VALU_DEP_4)
	v_fmaak_f32 v4, s0, v3, 0xa3c2be86
	v_cmp_nlt_f32_e64 s0, 0x42b17218, |v1|
	v_rndne_f32_e32 v7, v6
	v_fma_f32 v8, 0x3fb8aa3b, |v1|, -v6
	s_delay_alu instid0(VALU_DEP_2) | instskip(NEXT) | instid1(VALU_DEP_2)
	v_dual_fmaak_f32 v5, v3, v4, 0xa24cf950 :: v_dual_sub_f32 v6, v6, v7
	v_fma_f32 v8, 0x32a5705f, |v1|, v8
	s_delay_alu instid0(VALU_DEP_1) | instskip(NEXT) | instid1(VALU_DEP_1)
	v_dual_add_f32 v5, 0x25331f1f, v5 :: v_dual_add_f32 v6, v6, v8
	v_fma_f32 v4, v3, v5, -v4
	s_delay_alu instid0(VALU_DEP_1) | instskip(NEXT) | instid1(VALU_DEP_1)
	v_add_f32_e32 v4, 0xa69f5554, v4
	v_fma_f32 v5, v3, v4, -v5
	s_delay_alu instid0(VALU_DEP_1) | instskip(NEXT) | instid1(VALU_DEP_1)
	v_add_f32_e32 v5, 0x2808ebf8, v5
	;; [unrolled: 3-line block ×25, first 2 shown]
	v_fma_f32 v3, v3, v4, -v5
	v_exp_f32_e32 v4, v6
	v_nop
	v_cvt_i32_f32_e32 v6, v7
	s_delay_alu instid0(VALU_DEP_3)
	v_add_f32_e32 v3, 0x3e81531c, v3
	s_delay_alu instid0(TRANS32_DEP_1) | instid1(VALU_DEP_2)
	v_ldexp_f32 v4, v4, v6
	s_delay_alu instid0(VALU_DEP_1) | instskip(SKIP_1) | instid1(VALU_DEP_2)
	v_dual_sub_f32 v3, v3, v5 :: v_dual_cndmask_b32 v4, 0, v4
	v_cmp_ngt_f32_e32 vcc_lo, 0, v1
	v_mul_f32_e32 v3, 0.5, v3
	s_delay_alu instid0(VALU_DEP_1) | instskip(NEXT) | instid1(VALU_DEP_4)
	v_mul_f32_e64 v3, |v1|, v3
	v_cndmask_b32_e64 v1, 0x7f800000, v4, s0
                                        ; implicit-def: $vgpr4
	s_and_saveexec_b32 s0, vcc_lo
	s_delay_alu instid0(SALU_CYCLE_1)
	s_xor_b32 s0, exec_lo, s0
; %bb.28:
	s_delay_alu instid0(VALU_DEP_1)
	v_mul_f32_e32 v4, v1, v3
                                        ; implicit-def: $vgpr1
                                        ; implicit-def: $vgpr3
; %bb.29:
	s_and_not1_saveexec_b32 s0, s0
; %bb.30:
	v_mul_f32_e64 v4, v3, -v1
; %bb.31:
	s_or_b32 exec_lo, exec_lo, s0
                                        ; implicit-def: $vgpr1
.LBB19_32:
	s_and_not1_saveexec_b32 s23, s23
	s_cbranch_execz .LBB19_38
; %bb.33:
	v_and_b32_e32 v3, 0x7fffffff, v1
	s_mov_b32 s0, 0x230aab6e
	s_delay_alu instid0(VALU_DEP_1) | instskip(SKIP_1) | instid1(VALU_DEP_2)
	v_div_scale_f32 v4, null, v3, v3, 0x42000000
	v_div_scale_f32 v3, vcc_lo, 0x42000000, v3, 0x42000000
	v_rcp_f32_e32 v5, v4
	v_nop
	s_delay_alu instid0(TRANS32_DEP_1) | instskip(NEXT) | instid1(VALU_DEP_1)
	v_fma_f32 v6, -v4, v5, 1.0
	v_fmac_f32_e32 v5, v6, v5
	s_delay_alu instid0(VALU_DEP_1) | instskip(NEXT) | instid1(VALU_DEP_1)
	v_mul_f32_e32 v6, v3, v5
	v_fma_f32 v7, -v4, v6, v3
	s_delay_alu instid0(VALU_DEP_1) | instskip(NEXT) | instid1(VALU_DEP_1)
	v_fmac_f32_e32 v6, v7, v5
	v_fma_f32 v3, -v4, v6, v3
	s_delay_alu instid0(VALU_DEP_1) | instskip(SKIP_2) | instid1(VALU_DEP_3)
	v_div_fmas_f32 v3, v3, v5, v6
	v_mul_f32_e64 v6, 0x3fb8aa3b, |v1|
	v_cmp_ngt_f32_e64 vcc_lo, 0xc2ce8ed0, |v1|
	v_div_fixup_f32 v3, v3, |v1|, 0x42000000
	s_delay_alu instid0(VALU_DEP_3) | instskip(SKIP_1) | instid1(VALU_DEP_3)
	v_rndne_f32_e32 v7, v6
	v_fma_f32 v8, 0x3fb8aa3b, |v1|, -v6
	v_add_f32_e32 v3, -2.0, v3
	s_delay_alu instid0(VALU_DEP_3) | instskip(NEXT) | instid1(VALU_DEP_3)
	v_sub_f32_e32 v6, v6, v7
	v_fma_f32 v8, 0x32a5705f, |v1|, v8
	v_cvt_i32_f32_e32 v7, v7
	s_delay_alu instid0(VALU_DEP_4) | instskip(SKIP_1) | instid1(VALU_DEP_4)
	v_fmaak_f32 v4, s0, v3, 0x22a2dc57
	v_cmp_nlt_f32_e64 s0, 0x42b17218, |v1|
	v_add_f32_e32 v6, v6, v8
	s_delay_alu instid0(VALU_DEP_1) | instskip(SKIP_1) | instid1(TRANS32_DEP_1)
	v_exp_f32_e32 v6, v6
	v_nop
	v_ldexp_f32 v6, v6, v7
	v_fmaak_f32 v5, v3, v4, 0xa30aab6e
	s_delay_alu instid0(VALU_DEP_1) | instskip(NEXT) | instid1(VALU_DEP_1)
	v_add_f32_e32 v5, 0xa456751e, v5
	v_fma_f32 v4, v3, v5, -v4
	s_delay_alu instid0(VALU_DEP_1) | instskip(NEXT) | instid1(VALU_DEP_1)
	v_add_f32_e32 v4, 0xa4140365, v4
	v_fma_f32 v5, v3, v4, -v5
	;; [unrolled: 3-line block ×21, first 2 shown]
	s_delay_alu instid0(VALU_DEP_1) | instskip(NEXT) | instid1(VALU_DEP_1)
	v_add_f32_e32 v4, 0xbc1fed03, v4
	v_dual_fma_f32 v3, v3, v4, -v5 :: v_dual_cndmask_b32 v4, 0, v6, vcc_lo
	s_delay_alu instid0(VALU_DEP_1) | instskip(NEXT) | instid1(VALU_DEP_2)
	v_add_f32_e32 v6, 0x3f4750c6, v3
	v_cndmask_b32_e64 v3, 0x7f800000, v4, s0
                                        ; implicit-def: $vgpr4
	s_mov_b32 s0, exec_lo
	s_delay_alu instid0(VALU_DEP_2)
	v_sub_f32_e32 v5, v6, v5
	v_cmpx_ngt_f32_e32 0, v1
	s_xor_b32 s24, exec_lo, s0
	s_cbranch_execz .LBB19_35
; %bb.34:
	v_mul_f32_e64 v4, 0x4f800000, |v1|
	v_cmp_gt_f32_e64 vcc_lo, 0xf800000, |v1|
	v_mul_f32_e32 v5, 0.5, v5
	s_delay_alu instid0(VALU_DEP_2) | instskip(NEXT) | instid1(VALU_DEP_2)
	v_cndmask_b32_e64 v1, |v1|, v4, vcc_lo
	v_mul_f32_e32 v3, v3, v5
	s_delay_alu instid0(VALU_DEP_2) | instskip(SKIP_1) | instid1(TRANS32_DEP_1)
	v_sqrt_f32_e32 v4, v1
	v_nop
	v_dual_add_nc_u32 v6, -1, v4 :: v_dual_add_nc_u32 v7, 1, v4
	s_delay_alu instid0(VALU_DEP_1) | instskip(NEXT) | instid1(VALU_DEP_1)
	v_dual_fma_f32 v8, -v6, v4, v1 :: v_dual_fma_f32 v9, -v7, v4, v1
	v_cmp_ge_f32_e64 s0, 0, v8
	s_delay_alu instid0(VALU_DEP_1) | instskip(NEXT) | instid1(VALU_DEP_3)
	v_cndmask_b32_e64 v4, v4, v6, s0
	v_cmp_lt_f32_e64 s0, 0, v9
	s_delay_alu instid0(VALU_DEP_1) | instskip(NEXT) | instid1(VALU_DEP_1)
	v_cndmask_b32_e64 v4, v4, v7, s0
	v_mul_f32_e32 v6, 0x37800000, v4
	s_delay_alu instid0(VALU_DEP_1) | instskip(SKIP_1) | instid1(VALU_DEP_2)
	v_cndmask_b32_e32 v4, v4, v6, vcc_lo
	v_cmp_class_f32_e64 vcc_lo, v1, 0x260
	v_cndmask_b32_e32 v1, v4, v1, vcc_lo
	s_delay_alu instid0(VALU_DEP_1) | instskip(NEXT) | instid1(VALU_DEP_1)
	v_div_scale_f32 v4, null, v1, v1, v3
	v_rcp_f32_e32 v5, v4
	v_nop
	s_delay_alu instid0(TRANS32_DEP_1) | instskip(NEXT) | instid1(VALU_DEP_1)
	v_fma_f32 v6, -v4, v5, 1.0
	v_fmac_f32_e32 v5, v6, v5
	v_div_scale_f32 v6, vcc_lo, v3, v1, v3
	s_delay_alu instid0(VALU_DEP_1) | instskip(NEXT) | instid1(VALU_DEP_1)
	v_mul_f32_e32 v7, v6, v5
	v_fma_f32 v8, -v4, v7, v6
	s_delay_alu instid0(VALU_DEP_1) | instskip(NEXT) | instid1(VALU_DEP_1)
	v_fmac_f32_e32 v7, v8, v5
	v_fma_f32 v4, -v4, v7, v6
	s_delay_alu instid0(VALU_DEP_1) | instskip(NEXT) | instid1(VALU_DEP_1)
	v_div_fmas_f32 v4, v4, v5, v7
                                        ; implicit-def: $vgpr5
	v_div_fixup_f32 v4, v4, v1, v3
                                        ; implicit-def: $vgpr1
                                        ; implicit-def: $vgpr3
.LBB19_35:
	s_and_not1_saveexec_b32 s24, s24
	s_cbranch_execz .LBB19_37
; %bb.36:
	v_mul_f32_e64 v4, 0x4f800000, |v1|
	v_cmp_gt_f32_e64 vcc_lo, 0xf800000, |v1|
	v_mul_f32_e32 v5, -0.5, v5
	s_delay_alu instid0(VALU_DEP_2) | instskip(NEXT) | instid1(VALU_DEP_2)
	v_cndmask_b32_e64 v1, |v1|, v4, vcc_lo
	v_mul_f32_e32 v3, v3, v5
	s_delay_alu instid0(VALU_DEP_2) | instskip(SKIP_1) | instid1(TRANS32_DEP_1)
	v_sqrt_f32_e32 v4, v1
	v_nop
	v_dual_add_nc_u32 v6, -1, v4 :: v_dual_add_nc_u32 v7, 1, v4
	s_delay_alu instid0(VALU_DEP_1) | instskip(NEXT) | instid1(VALU_DEP_1)
	v_dual_fma_f32 v8, -v6, v4, v1 :: v_dual_fma_f32 v9, -v7, v4, v1
	v_cmp_ge_f32_e64 s0, 0, v8
	s_delay_alu instid0(VALU_DEP_1) | instskip(NEXT) | instid1(VALU_DEP_3)
	v_cndmask_b32_e64 v4, v4, v6, s0
	v_cmp_lt_f32_e64 s0, 0, v9
	s_delay_alu instid0(VALU_DEP_1) | instskip(NEXT) | instid1(VALU_DEP_1)
	v_cndmask_b32_e64 v4, v4, v7, s0
	v_mul_f32_e32 v6, 0x37800000, v4
	s_delay_alu instid0(VALU_DEP_1) | instskip(SKIP_1) | instid1(VALU_DEP_2)
	v_cndmask_b32_e32 v4, v4, v6, vcc_lo
	v_cmp_class_f32_e64 vcc_lo, v1, 0x260
	v_cndmask_b32_e32 v1, v4, v1, vcc_lo
	s_delay_alu instid0(VALU_DEP_1) | instskip(NEXT) | instid1(VALU_DEP_1)
	v_div_scale_f32 v4, null, v1, v1, v3
	v_rcp_f32_e32 v5, v4
	v_nop
	s_delay_alu instid0(TRANS32_DEP_1) | instskip(NEXT) | instid1(VALU_DEP_1)
	v_fma_f32 v6, -v4, v5, 1.0
	v_fmac_f32_e32 v5, v6, v5
	v_div_scale_f32 v6, vcc_lo, v3, v1, v3
	s_delay_alu instid0(VALU_DEP_1) | instskip(NEXT) | instid1(VALU_DEP_1)
	v_mul_f32_e32 v7, v6, v5
	v_fma_f32 v8, -v4, v7, v6
	s_delay_alu instid0(VALU_DEP_1) | instskip(NEXT) | instid1(VALU_DEP_1)
	v_fmac_f32_e32 v7, v8, v5
	v_fma_f32 v4, -v4, v7, v6
	s_delay_alu instid0(VALU_DEP_1) | instskip(NEXT) | instid1(VALU_DEP_1)
	v_div_fmas_f32 v4, v4, v5, v7
	v_div_fixup_f32 v4, v4, v1, v3
.LBB19_37:
	s_or_b32 exec_lo, exec_lo, s24
.LBB19_38:
	s_delay_alu instid0(SALU_CYCLE_1) | instskip(SKIP_2) | instid1(SALU_CYCLE_1)
	s_or_b32 exec_lo, exec_lo, s23
	v_mov_b32_e32 v3, 0
	s_and_b32 s23, s34, 0xff
	s_cmp_lt_i32 s23, 11
	s_delay_alu instid0(VALU_DEP_1)
	v_add_nc_u64_e32 v[2:3], s[4:5], v[2:3]
	s_cbranch_scc1 .LBB19_46
; %bb.39:
	s_and_b32 s24, 0xffff, s23
	s_delay_alu instid0(SALU_CYCLE_1)
	s_cmp_gt_i32 s24, 25
	s_cbranch_scc0 .LBB19_49
; %bb.40:
	s_cmp_gt_i32 s24, 28
	s_cbranch_scc0 .LBB19_51
; %bb.41:
	;; [unrolled: 3-line block ×4, first 2 shown]
	s_mov_b32 s26, 0
	s_mov_b32 s0, -1
	s_cmp_eq_u32 s24, 46
	s_mov_b32 s25, 0
	s_cbranch_scc0 .LBB19_60
; %bb.44:
	v_bfe_u32 v1, v4, 16, 1
	v_cmp_o_f32_e32 vcc_lo, v4, v4
	s_mov_b32 s25, -1
	s_mov_b32 s0, 0
	s_delay_alu instid0(VALU_DEP_2) | instskip(NEXT) | instid1(VALU_DEP_1)
	v_add3_u32 v1, v4, v1, 0x7fff
	v_lshrrev_b32_e32 v1, 16, v1
	s_delay_alu instid0(VALU_DEP_1)
	v_cndmask_b32_e32 v1, 0x7fc0, v1, vcc_lo
	global_store_b32 v[2:3], v1, off
	s_branch .LBB19_60
.LBB19_45:
	s_mov_b32 s22, 0
	s_mov_b32 s23, 0
                                        ; implicit-def: $vgpr1
	s_cbranch_execnz .LBB19_194
	s_branch .LBB19_228
.LBB19_46:
	s_mov_b32 s0, 0
	s_mov_b32 s25, 0
	s_cbranch_execnz .LBB19_129
.LBB19_47:
	s_and_not1_b32 vcc_lo, exec_lo, s25
	s_cbranch_vccz .LBB19_167
	s_branch .LBB19_277
.LBB19_48:
	s_mov_b32 s24, -1
	s_mov_b32 s22, 0
	s_mov_b32 s23, 0
                                        ; implicit-def: $vgpr1
	s_branch .LBB19_175
.LBB19_49:
	s_mov_b32 s26, -1
	s_mov_b32 s0, 0
	s_mov_b32 s25, 0
	s_branch .LBB19_87
.LBB19_50:
	s_mov_b32 s24, -1
	s_mov_b32 s22, 0
	s_mov_b32 s23, 0
                                        ; implicit-def: $vgpr1
	s_branch .LBB19_170
.LBB19_51:
	s_mov_b32 s26, -1
	s_mov_b32 s0, 0
	s_mov_b32 s25, 0
	s_branch .LBB19_70
.LBB19_52:
	s_mov_b32 s24, -1
	s_mov_b32 s22, 0
	s_branch .LBB19_55
.LBB19_53:
	s_mov_b32 s26, -1
	s_mov_b32 s0, 0
	s_mov_b32 s25, 0
	s_branch .LBB19_66
.LBB19_54:
	s_mov_b32 s22, -1
.LBB19_55:
	s_mov_b32 s23, 0
                                        ; implicit-def: $vgpr1
.LBB19_56:
	s_and_b32 vcc_lo, exec_lo, s24
	s_cbranch_vccz .LBB19_169
; %bb.57:
	s_cmp_eq_u32 s0, 44
	s_cbranch_scc0 .LBB19_168
; %bb.58:
	global_load_u8 v1, v[4:5], off
	s_mov_b32 s22, 0
	s_mov_b32 s23, -1
	s_wait_loadcnt 0x0
	v_lshlrev_b32_e32 v3, 23, v1
	v_cmp_ne_u32_e32 vcc_lo, 0xff, v1
	s_delay_alu instid0(VALU_DEP_2) | instskip(SKIP_1) | instid1(VALU_DEP_2)
	v_cndmask_b32_e32 v3, 0x7f800001, v3, vcc_lo
	v_cmp_ne_u32_e32 vcc_lo, 0, v1
	v_cndmask_b32_e32 v1, 0x400000, v3, vcc_lo
	s_branch .LBB19_169
.LBB19_59:
	s_mov_b32 s26, -1
	s_mov_b32 s0, 0
	s_mov_b32 s25, 0
.LBB19_60:
	s_and_b32 vcc_lo, exec_lo, s26
	s_cbranch_vccz .LBB19_65
; %bb.61:
	s_cmp_eq_u32 s24, 44
	s_mov_b32 s0, -1
	s_cbranch_scc0 .LBB19_65
; %bb.62:
	v_bfe_u32 v5, v4, 23, 8
	s_wait_xcnt 0x0
	v_mov_b32_e32 v1, 0xff
	s_mov_b32 s25, exec_lo
	s_delay_alu instid0(VALU_DEP_2)
	v_cmpx_ne_u32_e32 0xff, v5
	s_cbranch_execz .LBB19_64
; %bb.63:
	v_and_b32_e32 v1, 0x400000, v4
	v_and_or_b32 v5, 0x3fffff, v4, v5
	s_delay_alu instid0(VALU_DEP_2) | instskip(NEXT) | instid1(VALU_DEP_2)
	v_cmp_ne_u32_e32 vcc_lo, 0, v1
	v_cmp_ne_u32_e64 s0, 0, v5
	v_lshrrev_b32_e32 v1, 23, v4
	s_and_b32 s0, vcc_lo, s0
	s_delay_alu instid0(SALU_CYCLE_1) | instskip(NEXT) | instid1(VALU_DEP_1)
	v_cndmask_b32_e64 v5, 0, 1, s0
	v_add_nc_u32_e32 v1, v1, v5
.LBB19_64:
	s_or_b32 exec_lo, exec_lo, s25
	s_mov_b32 s25, -1
	s_mov_b32 s0, 0
	global_store_b8 v[2:3], v1, off
.LBB19_65:
	s_mov_b32 s26, 0
.LBB19_66:
	s_delay_alu instid0(SALU_CYCLE_1)
	s_and_b32 vcc_lo, exec_lo, s26
	s_cbranch_vccz .LBB19_69
; %bb.67:
	s_cmp_eq_u32 s24, 29
	s_mov_b32 s0, -1
	s_cbranch_scc0 .LBB19_69
; %bb.68:
	s_wait_xcnt 0x0
	v_trunc_f32_e32 v1, v4
	s_mov_b32 s25, -1
	s_mov_b32 s0, 0
	s_mov_b32 s26, 0
	s_delay_alu instid0(VALU_DEP_1) | instskip(NEXT) | instid1(VALU_DEP_1)
	v_mul_f32_e32 v5, 0x2f800000, v1
	v_floor_f32_e32 v5, v5
	s_delay_alu instid0(VALU_DEP_1) | instskip(SKIP_1) | instid1(VALU_DEP_2)
	v_fmamk_f32 v1, v5, 0xcf800000, v1
	v_cvt_u32_f32_e32 v7, v5
	v_cvt_u32_f32_e32 v6, v1
	global_store_b64 v[2:3], v[6:7], off
	s_branch .LBB19_70
.LBB19_69:
	s_mov_b32 s26, 0
.LBB19_70:
	s_delay_alu instid0(SALU_CYCLE_1)
	s_and_b32 vcc_lo, exec_lo, s26
	s_cbranch_vccz .LBB19_86
; %bb.71:
	s_cmp_lt_i32 s24, 27
	s_mov_b32 s25, -1
	s_cbranch_scc1 .LBB19_77
; %bb.72:
	s_wait_xcnt 0x0
	v_cvt_u32_f32_e32 v1, v4
	s_cmp_gt_i32 s24, 27
	s_cbranch_scc0 .LBB19_74
; %bb.73:
	s_mov_b32 s25, 0
	global_store_b32 v[2:3], v1, off
.LBB19_74:
	s_and_not1_b32 vcc_lo, exec_lo, s25
	s_cbranch_vccnz .LBB19_76
; %bb.75:
	global_store_b16 v[2:3], v1, off
.LBB19_76:
	s_mov_b32 s25, 0
.LBB19_77:
	s_delay_alu instid0(SALU_CYCLE_1)
	s_and_not1_b32 vcc_lo, exec_lo, s25
	s_cbranch_vccnz .LBB19_85
; %bb.78:
	s_wait_xcnt 0x0
	v_and_b32_e32 v1, 0x7fffffff, v4
	v_mov_b32_e32 v5, 0x80
	s_mov_b32 s25, exec_lo
	s_delay_alu instid0(VALU_DEP_2)
	v_cmpx_gt_u32_e32 0x43800000, v1
	s_cbranch_execz .LBB19_84
; %bb.79:
	v_cmp_lt_u32_e32 vcc_lo, 0x3bffffff, v1
	s_mov_b32 s26, 0
                                        ; implicit-def: $vgpr1
	s_and_saveexec_b32 s27, vcc_lo
	s_delay_alu instid0(SALU_CYCLE_1)
	s_xor_b32 s27, exec_lo, s27
	s_cbranch_execz .LBB19_334
; %bb.80:
	v_bfe_u32 v1, v4, 20, 1
	s_mov_b32 s26, exec_lo
	s_delay_alu instid0(VALU_DEP_1) | instskip(NEXT) | instid1(VALU_DEP_1)
	v_add3_u32 v1, v4, v1, 0x487ffff
	v_lshrrev_b32_e32 v1, 20, v1
	s_and_not1_saveexec_b32 s27, s27
	s_cbranch_execnz .LBB19_335
.LBB19_81:
	s_or_b32 exec_lo, exec_lo, s27
	v_mov_b32_e32 v5, 0
	s_and_saveexec_b32 s27, s26
.LBB19_82:
	v_lshrrev_b32_e32 v5, 24, v4
	s_delay_alu instid0(VALU_DEP_1)
	v_and_or_b32 v5, 0x80, v5, v1
.LBB19_83:
	s_or_b32 exec_lo, exec_lo, s27
.LBB19_84:
	s_delay_alu instid0(SALU_CYCLE_1)
	s_or_b32 exec_lo, exec_lo, s25
	global_store_b8 v[2:3], v5, off
.LBB19_85:
	s_mov_b32 s25, -1
.LBB19_86:
	s_mov_b32 s26, 0
.LBB19_87:
	s_delay_alu instid0(SALU_CYCLE_1)
	s_and_b32 vcc_lo, exec_lo, s26
	s_cbranch_vccz .LBB19_128
; %bb.88:
	s_cmp_gt_i32 s24, 22
	s_mov_b32 s26, -1
	s_cbranch_scc0 .LBB19_120
; %bb.89:
	s_cmp_lt_i32 s24, 24
	s_mov_b32 s25, -1
	s_cbranch_scc1 .LBB19_109
; %bb.90:
	s_cmp_gt_i32 s24, 24
	s_cbranch_scc0 .LBB19_98
; %bb.91:
	s_wait_xcnt 0x0
	v_and_b32_e32 v1, 0x7fffffff, v4
	v_mov_b32_e32 v5, 0x80
	s_mov_b32 s25, exec_lo
	s_delay_alu instid0(VALU_DEP_2)
	v_cmpx_gt_u32_e32 0x47800000, v1
	s_cbranch_execz .LBB19_97
; %bb.92:
	v_cmp_lt_u32_e32 vcc_lo, 0x37ffffff, v1
	s_mov_b32 s26, 0
                                        ; implicit-def: $vgpr1
	s_and_saveexec_b32 s27, vcc_lo
	s_delay_alu instid0(SALU_CYCLE_1)
	s_xor_b32 s27, exec_lo, s27
	s_cbranch_execz .LBB19_338
; %bb.93:
	v_bfe_u32 v1, v4, 21, 1
	s_mov_b32 s26, exec_lo
	s_delay_alu instid0(VALU_DEP_1) | instskip(NEXT) | instid1(VALU_DEP_1)
	v_add3_u32 v1, v4, v1, 0x88fffff
	v_lshrrev_b32_e32 v1, 21, v1
	s_and_not1_saveexec_b32 s27, s27
	s_cbranch_execnz .LBB19_339
.LBB19_94:
	s_or_b32 exec_lo, exec_lo, s27
	v_mov_b32_e32 v5, 0
	s_and_saveexec_b32 s27, s26
.LBB19_95:
	v_lshrrev_b32_e32 v5, 24, v4
	s_delay_alu instid0(VALU_DEP_1)
	v_and_or_b32 v5, 0x80, v5, v1
.LBB19_96:
	s_or_b32 exec_lo, exec_lo, s27
.LBB19_97:
	s_delay_alu instid0(SALU_CYCLE_1)
	s_or_b32 exec_lo, exec_lo, s25
	s_mov_b32 s25, 0
	global_store_b8 v[2:3], v5, off
.LBB19_98:
	s_and_b32 vcc_lo, exec_lo, s25
	s_cbranch_vccz .LBB19_108
; %bb.99:
	s_wait_xcnt 0x0
	v_and_b32_e32 v5, 0x7fffffff, v4
	s_mov_b32 s25, exec_lo
                                        ; implicit-def: $vgpr1
	s_delay_alu instid0(VALU_DEP_1)
	v_cmpx_gt_u32_e32 0x43f00000, v5
	s_xor_b32 s25, exec_lo, s25
	s_cbranch_execz .LBB19_105
; %bb.100:
	s_mov_b32 s26, exec_lo
                                        ; implicit-def: $vgpr1
	v_cmpx_lt_u32_e32 0x3c7fffff, v5
	s_xor_b32 s26, exec_lo, s26
; %bb.101:
	v_bfe_u32 v1, v4, 20, 1
	s_delay_alu instid0(VALU_DEP_1) | instskip(NEXT) | instid1(VALU_DEP_1)
	v_add3_u32 v1, v4, v1, 0x407ffff
	v_and_b32_e32 v5, 0xff00000, v1
	v_lshrrev_b32_e32 v1, 20, v1
	s_delay_alu instid0(VALU_DEP_2) | instskip(NEXT) | instid1(VALU_DEP_2)
	v_cmp_ne_u32_e32 vcc_lo, 0x7f00000, v5
	v_cndmask_b32_e32 v1, 0x7e, v1, vcc_lo
; %bb.102:
	s_and_not1_saveexec_b32 s26, s26
; %bb.103:
	v_add_f32_e64 v1, 0x46800000, |v4|
; %bb.104:
	s_or_b32 exec_lo, exec_lo, s26
                                        ; implicit-def: $vgpr5
.LBB19_105:
	s_and_not1_saveexec_b32 s25, s25
; %bb.106:
	v_mov_b32_e32 v1, 0x7f
	v_cmp_lt_u32_e32 vcc_lo, 0x7f800000, v5
	s_delay_alu instid0(VALU_DEP_2)
	v_cndmask_b32_e32 v1, 0x7e, v1, vcc_lo
; %bb.107:
	s_or_b32 exec_lo, exec_lo, s25
	v_lshrrev_b32_e32 v5, 24, v4
	s_delay_alu instid0(VALU_DEP_1)
	v_and_or_b32 v1, 0x80, v5, v1
	global_store_b8 v[2:3], v1, off
.LBB19_108:
	s_mov_b32 s25, 0
.LBB19_109:
	s_delay_alu instid0(SALU_CYCLE_1)
	s_and_not1_b32 vcc_lo, exec_lo, s25
	s_cbranch_vccnz .LBB19_119
; %bb.110:
	s_wait_xcnt 0x0
	v_and_b32_e32 v5, 0x7fffffff, v4
	s_mov_b32 s25, exec_lo
                                        ; implicit-def: $vgpr1
	s_delay_alu instid0(VALU_DEP_1)
	v_cmpx_gt_u32_e32 0x47800000, v5
	s_xor_b32 s25, exec_lo, s25
	s_cbranch_execz .LBB19_116
; %bb.111:
	s_mov_b32 s26, exec_lo
                                        ; implicit-def: $vgpr1
	v_cmpx_lt_u32_e32 0x387fffff, v5
	s_xor_b32 s26, exec_lo, s26
; %bb.112:
	v_bfe_u32 v1, v4, 21, 1
	s_delay_alu instid0(VALU_DEP_1) | instskip(NEXT) | instid1(VALU_DEP_1)
	v_add3_u32 v1, v4, v1, 0x80fffff
	v_lshrrev_b32_e32 v1, 21, v1
; %bb.113:
	s_and_not1_saveexec_b32 s26, s26
; %bb.114:
	v_add_f32_e64 v1, 0x43000000, |v4|
; %bb.115:
	s_or_b32 exec_lo, exec_lo, s26
                                        ; implicit-def: $vgpr5
.LBB19_116:
	s_and_not1_saveexec_b32 s25, s25
; %bb.117:
	v_mov_b32_e32 v1, 0x7f
	v_cmp_lt_u32_e32 vcc_lo, 0x7f800000, v5
	s_delay_alu instid0(VALU_DEP_2)
	v_cndmask_b32_e32 v1, 0x7c, v1, vcc_lo
; %bb.118:
	s_or_b32 exec_lo, exec_lo, s25
	v_lshrrev_b32_e32 v5, 24, v4
	s_delay_alu instid0(VALU_DEP_1)
	v_and_or_b32 v1, 0x80, v5, v1
	global_store_b8 v[2:3], v1, off
.LBB19_119:
	s_mov_b32 s26, 0
	s_mov_b32 s25, -1
.LBB19_120:
	s_and_not1_b32 vcc_lo, exec_lo, s26
	s_cbranch_vccnz .LBB19_128
; %bb.121:
	s_cmp_gt_i32 s24, 14
	s_mov_b32 s26, -1
	s_cbranch_scc0 .LBB19_125
; %bb.122:
	s_cmp_eq_u32 s24, 15
	s_mov_b32 s0, -1
	s_cbranch_scc0 .LBB19_124
; %bb.123:
	s_wait_xcnt 0x0
	v_bfe_u32 v1, v4, 16, 1
	v_cmp_o_f32_e32 vcc_lo, v4, v4
	s_mov_b32 s25, -1
	s_mov_b32 s0, 0
	s_delay_alu instid0(VALU_DEP_2) | instskip(NEXT) | instid1(VALU_DEP_1)
	v_add3_u32 v1, v4, v1, 0x7fff
	v_lshrrev_b32_e32 v1, 16, v1
	s_delay_alu instid0(VALU_DEP_1)
	v_cndmask_b32_e32 v1, 0x7fc0, v1, vcc_lo
	global_store_b16 v[2:3], v1, off
.LBB19_124:
	s_mov_b32 s26, 0
.LBB19_125:
	s_delay_alu instid0(SALU_CYCLE_1)
	s_and_b32 vcc_lo, exec_lo, s26
	s_cbranch_vccz .LBB19_128
; %bb.126:
	s_cmp_eq_u32 s24, 11
	s_mov_b32 s0, -1
	s_cbranch_scc0 .LBB19_128
; %bb.127:
	v_cmp_neq_f32_e32 vcc_lo, 0, v4
	s_mov_b32 s0, 0
	s_mov_b32 s25, -1
	s_wait_xcnt 0x0
	v_cndmask_b32_e64 v1, 0, 1, vcc_lo
	global_store_b8 v[2:3], v1, off
.LBB19_128:
	s_branch .LBB19_47
.LBB19_129:
	s_and_b32 s23, 0xffff, s23
	s_mov_b32 s24, -1
	s_cmp_lt_i32 s23, 5
	s_cbranch_scc1 .LBB19_150
; %bb.130:
	s_cmp_lt_i32 s23, 8
	s_cbranch_scc1 .LBB19_140
; %bb.131:
	;; [unrolled: 3-line block ×3, first 2 shown]
	s_cmp_gt_i32 s23, 9
	s_cbranch_scc0 .LBB19_134
; %bb.133:
	s_wait_xcnt 0x0
	v_cvt_f64_f32_e32 v[6:7], v4
	v_mov_b32_e32 v8, 0
	s_mov_b32 s24, 0
	s_delay_alu instid0(VALU_DEP_1)
	v_mov_b32_e32 v9, v8
	global_store_b128 v[2:3], v[6:9], off
.LBB19_134:
	s_and_not1_b32 vcc_lo, exec_lo, s24
	s_cbranch_vccnz .LBB19_136
; %bb.135:
	s_wait_xcnt 0x0
	v_mov_b32_e32 v5, 0
	global_store_b64 v[2:3], v[4:5], off
.LBB19_136:
	s_mov_b32 s24, 0
.LBB19_137:
	s_delay_alu instid0(SALU_CYCLE_1)
	s_and_not1_b32 vcc_lo, exec_lo, s24
	s_cbranch_vccnz .LBB19_139
; %bb.138:
	s_wait_xcnt 0x0
	v_cvt_f16_f32_e32 v1, v4
	s_delay_alu instid0(VALU_DEP_1)
	v_and_b32_e32 v1, 0xffff, v1
	global_store_b32 v[2:3], v1, off
.LBB19_139:
	s_mov_b32 s24, 0
.LBB19_140:
	s_delay_alu instid0(SALU_CYCLE_1)
	s_and_not1_b32 vcc_lo, exec_lo, s24
	s_cbranch_vccnz .LBB19_149
; %bb.141:
	s_cmp_lt_i32 s23, 6
	s_mov_b32 s24, -1
	s_cbranch_scc1 .LBB19_147
; %bb.142:
	s_cmp_gt_i32 s23, 6
	s_cbranch_scc0 .LBB19_144
; %bb.143:
	s_wait_xcnt 0x0
	v_cvt_f64_f32_e32 v[6:7], v4
	s_mov_b32 s24, 0
	global_store_b64 v[2:3], v[6:7], off
.LBB19_144:
	s_and_not1_b32 vcc_lo, exec_lo, s24
	s_cbranch_vccnz .LBB19_146
; %bb.145:
	global_store_b32 v[2:3], v4, off
.LBB19_146:
	s_mov_b32 s24, 0
.LBB19_147:
	s_delay_alu instid0(SALU_CYCLE_1)
	s_and_not1_b32 vcc_lo, exec_lo, s24
	s_cbranch_vccnz .LBB19_149
; %bb.148:
	s_wait_xcnt 0x0
	v_cvt_f16_f32_e32 v1, v4
	global_store_b16 v[2:3], v1, off
.LBB19_149:
	s_mov_b32 s24, 0
.LBB19_150:
	s_delay_alu instid0(SALU_CYCLE_1)
	s_and_not1_b32 vcc_lo, exec_lo, s24
	s_cbranch_vccnz .LBB19_166
; %bb.151:
	s_cmp_lt_i32 s23, 2
	s_mov_b32 s24, -1
	s_cbranch_scc1 .LBB19_161
; %bb.152:
	s_cmp_lt_i32 s23, 3
	s_cbranch_scc1 .LBB19_158
; %bb.153:
	s_cmp_gt_i32 s23, 3
	s_cbranch_scc0 .LBB19_155
; %bb.154:
	s_wait_xcnt 0x0
	v_trunc_f32_e32 v1, v4
	s_mov_b32 s24, 0
	s_delay_alu instid0(VALU_DEP_1) | instskip(SKIP_1) | instid1(VALU_DEP_2)
	v_mul_f32_e64 v5, 0x2f800000, |v1|
	v_ashrrev_i32_e32 v6, 31, v1
	v_floor_f32_e32 v5, v5
	s_delay_alu instid0(VALU_DEP_1) | instskip(SKIP_1) | instid1(VALU_DEP_2)
	v_fma_f32 v7, 0xcf800000, v5, |v1|
	v_cvt_u32_f32_e32 v1, v5
	v_cvt_u32_f32_e32 v5, v7
	s_delay_alu instid0(VALU_DEP_2) | instskip(NEXT) | instid1(VALU_DEP_2)
	v_dual_mov_b32 v7, v6 :: v_dual_bitop2_b32 v9, v1, v6 bitop3:0x14
	v_xor_b32_e32 v8, v5, v6
	s_delay_alu instid0(VALU_DEP_1)
	v_sub_nc_u64_e32 v[6:7], v[8:9], v[6:7]
	global_store_b64 v[2:3], v[6:7], off
.LBB19_155:
	s_and_not1_b32 vcc_lo, exec_lo, s24
	s_cbranch_vccnz .LBB19_157
; %bb.156:
	s_wait_xcnt 0x0
	v_cvt_i32_f32_e32 v1, v4
	global_store_b32 v[2:3], v1, off
.LBB19_157:
	s_mov_b32 s24, 0
.LBB19_158:
	s_delay_alu instid0(SALU_CYCLE_1)
	s_and_not1_b32 vcc_lo, exec_lo, s24
	s_cbranch_vccnz .LBB19_160
; %bb.159:
	s_wait_xcnt 0x0
	v_cvt_i32_f32_e32 v1, v4
	global_store_b16 v[2:3], v1, off
.LBB19_160:
	s_mov_b32 s24, 0
.LBB19_161:
	s_delay_alu instid0(SALU_CYCLE_1)
	s_and_not1_b32 vcc_lo, exec_lo, s24
	s_cbranch_vccnz .LBB19_166
; %bb.162:
	s_cmp_gt_i32 s23, 0
	s_mov_b32 s23, -1
	s_cbranch_scc0 .LBB19_164
; %bb.163:
	s_wait_xcnt 0x0
	v_cvt_i32_f32_e32 v1, v4
	s_mov_b32 s23, 0
	global_store_b8 v[2:3], v1, off
.LBB19_164:
	s_and_not1_b32 vcc_lo, exec_lo, s23
	s_cbranch_vccnz .LBB19_166
; %bb.165:
	s_wait_xcnt 0x0
	v_trunc_f32_e32 v1, v4
	s_delay_alu instid0(VALU_DEP_1) | instskip(NEXT) | instid1(VALU_DEP_1)
	v_mul_f32_e64 v4, 0x2f800000, |v1|
	v_floor_f32_e32 v4, v4
	s_delay_alu instid0(VALU_DEP_1) | instskip(SKIP_1) | instid1(VALU_DEP_2)
	v_fma_f32 v4, 0xcf800000, v4, |v1|
	v_ashrrev_i32_e32 v1, 31, v1
	v_cvt_u32_f32_e32 v4, v4
	s_delay_alu instid0(VALU_DEP_1) | instskip(NEXT) | instid1(VALU_DEP_1)
	v_xor_b32_e32 v4, v4, v1
	v_sub_nc_u32_e32 v1, v4, v1
	global_store_b8 v[2:3], v1, off
.LBB19_166:
.LBB19_167:
	v_add_nc_u32_e32 v0, 0x80, v0
	s_mov_b32 s23, -1
	s_branch .LBB19_278
.LBB19_168:
	s_mov_b32 s22, -1
                                        ; implicit-def: $vgpr1
.LBB19_169:
	s_mov_b32 s24, 0
.LBB19_170:
	s_delay_alu instid0(SALU_CYCLE_1)
	s_and_b32 vcc_lo, exec_lo, s24
	s_cbranch_vccz .LBB19_174
; %bb.171:
	s_cmp_eq_u32 s0, 29
	s_cbranch_scc0 .LBB19_173
; %bb.172:
	global_load_b64 v[6:7], v[4:5], off
	s_mov_b32 s23, -1
	s_mov_b32 s22, 0
	s_mov_b32 s24, 0
	s_wait_loadcnt 0x0
	v_clz_i32_u32_e32 v1, v7
	s_delay_alu instid0(VALU_DEP_1) | instskip(NEXT) | instid1(VALU_DEP_1)
	v_min_u32_e32 v1, 32, v1
	v_lshlrev_b64_e32 v[6:7], v1, v[6:7]
	v_sub_nc_u32_e32 v1, 32, v1
	s_delay_alu instid0(VALU_DEP_2) | instskip(NEXT) | instid1(VALU_DEP_1)
	v_min_u32_e32 v3, 1, v6
	v_or_b32_e32 v3, v7, v3
	s_delay_alu instid0(VALU_DEP_1) | instskip(NEXT) | instid1(VALU_DEP_1)
	v_cvt_f32_u32_e32 v3, v3
	v_ldexp_f32 v1, v3, v1
	s_branch .LBB19_175
.LBB19_173:
	s_mov_b32 s22, -1
                                        ; implicit-def: $vgpr1
.LBB19_174:
	s_mov_b32 s24, 0
.LBB19_175:
	s_delay_alu instid0(SALU_CYCLE_1)
	s_and_b32 vcc_lo, exec_lo, s24
	s_cbranch_vccz .LBB19_193
; %bb.176:
	s_cmp_lt_i32 s0, 27
	s_cbranch_scc1 .LBB19_179
; %bb.177:
	s_cmp_gt_i32 s0, 27
	s_cbranch_scc0 .LBB19_180
; %bb.178:
	global_load_b32 v1, v[4:5], off
	s_mov_b32 s23, 0
	s_wait_loadcnt 0x0
	v_cvt_f32_u32_e32 v1, v1
	s_branch .LBB19_181
.LBB19_179:
	s_mov_b32 s23, -1
                                        ; implicit-def: $vgpr1
	s_branch .LBB19_184
.LBB19_180:
	s_mov_b32 s23, -1
                                        ; implicit-def: $vgpr1
.LBB19_181:
	s_delay_alu instid0(SALU_CYCLE_1)
	s_and_not1_b32 vcc_lo, exec_lo, s23
	s_cbranch_vccnz .LBB19_183
; %bb.182:
	global_load_u16 v1, v[4:5], off
	s_wait_loadcnt 0x0
	v_cvt_f32_u32_e32 v1, v1
.LBB19_183:
	s_mov_b32 s23, 0
.LBB19_184:
	s_delay_alu instid0(SALU_CYCLE_1)
	s_and_not1_b32 vcc_lo, exec_lo, s23
	s_cbranch_vccnz .LBB19_192
; %bb.185:
	global_load_u8 v3, v[4:5], off
	s_mov_b32 s23, 0
	s_mov_b32 s24, exec_lo
	s_wait_loadcnt 0x0
	v_cmpx_lt_i16_e32 0x7f, v3
	s_xor_b32 s24, exec_lo, s24
	s_cbranch_execz .LBB19_205
; %bb.186:
	s_mov_b32 s23, -1
	s_mov_b32 s25, exec_lo
	v_cmpx_eq_u16_e32 0x80, v3
; %bb.187:
	s_xor_b32 s23, exec_lo, -1
; %bb.188:
	s_or_b32 exec_lo, exec_lo, s25
	s_delay_alu instid0(SALU_CYCLE_1)
	s_and_b32 s23, s23, exec_lo
	s_or_saveexec_b32 s24, s24
	v_mov_b32_e32 v1, 0x7f800001
	s_xor_b32 exec_lo, exec_lo, s24
	s_cbranch_execnz .LBB19_206
.LBB19_189:
	s_or_b32 exec_lo, exec_lo, s24
	s_and_saveexec_b32 s24, s23
	s_cbranch_execz .LBB19_191
.LBB19_190:
	v_and_b32_e32 v1, 0xffff, v3
	s_delay_alu instid0(VALU_DEP_1) | instskip(SKIP_1) | instid1(VALU_DEP_2)
	v_and_b32_e32 v6, 7, v1
	v_bfe_u32 v9, v1, 3, 4
	v_clz_i32_u32_e32 v7, v6
	s_delay_alu instid0(VALU_DEP_2) | instskip(NEXT) | instid1(VALU_DEP_2)
	v_cmp_eq_u32_e32 vcc_lo, 0, v9
	v_min_u32_e32 v7, 32, v7
	s_delay_alu instid0(VALU_DEP_1) | instskip(NEXT) | instid1(VALU_DEP_1)
	v_subrev_nc_u32_e32 v8, 28, v7
	v_dual_lshlrev_b32 v1, v8, v1 :: v_dual_sub_nc_u32 v7, 29, v7
	s_delay_alu instid0(VALU_DEP_1) | instskip(NEXT) | instid1(VALU_DEP_1)
	v_dual_lshlrev_b32 v3, 24, v3 :: v_dual_bitop2_b32 v1, 7, v1 bitop3:0x40
	v_dual_cndmask_b32 v1, v6, v1, vcc_lo :: v_dual_cndmask_b32 v7, v9, v7, vcc_lo
	s_delay_alu instid0(VALU_DEP_2) | instskip(NEXT) | instid1(VALU_DEP_2)
	v_and_b32_e32 v3, 0x80000000, v3
	v_lshlrev_b32_e32 v1, 20, v1
	s_delay_alu instid0(VALU_DEP_3) | instskip(NEXT) | instid1(VALU_DEP_1)
	v_lshl_add_u32 v6, v7, 23, 0x3b800000
	v_or3_b32 v1, v3, v6, v1
.LBB19_191:
	s_or_b32 exec_lo, exec_lo, s24
.LBB19_192:
	s_mov_b32 s23, -1
.LBB19_193:
	s_branch .LBB19_228
.LBB19_194:
	s_cmp_gt_i32 s0, 22
	s_cbranch_scc0 .LBB19_204
; %bb.195:
	s_cmp_lt_i32 s0, 24
	s_cbranch_scc1 .LBB19_207
; %bb.196:
	s_cmp_gt_i32 s0, 24
	s_cbranch_scc0 .LBB19_208
; %bb.197:
	global_load_u8 v3, v[4:5], off
	s_mov_b32 s23, 0
	s_mov_b32 s24, exec_lo
	s_wait_loadcnt 0x0
	v_cmpx_lt_i16_e32 0x7f, v3
	s_xor_b32 s24, exec_lo, s24
	s_cbranch_execz .LBB19_220
; %bb.198:
	s_mov_b32 s23, -1
	s_mov_b32 s25, exec_lo
	v_cmpx_eq_u16_e32 0x80, v3
; %bb.199:
	s_xor_b32 s23, exec_lo, -1
; %bb.200:
	s_or_b32 exec_lo, exec_lo, s25
	s_delay_alu instid0(SALU_CYCLE_1)
	s_and_b32 s23, s23, exec_lo
	s_or_saveexec_b32 s24, s24
	v_mov_b32_e32 v1, 0x7f800001
	s_xor_b32 exec_lo, exec_lo, s24
	s_cbranch_execnz .LBB19_221
.LBB19_201:
	s_or_b32 exec_lo, exec_lo, s24
	s_and_saveexec_b32 s24, s23
	s_cbranch_execz .LBB19_203
.LBB19_202:
	v_and_b32_e32 v1, 0xffff, v3
	s_delay_alu instid0(VALU_DEP_1) | instskip(SKIP_1) | instid1(VALU_DEP_2)
	v_and_b32_e32 v6, 3, v1
	v_bfe_u32 v9, v1, 2, 5
	v_clz_i32_u32_e32 v7, v6
	s_delay_alu instid0(VALU_DEP_2) | instskip(NEXT) | instid1(VALU_DEP_2)
	v_cmp_eq_u32_e32 vcc_lo, 0, v9
	v_min_u32_e32 v7, 32, v7
	s_delay_alu instid0(VALU_DEP_1) | instskip(NEXT) | instid1(VALU_DEP_1)
	v_subrev_nc_u32_e32 v8, 29, v7
	v_dual_lshlrev_b32 v1, v8, v1 :: v_dual_sub_nc_u32 v7, 30, v7
	s_delay_alu instid0(VALU_DEP_1) | instskip(NEXT) | instid1(VALU_DEP_1)
	v_dual_lshlrev_b32 v3, 24, v3 :: v_dual_bitop2_b32 v1, 3, v1 bitop3:0x40
	v_dual_cndmask_b32 v1, v6, v1, vcc_lo :: v_dual_cndmask_b32 v7, v9, v7, vcc_lo
	s_delay_alu instid0(VALU_DEP_2) | instskip(NEXT) | instid1(VALU_DEP_2)
	v_and_b32_e32 v3, 0x80000000, v3
	v_lshlrev_b32_e32 v1, 21, v1
	s_delay_alu instid0(VALU_DEP_3) | instskip(NEXT) | instid1(VALU_DEP_1)
	v_lshl_add_u32 v6, v7, 23, 0x37800000
	v_or3_b32 v1, v3, v6, v1
.LBB19_203:
	s_or_b32 exec_lo, exec_lo, s24
	s_mov_b32 s23, 0
	s_branch .LBB19_209
.LBB19_204:
	s_mov_b32 s24, -1
                                        ; implicit-def: $vgpr1
	s_branch .LBB19_215
.LBB19_205:
	s_or_saveexec_b32 s24, s24
	v_mov_b32_e32 v1, 0x7f800001
	s_xor_b32 exec_lo, exec_lo, s24
	s_cbranch_execz .LBB19_189
.LBB19_206:
	v_cmp_ne_u16_e32 vcc_lo, 0, v3
	v_mov_b32_e32 v1, 0
	s_and_not1_b32 s23, s23, exec_lo
	s_and_b32 s25, vcc_lo, exec_lo
	s_delay_alu instid0(SALU_CYCLE_1)
	s_or_b32 s23, s23, s25
	s_or_b32 exec_lo, exec_lo, s24
	s_and_saveexec_b32 s24, s23
	s_cbranch_execnz .LBB19_190
	s_branch .LBB19_191
.LBB19_207:
	s_mov_b32 s23, -1
                                        ; implicit-def: $vgpr1
	s_branch .LBB19_212
.LBB19_208:
	s_mov_b32 s23, -1
                                        ; implicit-def: $vgpr1
.LBB19_209:
	s_delay_alu instid0(SALU_CYCLE_1)
	s_and_b32 vcc_lo, exec_lo, s23
	s_cbranch_vccz .LBB19_211
; %bb.210:
	global_load_u8 v1, v[4:5], off
	s_wait_loadcnt 0x0
	v_lshlrev_b32_e32 v1, 24, v1
	s_delay_alu instid0(VALU_DEP_1) | instskip(NEXT) | instid1(VALU_DEP_1)
	v_and_b32_e32 v3, 0x7f000000, v1
	v_clz_i32_u32_e32 v6, v3
	v_cmp_ne_u32_e32 vcc_lo, 0, v3
	v_add_nc_u32_e32 v8, 0x1000000, v3
	s_delay_alu instid0(VALU_DEP_3) | instskip(NEXT) | instid1(VALU_DEP_1)
	v_min_u32_e32 v6, 32, v6
	v_sub_nc_u32_e64 v6, v6, 4 clamp
	s_delay_alu instid0(VALU_DEP_1) | instskip(NEXT) | instid1(VALU_DEP_1)
	v_dual_lshlrev_b32 v7, v6, v3 :: v_dual_lshlrev_b32 v6, 23, v6
	v_lshrrev_b32_e32 v7, 4, v7
	s_delay_alu instid0(VALU_DEP_1) | instskip(NEXT) | instid1(VALU_DEP_1)
	v_dual_sub_nc_u32 v6, v7, v6 :: v_dual_ashrrev_i32 v7, 8, v8
	v_add_nc_u32_e32 v6, 0x3c000000, v6
	s_delay_alu instid0(VALU_DEP_1) | instskip(NEXT) | instid1(VALU_DEP_1)
	v_and_or_b32 v6, 0x7f800000, v7, v6
	v_cndmask_b32_e32 v3, 0, v6, vcc_lo
	s_delay_alu instid0(VALU_DEP_1)
	v_and_or_b32 v1, 0x80000000, v1, v3
.LBB19_211:
	s_mov_b32 s23, 0
.LBB19_212:
	s_delay_alu instid0(SALU_CYCLE_1)
	s_and_not1_b32 vcc_lo, exec_lo, s23
	s_cbranch_vccnz .LBB19_214
; %bb.213:
	global_load_u8 v1, v[4:5], off
	s_wait_loadcnt 0x0
	v_lshlrev_b32_e32 v3, 25, v1
	v_lshlrev_b16 v1, 8, v1
	s_delay_alu instid0(VALU_DEP_1) | instskip(SKIP_1) | instid1(VALU_DEP_2)
	v_and_or_b32 v7, 0x7f00, v1, 0.5
	v_bfe_i32 v1, v1, 0, 16
	v_add_f32_e32 v7, -0.5, v7
	v_lshrrev_b32_e32 v6, 4, v3
	v_cmp_gt_u32_e32 vcc_lo, 0x8000000, v3
	s_delay_alu instid0(VALU_DEP_2) | instskip(NEXT) | instid1(VALU_DEP_1)
	v_or_b32_e32 v6, 0x70000000, v6
	v_mul_f32_e32 v6, 0x7800000, v6
	s_delay_alu instid0(VALU_DEP_1) | instskip(NEXT) | instid1(VALU_DEP_1)
	v_cndmask_b32_e32 v3, v6, v7, vcc_lo
	v_and_or_b32 v1, 0x80000000, v1, v3
.LBB19_214:
	s_mov_b32 s24, 0
	s_mov_b32 s23, -1
.LBB19_215:
	s_and_not1_b32 vcc_lo, exec_lo, s24
	s_cbranch_vccnz .LBB19_228
; %bb.216:
	s_cmp_gt_i32 s0, 14
	s_cbranch_scc0 .LBB19_219
; %bb.217:
	s_cmp_eq_u32 s0, 15
	s_cbranch_scc0 .LBB19_222
; %bb.218:
	global_load_u16 v1, v[4:5], off
	s_mov_b32 s23, -1
	s_mov_b32 s22, 0
	s_wait_loadcnt 0x0
	v_lshlrev_b32_e32 v1, 16, v1
	s_branch .LBB19_223
.LBB19_219:
	s_mov_b32 s24, -1
                                        ; implicit-def: $vgpr1
	s_branch .LBB19_224
.LBB19_220:
	s_or_saveexec_b32 s24, s24
	v_mov_b32_e32 v1, 0x7f800001
	s_xor_b32 exec_lo, exec_lo, s24
	s_cbranch_execz .LBB19_201
.LBB19_221:
	v_cmp_ne_u16_e32 vcc_lo, 0, v3
	v_mov_b32_e32 v1, 0
	s_and_not1_b32 s23, s23, exec_lo
	s_and_b32 s25, vcc_lo, exec_lo
	s_delay_alu instid0(SALU_CYCLE_1)
	s_or_b32 s23, s23, s25
	s_or_b32 exec_lo, exec_lo, s24
	s_and_saveexec_b32 s24, s23
	s_cbranch_execnz .LBB19_202
	s_branch .LBB19_203
.LBB19_222:
	s_mov_b32 s22, -1
                                        ; implicit-def: $vgpr1
.LBB19_223:
	s_mov_b32 s24, 0
.LBB19_224:
	s_delay_alu instid0(SALU_CYCLE_1)
	s_and_b32 vcc_lo, exec_lo, s24
	s_cbranch_vccz .LBB19_228
; %bb.225:
	s_cmp_eq_u32 s0, 11
	s_cbranch_scc0 .LBB19_227
; %bb.226:
	global_load_u8 v1, v[4:5], off
	s_mov_b32 s22, 0
	s_mov_b32 s23, -1
	s_wait_loadcnt 0x0
	v_cmp_ne_u16_e32 vcc_lo, 0, v1
	v_cndmask_b32_e64 v1, 0, 1.0, vcc_lo
	s_branch .LBB19_228
.LBB19_227:
	s_mov_b32 s22, -1
                                        ; implicit-def: $vgpr1
.LBB19_228:
	s_branch .LBB19_25
.LBB19_229:
	s_cmp_lt_i32 s0, 5
	s_cbranch_scc1 .LBB19_234
; %bb.230:
	s_cmp_lt_i32 s0, 8
	s_cbranch_scc1 .LBB19_235
; %bb.231:
	;; [unrolled: 3-line block ×3, first 2 shown]
	s_cmp_gt_i32 s0, 9
	s_cbranch_scc0 .LBB19_237
; %bb.233:
	global_load_b64 v[6:7], v[4:5], off
	s_mov_b32 s23, 0
	s_wait_loadcnt 0x0
	v_cvt_f32_f64_e32 v1, v[6:7]
	s_branch .LBB19_238
.LBB19_234:
                                        ; implicit-def: $vgpr1
	s_branch .LBB19_256
.LBB19_235:
	s_mov_b32 s23, -1
                                        ; implicit-def: $vgpr1
	s_branch .LBB19_244
.LBB19_236:
	s_mov_b32 s23, -1
                                        ; implicit-def: $vgpr1
	s_branch .LBB19_241
.LBB19_237:
	s_mov_b32 s23, -1
                                        ; implicit-def: $vgpr1
.LBB19_238:
	s_delay_alu instid0(SALU_CYCLE_1)
	s_and_not1_b32 vcc_lo, exec_lo, s23
	s_cbranch_vccnz .LBB19_240
; %bb.239:
	global_load_b32 v1, v[4:5], off
.LBB19_240:
	s_mov_b32 s23, 0
.LBB19_241:
	s_delay_alu instid0(SALU_CYCLE_1)
	s_and_not1_b32 vcc_lo, exec_lo, s23
	s_cbranch_vccnz .LBB19_243
; %bb.242:
	s_wait_loadcnt 0x0
	global_load_b32 v1, v[4:5], off
	s_wait_loadcnt 0x0
	v_cvt_f32_f16_e32 v1, v1
.LBB19_243:
	s_mov_b32 s23, 0
.LBB19_244:
	s_delay_alu instid0(SALU_CYCLE_1)
	s_and_not1_b32 vcc_lo, exec_lo, s23
	s_cbranch_vccnz .LBB19_255
; %bb.245:
	s_cmp_lt_i32 s0, 6
	s_cbranch_scc1 .LBB19_248
; %bb.246:
	s_cmp_gt_i32 s0, 6
	s_cbranch_scc0 .LBB19_249
; %bb.247:
	global_load_b64 v[6:7], v[4:5], off
	s_mov_b32 s23, 0
	s_wait_loadcnt 0x0
	v_cvt_f32_f64_e32 v1, v[6:7]
	s_branch .LBB19_250
.LBB19_248:
	s_mov_b32 s23, -1
                                        ; implicit-def: $vgpr1
	s_branch .LBB19_253
.LBB19_249:
	s_mov_b32 s23, -1
                                        ; implicit-def: $vgpr1
.LBB19_250:
	s_delay_alu instid0(SALU_CYCLE_1)
	s_and_not1_b32 vcc_lo, exec_lo, s23
	s_cbranch_vccnz .LBB19_252
; %bb.251:
	s_wait_loadcnt 0x0
	global_load_b32 v1, v[4:5], off
.LBB19_252:
	s_mov_b32 s23, 0
.LBB19_253:
	s_delay_alu instid0(SALU_CYCLE_1)
	s_and_not1_b32 vcc_lo, exec_lo, s23
	s_cbranch_vccnz .LBB19_255
; %bb.254:
	s_wait_loadcnt 0x0
	global_load_u16 v1, v[4:5], off
	s_wait_loadcnt 0x0
	v_cvt_f32_f16_e32 v1, v1
.LBB19_255:
	s_cbranch_execnz .LBB19_275
.LBB19_256:
	s_cmp_lt_i32 s0, 2
	s_cbranch_scc1 .LBB19_260
; %bb.257:
	s_cmp_lt_i32 s0, 3
	s_cbranch_scc1 .LBB19_261
; %bb.258:
	s_cmp_gt_i32 s0, 3
	s_cbranch_scc0 .LBB19_262
; %bb.259:
	global_load_b64 v[6:7], v[4:5], off
	s_mov_b32 s23, 0
	s_wait_loadcnt 0x0
	v_xor_b32_e32 v1, v6, v7
	v_cls_i32_e32 v3, v7
	s_delay_alu instid0(VALU_DEP_2) | instskip(NEXT) | instid1(VALU_DEP_1)
	v_ashrrev_i32_e32 v1, 31, v1
	v_add_nc_u32_e32 v1, 32, v1
	s_delay_alu instid0(VALU_DEP_1) | instskip(NEXT) | instid1(VALU_DEP_1)
	v_add_min_u32_e64 v1, v3, -1, v1
	v_lshlrev_b64_e32 v[6:7], v1, v[6:7]
	v_sub_nc_u32_e32 v1, 32, v1
	s_delay_alu instid0(VALU_DEP_2) | instskip(NEXT) | instid1(VALU_DEP_1)
	v_min_u32_e32 v3, 1, v6
	v_or_b32_e32 v3, v7, v3
	s_delay_alu instid0(VALU_DEP_1) | instskip(NEXT) | instid1(VALU_DEP_1)
	v_cvt_f32_i32_e32 v3, v3
	v_ldexp_f32 v1, v3, v1
	s_branch .LBB19_263
.LBB19_260:
	s_mov_b32 s23, -1
                                        ; implicit-def: $vgpr1
	s_branch .LBB19_269
.LBB19_261:
	s_mov_b32 s23, -1
                                        ; implicit-def: $vgpr1
	s_branch .LBB19_266
.LBB19_262:
	s_mov_b32 s23, -1
                                        ; implicit-def: $vgpr1
.LBB19_263:
	s_delay_alu instid0(SALU_CYCLE_1)
	s_and_not1_b32 vcc_lo, exec_lo, s23
	s_cbranch_vccnz .LBB19_265
; %bb.264:
	s_wait_loadcnt 0x0
	global_load_b32 v1, v[4:5], off
	s_wait_loadcnt 0x0
	v_cvt_f32_i32_e32 v1, v1
.LBB19_265:
	s_mov_b32 s23, 0
.LBB19_266:
	s_delay_alu instid0(SALU_CYCLE_1)
	s_and_not1_b32 vcc_lo, exec_lo, s23
	s_cbranch_vccnz .LBB19_268
; %bb.267:
	s_wait_loadcnt 0x0
	global_load_i16 v1, v[4:5], off
	s_wait_loadcnt 0x0
	v_cvt_f32_i32_e32 v1, v1
.LBB19_268:
	s_mov_b32 s23, 0
.LBB19_269:
	s_delay_alu instid0(SALU_CYCLE_1)
	s_and_not1_b32 vcc_lo, exec_lo, s23
	s_cbranch_vccnz .LBB19_275
; %bb.270:
	s_cmp_gt_i32 s0, 0
	s_mov_b32 s0, 0
	s_cbranch_scc0 .LBB19_272
; %bb.271:
	s_wait_loadcnt 0x0
	global_load_i8 v1, v[4:5], off
	s_wait_loadcnt 0x0
	v_cvt_f32_i32_e32 v1, v1
	s_branch .LBB19_273
.LBB19_272:
	s_mov_b32 s0, -1
                                        ; implicit-def: $vgpr1
.LBB19_273:
	s_delay_alu instid0(SALU_CYCLE_1)
	s_and_not1_b32 vcc_lo, exec_lo, s0
	s_cbranch_vccnz .LBB19_275
; %bb.274:
	s_wait_loadcnt 0x0
	global_load_u8 v1, v[4:5], off
	s_wait_loadcnt 0x0
	v_cvt_f32_ubyte0_e32 v1, v1
.LBB19_275:
	s_branch .LBB19_26
.LBB19_276:
	s_mov_b32 s0, 0
.LBB19_277:
	s_mov_b32 s23, 0
                                        ; implicit-def: $vgpr0
.LBB19_278:
	s_and_b32 s39, s0, exec_lo
	s_and_b32 s40, s22, exec_lo
	s_or_not1_b32 s22, s23, exec_lo
.LBB19_279:
	s_wait_xcnt 0x0
	s_or_b32 exec_lo, exec_lo, s41
	s_mov_b32 s23, 0
	s_mov_b32 s0, 0
                                        ; implicit-def: $vgpr4_vgpr5
                                        ; implicit-def: $vgpr2
                                        ; implicit-def: $vgpr1
	s_and_saveexec_b32 s41, s22
	s_cbranch_execz .LBB19_287
; %bb.280:
	s_mov_b32 s0, -1
	s_mov_b32 s42, s40
	s_mov_b32 s43, s39
	s_mov_b32 s44, exec_lo
	v_cmpx_gt_i32_e64 s36, v0
	s_cbranch_execz .LBB19_570
; %bb.281:
	s_and_not1_b32 vcc_lo, exec_lo, s31
	s_cbranch_vccnz .LBB19_290
; %bb.282:
	s_and_not1_b32 vcc_lo, exec_lo, s38
	s_cbranch_vccnz .LBB19_291
; %bb.283:
	s_add_co_i32 s0, s37, 1
	s_cmp_eq_u32 s29, 2
	s_cbranch_scc1 .LBB19_292
; %bb.284:
	v_dual_mov_b32 v2, 0 :: v_dual_mov_b32 v4, 0
	s_wait_loadcnt 0x0
	v_mov_b32_e32 v1, v0
	s_and_b32 s22, s0, 28
	s_mov_b64 s[24:25], s[2:3]
	s_mov_b64 s[26:27], s[20:21]
.LBB19_285:                             ; =>This Inner Loop Header: Depth=1
	s_clause 0x1
	s_load_b256 s[48:55], s[24:25], 0x4
	s_load_b128 s[64:67], s[24:25], 0x24
	s_load_b256 s[56:63], s[26:27], 0x0
	s_add_co_i32 s23, s23, 4
	s_wait_xcnt 0x0
	s_add_nc_u64 s[24:25], s[24:25], 48
	s_cmp_eq_u32 s22, s23
	s_add_nc_u64 s[26:27], s[26:27], 32
	s_wait_kmcnt 0x0
	v_mul_hi_u32 v3, s49, v1
	s_delay_alu instid0(VALU_DEP_1) | instskip(NEXT) | instid1(VALU_DEP_1)
	v_add_nc_u32_e32 v3, v1, v3
	v_lshrrev_b32_e32 v3, s50, v3
	s_delay_alu instid0(VALU_DEP_1) | instskip(NEXT) | instid1(VALU_DEP_1)
	v_mul_hi_u32 v5, s52, v3
	v_add_nc_u32_e32 v5, v3, v5
	s_delay_alu instid0(VALU_DEP_1) | instskip(NEXT) | instid1(VALU_DEP_1)
	v_lshrrev_b32_e32 v5, s53, v5
	v_mul_hi_u32 v6, s55, v5
	s_delay_alu instid0(VALU_DEP_1) | instskip(SKIP_1) | instid1(VALU_DEP_1)
	v_add_nc_u32_e32 v6, v5, v6
	v_mul_lo_u32 v7, v3, s48
	v_sub_nc_u32_e32 v1, v1, v7
	v_mul_lo_u32 v7, v5, s51
	s_delay_alu instid0(VALU_DEP_4) | instskip(NEXT) | instid1(VALU_DEP_3)
	v_lshrrev_b32_e32 v6, s64, v6
	v_mad_u32 v4, v1, s57, v4
	v_mad_u32 v1, v1, s56, v2
	s_delay_alu instid0(VALU_DEP_4) | instskip(NEXT) | instid1(VALU_DEP_4)
	v_sub_nc_u32_e32 v2, v3, v7
	v_mul_hi_u32 v8, s66, v6
	v_mul_lo_u32 v3, v6, s54
	s_delay_alu instid0(VALU_DEP_3) | instskip(SKIP_1) | instid1(VALU_DEP_3)
	v_mad_u32 v4, v2, s59, v4
	v_mad_u32 v2, v2, s58, v1
	v_dual_add_nc_u32 v7, v6, v8 :: v_dual_sub_nc_u32 v3, v5, v3
	s_delay_alu instid0(VALU_DEP_1) | instskip(NEXT) | instid1(VALU_DEP_2)
	v_lshrrev_b32_e32 v1, s67, v7
	v_mad_u32 v4, v3, s61, v4
	s_delay_alu instid0(VALU_DEP_4) | instskip(NEXT) | instid1(VALU_DEP_3)
	v_mad_u32 v2, v3, s60, v2
	v_mul_lo_u32 v5, v1, s65
	s_delay_alu instid0(VALU_DEP_1) | instskip(NEXT) | instid1(VALU_DEP_1)
	v_sub_nc_u32_e32 v3, v6, v5
	v_mad_u32 v4, v3, s63, v4
	s_delay_alu instid0(VALU_DEP_4)
	v_mad_u32 v2, v3, s62, v2
	s_cbranch_scc0 .LBB19_285
; %bb.286:
	s_delay_alu instid0(VALU_DEP_2)
	v_mov_b32_e32 v3, v4
	s_branch .LBB19_293
.LBB19_287:
	s_or_b32 exec_lo, exec_lo, s41
	s_mov_b32 s1, 0
	s_and_saveexec_b32 s6, s40
	s_cbranch_execnz .LBB19_964
.LBB19_288:
	s_or_b32 exec_lo, exec_lo, s6
	s_and_saveexec_b32 s6, s17
	s_delay_alu instid0(SALU_CYCLE_1)
	s_xor_b32 s6, exec_lo, s6
	s_cbranch_execz .LBB19_965
.LBB19_289:
	global_load_u8 v0, v[4:5], off
	s_or_b32 s0, s0, exec_lo
	s_wait_loadcnt 0x0
	v_cmp_ne_u16_e32 vcc_lo, 0, v0
	v_cndmask_b32_e64 v1, 0, 1.0, vcc_lo
	s_wait_xcnt 0x0
	s_or_b32 exec_lo, exec_lo, s6
	s_and_saveexec_b32 s6, s23
	s_cbranch_execz .LBB19_1011
	s_branch .LBB19_966
.LBB19_290:
                                        ; implicit-def: $vgpr4
                                        ; implicit-def: $vgpr2
	s_and_not1_b32 vcc_lo, exec_lo, s0
	s_cbranch_vccnz .LBB19_300
	s_branch .LBB19_298
.LBB19_291:
	v_dual_mov_b32 v4, 0 :: v_dual_mov_b32 v2, 0
	s_branch .LBB19_297
.LBB19_292:
	v_mov_b64_e32 v[2:3], 0
	s_wait_loadcnt 0x0
	v_mov_b32_e32 v1, v0
	s_mov_b32 s22, 0
                                        ; implicit-def: $vgpr4
.LBB19_293:
	s_and_b32 s0, s0, 3
	s_mov_b32 s23, 0
	s_cmp_eq_u32 s0, 0
	s_cbranch_scc1 .LBB19_297
; %bb.294:
	s_lshl_b32 s24, s22, 3
	s_mov_b32 s25, s23
	s_mul_u64 s[26:27], s[22:23], 12
	s_add_nc_u64 s[24:25], s[2:3], s[24:25]
	s_delay_alu instid0(SALU_CYCLE_1)
	s_add_nc_u64 s[22:23], s[24:25], 0xc4
	s_add_nc_u64 s[24:25], s[2:3], s[26:27]
.LBB19_295:                             ; =>This Inner Loop Header: Depth=1
	s_load_b96 s[48:50], s[24:25], 0x4
	s_load_b64 s[26:27], s[22:23], 0x0
	s_add_co_i32 s0, s0, -1
	s_wait_xcnt 0x0
	s_add_nc_u64 s[24:25], s[24:25], 12
	s_cmp_lg_u32 s0, 0
	s_add_nc_u64 s[22:23], s[22:23], 8
	s_wait_kmcnt 0x0
	v_mul_hi_u32 v4, s49, v1
	s_delay_alu instid0(VALU_DEP_1) | instskip(NEXT) | instid1(VALU_DEP_1)
	v_add_nc_u32_e32 v4, v1, v4
	v_lshrrev_b32_e32 v4, s50, v4
	s_delay_alu instid0(VALU_DEP_1) | instskip(NEXT) | instid1(VALU_DEP_1)
	v_mul_lo_u32 v5, v4, s48
	v_sub_nc_u32_e32 v1, v1, v5
	s_delay_alu instid0(VALU_DEP_1)
	v_mad_u32 v3, v1, s27, v3
	v_mad_u32 v2, v1, s26, v2
	v_mov_b32_e32 v1, v4
	s_cbranch_scc1 .LBB19_295
; %bb.296:
	s_delay_alu instid0(VALU_DEP_3)
	v_mov_b32_e32 v4, v3
.LBB19_297:
	s_cbranch_execnz .LBB19_300
.LBB19_298:
	s_wait_loadcnt 0x0
	v_mov_b32_e32 v1, 0
	s_and_not1_b32 vcc_lo, exec_lo, s35
	s_delay_alu instid0(VALU_DEP_1) | instskip(NEXT) | instid1(VALU_DEP_1)
	v_mul_u64_e32 v[2:3], s[16:17], v[0:1]
	v_add_nc_u32_e32 v2, v0, v3
	s_delay_alu instid0(VALU_DEP_1) | instskip(NEXT) | instid1(VALU_DEP_1)
	v_lshrrev_b32_e32 v6, s14, v2
	v_mul_lo_u32 v2, v6, s12
	s_delay_alu instid0(VALU_DEP_1) | instskip(NEXT) | instid1(VALU_DEP_1)
	v_sub_nc_u32_e32 v2, v0, v2
	v_mul_lo_u32 v4, v2, s9
	v_mul_lo_u32 v2, v2, s8
	s_cbranch_vccnz .LBB19_300
; %bb.299:
	v_mov_b32_e32 v7, v1
	s_delay_alu instid0(VALU_DEP_1) | instskip(NEXT) | instid1(VALU_DEP_1)
	v_mul_u64_e32 v[8:9], s[18:19], v[6:7]
	v_add_nc_u32_e32 v1, v6, v9
	s_delay_alu instid0(VALU_DEP_1) | instskip(NEXT) | instid1(VALU_DEP_1)
	v_lshrrev_b32_e32 v1, s1, v1
	v_mul_lo_u32 v1, v1, s15
	s_delay_alu instid0(VALU_DEP_1) | instskip(NEXT) | instid1(VALU_DEP_1)
	v_sub_nc_u32_e32 v1, v6, v1
	v_mad_u32 v2, v1, s10, v2
	v_mad_u32 v4, v1, s11, v4
.LBB19_300:
	v_mov_b32_e32 v5, 0
	s_and_b32 s0, 0xffff, s13
	s_delay_alu instid0(SALU_CYCLE_1) | instskip(NEXT) | instid1(VALU_DEP_1)
	s_cmp_lt_i32 s0, 11
	v_add_nc_u64_e32 v[4:5], s[6:7], v[4:5]
	s_cbranch_scc1 .LBB19_307
; %bb.301:
	s_cmp_gt_i32 s0, 25
	s_cbranch_scc0 .LBB19_328
; %bb.302:
	s_cmp_gt_i32 s0, 28
	s_cbranch_scc0 .LBB19_330
	;; [unrolled: 3-line block ×4, first 2 shown]
; %bb.305:
	s_cmp_eq_u32 s0, 46
	s_mov_b32 s24, 0
	s_cbranch_scc0 .LBB19_340
; %bb.306:
	s_wait_loadcnt 0x0
	global_load_b32 v1, v[4:5], off
	s_mov_b32 s23, -1
	s_mov_b32 s22, 0
	s_wait_loadcnt 0x0
	v_lshlrev_b32_e32 v1, 16, v1
	s_branch .LBB19_342
.LBB19_307:
	s_mov_b32 s23, 0
	s_mov_b32 s22, s40
                                        ; implicit-def: $vgpr1
	s_cbranch_execnz .LBB19_519
.LBB19_308:
	s_and_not1_b32 vcc_lo, exec_lo, s23
	s_cbranch_vccnz .LBB19_567
.LBB19_309:
	s_mov_b32 s23, exec_lo
                                        ; implicit-def: $vgpr4
	s_wait_loadcnt 0x0
	s_delay_alu instid0(VALU_DEP_1)
	v_cmpx_ge_f32_e64 0x41000000, |v1|
	s_xor_b32 s23, exec_lo, s23
	s_cbranch_execz .LBB19_315
; %bb.310:
	v_fma_f32 v3, |v1|, 0.5, -2.0
	s_mov_b32 s0, 0x224cf950
	v_mul_f32_e64 v6, 0x3fb8aa3b, |v1|
	v_cmp_ngt_f32_e64 vcc_lo, 0xc2ce8ed0, |v1|
	s_delay_alu instid0(VALU_DEP_3) | instskip(SKIP_1) | instid1(VALU_DEP_4)
	v_fmaak_f32 v4, s0, v3, 0xa3c2be86
	v_cmp_nlt_f32_e64 s0, 0x42b17218, |v1|
	v_rndne_f32_e32 v7, v6
	v_fma_f32 v8, 0x3fb8aa3b, |v1|, -v6
	s_delay_alu instid0(VALU_DEP_2) | instskip(NEXT) | instid1(VALU_DEP_2)
	v_dual_fmaak_f32 v5, v3, v4, 0xa24cf950 :: v_dual_sub_f32 v6, v6, v7
	v_fma_f32 v8, 0x32a5705f, |v1|, v8
	s_delay_alu instid0(VALU_DEP_1) | instskip(NEXT) | instid1(VALU_DEP_1)
	v_dual_add_f32 v5, 0x25331f1f, v5 :: v_dual_add_f32 v6, v6, v8
	v_fma_f32 v4, v3, v5, -v4
	s_delay_alu instid0(VALU_DEP_1) | instskip(NEXT) | instid1(VALU_DEP_1)
	v_add_f32_e32 v4, 0xa69f5554, v4
	v_fma_f32 v5, v3, v4, -v5
	s_delay_alu instid0(VALU_DEP_1) | instskip(NEXT) | instid1(VALU_DEP_1)
	v_add_f32_e32 v5, 0x2808ebf8, v5
	;; [unrolled: 3-line block ×25, first 2 shown]
	v_fma_f32 v3, v3, v4, -v5
	v_exp_f32_e32 v4, v6
	v_nop
	v_cvt_i32_f32_e32 v6, v7
	s_delay_alu instid0(VALU_DEP_3)
	v_add_f32_e32 v3, 0x3e81531c, v3
	s_delay_alu instid0(TRANS32_DEP_1) | instid1(VALU_DEP_2)
	v_ldexp_f32 v4, v4, v6
	s_delay_alu instid0(VALU_DEP_1) | instskip(SKIP_1) | instid1(VALU_DEP_2)
	v_dual_sub_f32 v3, v3, v5 :: v_dual_cndmask_b32 v4, 0, v4
	v_cmp_ngt_f32_e32 vcc_lo, 0, v1
	v_mul_f32_e32 v3, 0.5, v3
	s_delay_alu instid0(VALU_DEP_1) | instskip(NEXT) | instid1(VALU_DEP_4)
	v_mul_f32_e64 v3, |v1|, v3
	v_cndmask_b32_e64 v1, 0x7f800000, v4, s0
                                        ; implicit-def: $vgpr4
	s_and_saveexec_b32 s0, vcc_lo
	s_delay_alu instid0(SALU_CYCLE_1)
	s_xor_b32 s0, exec_lo, s0
; %bb.311:
	s_delay_alu instid0(VALU_DEP_1)
	v_mul_f32_e32 v4, v1, v3
                                        ; implicit-def: $vgpr1
                                        ; implicit-def: $vgpr3
; %bb.312:
	s_and_not1_saveexec_b32 s0, s0
; %bb.313:
	v_mul_f32_e64 v4, v3, -v1
; %bb.314:
	s_or_b32 exec_lo, exec_lo, s0
                                        ; implicit-def: $vgpr1
.LBB19_315:
	s_and_not1_saveexec_b32 s23, s23
	s_cbranch_execz .LBB19_321
; %bb.316:
	v_and_b32_e32 v3, 0x7fffffff, v1
	s_mov_b32 s0, 0x230aab6e
	s_delay_alu instid0(VALU_DEP_1) | instskip(SKIP_1) | instid1(VALU_DEP_2)
	v_div_scale_f32 v4, null, v3, v3, 0x42000000
	v_div_scale_f32 v3, vcc_lo, 0x42000000, v3, 0x42000000
	v_rcp_f32_e32 v5, v4
	v_nop
	s_delay_alu instid0(TRANS32_DEP_1) | instskip(NEXT) | instid1(VALU_DEP_1)
	v_fma_f32 v6, -v4, v5, 1.0
	v_fmac_f32_e32 v5, v6, v5
	s_delay_alu instid0(VALU_DEP_1) | instskip(NEXT) | instid1(VALU_DEP_1)
	v_mul_f32_e32 v6, v3, v5
	v_fma_f32 v7, -v4, v6, v3
	s_delay_alu instid0(VALU_DEP_1) | instskip(NEXT) | instid1(VALU_DEP_1)
	v_fmac_f32_e32 v6, v7, v5
	v_fma_f32 v3, -v4, v6, v3
	s_delay_alu instid0(VALU_DEP_1) | instskip(SKIP_2) | instid1(VALU_DEP_3)
	v_div_fmas_f32 v3, v3, v5, v6
	v_mul_f32_e64 v6, 0x3fb8aa3b, |v1|
	v_cmp_ngt_f32_e64 vcc_lo, 0xc2ce8ed0, |v1|
	v_div_fixup_f32 v3, v3, |v1|, 0x42000000
	s_delay_alu instid0(VALU_DEP_3) | instskip(SKIP_1) | instid1(VALU_DEP_3)
	v_rndne_f32_e32 v7, v6
	v_fma_f32 v8, 0x3fb8aa3b, |v1|, -v6
	v_add_f32_e32 v3, -2.0, v3
	s_delay_alu instid0(VALU_DEP_3) | instskip(NEXT) | instid1(VALU_DEP_3)
	v_sub_f32_e32 v6, v6, v7
	v_fma_f32 v8, 0x32a5705f, |v1|, v8
	v_cvt_i32_f32_e32 v7, v7
	s_delay_alu instid0(VALU_DEP_4) | instskip(SKIP_1) | instid1(VALU_DEP_4)
	v_fmaak_f32 v4, s0, v3, 0x22a2dc57
	v_cmp_nlt_f32_e64 s0, 0x42b17218, |v1|
	v_add_f32_e32 v6, v6, v8
	s_delay_alu instid0(VALU_DEP_1) | instskip(SKIP_1) | instid1(TRANS32_DEP_1)
	v_exp_f32_e32 v6, v6
	v_nop
	v_ldexp_f32 v6, v6, v7
	v_fmaak_f32 v5, v3, v4, 0xa30aab6e
	s_delay_alu instid0(VALU_DEP_1) | instskip(NEXT) | instid1(VALU_DEP_1)
	v_add_f32_e32 v5, 0xa456751e, v5
	v_fma_f32 v4, v3, v5, -v4
	s_delay_alu instid0(VALU_DEP_1) | instskip(NEXT) | instid1(VALU_DEP_1)
	v_add_f32_e32 v4, 0xa4140365, v4
	v_fma_f32 v5, v3, v4, -v5
	;; [unrolled: 3-line block ×21, first 2 shown]
	s_delay_alu instid0(VALU_DEP_1) | instskip(NEXT) | instid1(VALU_DEP_1)
	v_add_f32_e32 v4, 0xbc1fed03, v4
	v_dual_fma_f32 v3, v3, v4, -v5 :: v_dual_cndmask_b32 v4, 0, v6, vcc_lo
	s_delay_alu instid0(VALU_DEP_1) | instskip(NEXT) | instid1(VALU_DEP_2)
	v_add_f32_e32 v6, 0x3f4750c6, v3
	v_cndmask_b32_e64 v3, 0x7f800000, v4, s0
                                        ; implicit-def: $vgpr4
	s_mov_b32 s0, exec_lo
	s_delay_alu instid0(VALU_DEP_2)
	v_sub_f32_e32 v5, v6, v5
	v_cmpx_ngt_f32_e32 0, v1
	s_xor_b32 s24, exec_lo, s0
	s_cbranch_execz .LBB19_318
; %bb.317:
	v_mul_f32_e64 v4, 0x4f800000, |v1|
	v_cmp_gt_f32_e64 vcc_lo, 0xf800000, |v1|
	v_mul_f32_e32 v5, 0.5, v5
	s_delay_alu instid0(VALU_DEP_2) | instskip(NEXT) | instid1(VALU_DEP_2)
	v_cndmask_b32_e64 v1, |v1|, v4, vcc_lo
	v_mul_f32_e32 v3, v3, v5
	s_delay_alu instid0(VALU_DEP_2) | instskip(SKIP_1) | instid1(TRANS32_DEP_1)
	v_sqrt_f32_e32 v4, v1
	v_nop
	v_dual_add_nc_u32 v6, -1, v4 :: v_dual_add_nc_u32 v7, 1, v4
	s_delay_alu instid0(VALU_DEP_1) | instskip(NEXT) | instid1(VALU_DEP_1)
	v_dual_fma_f32 v8, -v6, v4, v1 :: v_dual_fma_f32 v9, -v7, v4, v1
	v_cmp_ge_f32_e64 s0, 0, v8
	s_delay_alu instid0(VALU_DEP_1) | instskip(NEXT) | instid1(VALU_DEP_3)
	v_cndmask_b32_e64 v4, v4, v6, s0
	v_cmp_lt_f32_e64 s0, 0, v9
	s_delay_alu instid0(VALU_DEP_1) | instskip(NEXT) | instid1(VALU_DEP_1)
	v_cndmask_b32_e64 v4, v4, v7, s0
	v_mul_f32_e32 v6, 0x37800000, v4
	s_delay_alu instid0(VALU_DEP_1) | instskip(SKIP_1) | instid1(VALU_DEP_2)
	v_cndmask_b32_e32 v4, v4, v6, vcc_lo
	v_cmp_class_f32_e64 vcc_lo, v1, 0x260
	v_cndmask_b32_e32 v1, v4, v1, vcc_lo
	s_delay_alu instid0(VALU_DEP_1) | instskip(NEXT) | instid1(VALU_DEP_1)
	v_div_scale_f32 v4, null, v1, v1, v3
	v_rcp_f32_e32 v5, v4
	v_nop
	s_delay_alu instid0(TRANS32_DEP_1) | instskip(NEXT) | instid1(VALU_DEP_1)
	v_fma_f32 v6, -v4, v5, 1.0
	v_fmac_f32_e32 v5, v6, v5
	v_div_scale_f32 v6, vcc_lo, v3, v1, v3
	s_delay_alu instid0(VALU_DEP_1) | instskip(NEXT) | instid1(VALU_DEP_1)
	v_mul_f32_e32 v7, v6, v5
	v_fma_f32 v8, -v4, v7, v6
	s_delay_alu instid0(VALU_DEP_1) | instskip(NEXT) | instid1(VALU_DEP_1)
	v_fmac_f32_e32 v7, v8, v5
	v_fma_f32 v4, -v4, v7, v6
	s_delay_alu instid0(VALU_DEP_1) | instskip(NEXT) | instid1(VALU_DEP_1)
	v_div_fmas_f32 v4, v4, v5, v7
                                        ; implicit-def: $vgpr5
	v_div_fixup_f32 v4, v4, v1, v3
                                        ; implicit-def: $vgpr1
                                        ; implicit-def: $vgpr3
.LBB19_318:
	s_and_not1_saveexec_b32 s24, s24
	s_cbranch_execz .LBB19_320
; %bb.319:
	v_mul_f32_e64 v4, 0x4f800000, |v1|
	v_cmp_gt_f32_e64 vcc_lo, 0xf800000, |v1|
	v_mul_f32_e32 v5, -0.5, v5
	s_delay_alu instid0(VALU_DEP_2) | instskip(NEXT) | instid1(VALU_DEP_2)
	v_cndmask_b32_e64 v1, |v1|, v4, vcc_lo
	v_mul_f32_e32 v3, v3, v5
	s_delay_alu instid0(VALU_DEP_2) | instskip(SKIP_1) | instid1(TRANS32_DEP_1)
	v_sqrt_f32_e32 v4, v1
	v_nop
	v_dual_add_nc_u32 v6, -1, v4 :: v_dual_add_nc_u32 v7, 1, v4
	s_delay_alu instid0(VALU_DEP_1) | instskip(NEXT) | instid1(VALU_DEP_1)
	v_dual_fma_f32 v8, -v6, v4, v1 :: v_dual_fma_f32 v9, -v7, v4, v1
	v_cmp_ge_f32_e64 s0, 0, v8
	s_delay_alu instid0(VALU_DEP_1) | instskip(NEXT) | instid1(VALU_DEP_3)
	v_cndmask_b32_e64 v4, v4, v6, s0
	v_cmp_lt_f32_e64 s0, 0, v9
	s_delay_alu instid0(VALU_DEP_1) | instskip(NEXT) | instid1(VALU_DEP_1)
	v_cndmask_b32_e64 v4, v4, v7, s0
	v_mul_f32_e32 v6, 0x37800000, v4
	s_delay_alu instid0(VALU_DEP_1) | instskip(SKIP_1) | instid1(VALU_DEP_2)
	v_cndmask_b32_e32 v4, v4, v6, vcc_lo
	v_cmp_class_f32_e64 vcc_lo, v1, 0x260
	v_cndmask_b32_e32 v1, v4, v1, vcc_lo
	s_delay_alu instid0(VALU_DEP_1) | instskip(NEXT) | instid1(VALU_DEP_1)
	v_div_scale_f32 v4, null, v1, v1, v3
	v_rcp_f32_e32 v5, v4
	v_nop
	s_delay_alu instid0(TRANS32_DEP_1) | instskip(NEXT) | instid1(VALU_DEP_1)
	v_fma_f32 v6, -v4, v5, 1.0
	v_fmac_f32_e32 v5, v6, v5
	v_div_scale_f32 v6, vcc_lo, v3, v1, v3
	s_delay_alu instid0(VALU_DEP_1) | instskip(NEXT) | instid1(VALU_DEP_1)
	v_mul_f32_e32 v7, v6, v5
	v_fma_f32 v8, -v4, v7, v6
	s_delay_alu instid0(VALU_DEP_1) | instskip(NEXT) | instid1(VALU_DEP_1)
	v_fmac_f32_e32 v7, v8, v5
	v_fma_f32 v4, -v4, v7, v6
	s_delay_alu instid0(VALU_DEP_1) | instskip(NEXT) | instid1(VALU_DEP_1)
	v_div_fmas_f32 v4, v4, v5, v7
	v_div_fixup_f32 v4, v4, v1, v3
.LBB19_320:
	s_or_b32 exec_lo, exec_lo, s24
.LBB19_321:
	s_delay_alu instid0(SALU_CYCLE_1) | instskip(SKIP_2) | instid1(SALU_CYCLE_1)
	s_or_b32 exec_lo, exec_lo, s23
	v_mov_b32_e32 v3, 0
	s_and_b32 s23, s34, 0xff
	s_cmp_lt_i32 s23, 11
	s_delay_alu instid0(VALU_DEP_1)
	v_add_nc_u64_e32 v[2:3], s[4:5], v[2:3]
	s_cbranch_scc1 .LBB19_329
; %bb.322:
	s_and_b32 s24, 0xffff, s23
	s_delay_alu instid0(SALU_CYCLE_1)
	s_cmp_gt_i32 s24, 25
	s_cbranch_scc0 .LBB19_331
; %bb.323:
	s_cmp_gt_i32 s24, 28
	s_cbranch_scc0 .LBB19_333
; %bb.324:
	s_cmp_gt_i32 s24, 43
	s_cbranch_scc0 .LBB19_337
; %bb.325:
	s_cmp_gt_i32 s24, 45
	s_cbranch_scc0 .LBB19_345
; %bb.326:
	s_mov_b32 s26, 0
	s_mov_b32 s0, -1
	s_cmp_eq_u32 s24, 46
	s_mov_b32 s25, 0
	s_cbranch_scc0 .LBB19_346
; %bb.327:
	v_bfe_u32 v1, v4, 16, 1
	v_cmp_o_f32_e32 vcc_lo, v4, v4
	s_mov_b32 s25, -1
	s_mov_b32 s0, 0
	s_delay_alu instid0(VALU_DEP_2) | instskip(NEXT) | instid1(VALU_DEP_1)
	v_add3_u32 v1, v4, v1, 0x7fff
	v_lshrrev_b32_e32 v1, 16, v1
	s_delay_alu instid0(VALU_DEP_1)
	v_cndmask_b32_e32 v1, 0x7fc0, v1, vcc_lo
	global_store_b32 v[2:3], v1, off
	s_branch .LBB19_346
.LBB19_328:
	s_mov_b32 s24, -1
	s_mov_b32 s23, 0
	s_mov_b32 s22, s40
                                        ; implicit-def: $vgpr1
	s_branch .LBB19_483
.LBB19_329:
	s_mov_b32 s24, -1
	s_mov_b32 s25, 0
	s_mov_b32 s0, s39
	s_branch .LBB19_415
.LBB19_330:
	s_mov_b32 s24, -1
	s_mov_b32 s23, 0
	s_mov_b32 s22, s40
                                        ; implicit-def: $vgpr1
	s_branch .LBB19_464
.LBB19_331:
	s_mov_b32 s26, -1
	s_mov_b32 s25, 0
	s_mov_b32 s0, s39
	s_branch .LBB19_373
.LBB19_332:
	s_mov_b32 s24, -1
	s_mov_b32 s23, 0
	s_mov_b32 s22, s40
                                        ; implicit-def: $vgpr1
	s_branch .LBB19_459
.LBB19_333:
	s_mov_b32 s26, -1
	s_mov_b32 s25, 0
	s_mov_b32 s0, s39
	s_branch .LBB19_356
.LBB19_334:
	s_and_not1_saveexec_b32 s27, s27
	s_cbranch_execz .LBB19_81
.LBB19_335:
	v_add_f32_e64 v1, 0x46000000, |v4|
	s_and_not1_b32 s26, s26, exec_lo
	s_delay_alu instid0(VALU_DEP_1) | instskip(NEXT) | instid1(VALU_DEP_1)
	v_and_b32_e32 v1, 0xff, v1
	v_cmp_ne_u32_e32 vcc_lo, 0, v1
	s_and_b32 s39, vcc_lo, exec_lo
	s_delay_alu instid0(SALU_CYCLE_1)
	s_or_b32 s26, s26, s39
	s_or_b32 exec_lo, exec_lo, s27
	v_mov_b32_e32 v5, 0
	s_and_saveexec_b32 s27, s26
	s_cbranch_execnz .LBB19_82
	s_branch .LBB19_83
.LBB19_336:
	s_mov_b32 s24, -1
	s_mov_b32 s23, 0
	s_mov_b32 s22, s40
	s_branch .LBB19_341
.LBB19_337:
	s_mov_b32 s26, -1
	s_mov_b32 s25, 0
	s_mov_b32 s0, s39
	s_branch .LBB19_352
.LBB19_338:
	s_and_not1_saveexec_b32 s27, s27
	s_cbranch_execz .LBB19_94
.LBB19_339:
	v_add_f32_e64 v1, 0x42800000, |v4|
	s_and_not1_b32 s26, s26, exec_lo
	s_delay_alu instid0(VALU_DEP_1) | instskip(NEXT) | instid1(VALU_DEP_1)
	v_and_b32_e32 v1, 0xff, v1
	v_cmp_ne_u32_e32 vcc_lo, 0, v1
	s_and_b32 s39, vcc_lo, exec_lo
	s_delay_alu instid0(SALU_CYCLE_1)
	s_or_b32 s26, s26, s39
	s_or_b32 exec_lo, exec_lo, s27
	v_mov_b32_e32 v5, 0
	s_and_saveexec_b32 s27, s26
	s_cbranch_execnz .LBB19_95
	s_branch .LBB19_96
.LBB19_340:
	s_mov_b32 s22, -1
	s_mov_b32 s23, 0
.LBB19_341:
                                        ; implicit-def: $vgpr1
.LBB19_342:
	s_and_b32 vcc_lo, exec_lo, s24
	s_cbranch_vccz .LBB19_458
; %bb.343:
	s_cmp_eq_u32 s0, 44
	s_cbranch_scc0 .LBB19_457
; %bb.344:
	s_wait_loadcnt 0x0
	global_load_u8 v1, v[4:5], off
	s_mov_b32 s22, 0
	s_mov_b32 s23, -1
	s_wait_loadcnt 0x0
	v_lshlrev_b32_e32 v3, 23, v1
	v_cmp_ne_u32_e32 vcc_lo, 0xff, v1
	s_delay_alu instid0(VALU_DEP_2) | instskip(SKIP_1) | instid1(VALU_DEP_2)
	v_cndmask_b32_e32 v3, 0x7f800001, v3, vcc_lo
	v_cmp_ne_u32_e32 vcc_lo, 0, v1
	v_cndmask_b32_e32 v1, 0x400000, v3, vcc_lo
	s_branch .LBB19_458
.LBB19_345:
	s_mov_b32 s26, -1
	s_mov_b32 s25, 0
	s_mov_b32 s0, s39
.LBB19_346:
	s_and_b32 vcc_lo, exec_lo, s26
	s_cbranch_vccz .LBB19_351
; %bb.347:
	s_cmp_eq_u32 s24, 44
	s_mov_b32 s0, -1
	s_cbranch_scc0 .LBB19_351
; %bb.348:
	v_bfe_u32 v5, v4, 23, 8
	s_wait_xcnt 0x0
	v_mov_b32_e32 v1, 0xff
	s_mov_b32 s25, exec_lo
	s_delay_alu instid0(VALU_DEP_2)
	v_cmpx_ne_u32_e32 0xff, v5
	s_cbranch_execz .LBB19_350
; %bb.349:
	v_and_b32_e32 v1, 0x400000, v4
	v_and_or_b32 v5, 0x3fffff, v4, v5
	s_delay_alu instid0(VALU_DEP_2) | instskip(NEXT) | instid1(VALU_DEP_2)
	v_cmp_ne_u32_e32 vcc_lo, 0, v1
	v_cmp_ne_u32_e64 s0, 0, v5
	v_lshrrev_b32_e32 v1, 23, v4
	s_and_b32 s0, vcc_lo, s0
	s_delay_alu instid0(SALU_CYCLE_1) | instskip(NEXT) | instid1(VALU_DEP_1)
	v_cndmask_b32_e64 v5, 0, 1, s0
	v_add_nc_u32_e32 v1, v1, v5
.LBB19_350:
	s_or_b32 exec_lo, exec_lo, s25
	s_mov_b32 s25, -1
	s_mov_b32 s0, 0
	global_store_b8 v[2:3], v1, off
.LBB19_351:
	s_mov_b32 s26, 0
.LBB19_352:
	s_delay_alu instid0(SALU_CYCLE_1)
	s_and_b32 vcc_lo, exec_lo, s26
	s_cbranch_vccz .LBB19_355
; %bb.353:
	s_cmp_eq_u32 s24, 29
	s_mov_b32 s0, -1
	s_cbranch_scc0 .LBB19_355
; %bb.354:
	s_wait_xcnt 0x0
	v_trunc_f32_e32 v1, v4
	s_mov_b32 s25, -1
	s_mov_b32 s0, 0
	s_mov_b32 s26, 0
	s_delay_alu instid0(VALU_DEP_1) | instskip(NEXT) | instid1(VALU_DEP_1)
	v_mul_f32_e32 v5, 0x2f800000, v1
	v_floor_f32_e32 v5, v5
	s_delay_alu instid0(VALU_DEP_1) | instskip(SKIP_1) | instid1(VALU_DEP_2)
	v_fmamk_f32 v1, v5, 0xcf800000, v1
	v_cvt_u32_f32_e32 v7, v5
	v_cvt_u32_f32_e32 v6, v1
	global_store_b64 v[2:3], v[6:7], off
	s_branch .LBB19_356
.LBB19_355:
	s_mov_b32 s26, 0
.LBB19_356:
	s_delay_alu instid0(SALU_CYCLE_1)
	s_and_b32 vcc_lo, exec_lo, s26
	s_cbranch_vccz .LBB19_372
; %bb.357:
	s_cmp_lt_i32 s24, 27
	s_mov_b32 s25, -1
	s_cbranch_scc1 .LBB19_363
; %bb.358:
	s_wait_xcnt 0x0
	v_cvt_u32_f32_e32 v1, v4
	s_cmp_gt_i32 s24, 27
	s_cbranch_scc0 .LBB19_360
; %bb.359:
	s_mov_b32 s25, 0
	global_store_b32 v[2:3], v1, off
.LBB19_360:
	s_and_not1_b32 vcc_lo, exec_lo, s25
	s_cbranch_vccnz .LBB19_362
; %bb.361:
	global_store_b16 v[2:3], v1, off
.LBB19_362:
	s_mov_b32 s25, 0
.LBB19_363:
	s_delay_alu instid0(SALU_CYCLE_1)
	s_and_not1_b32 vcc_lo, exec_lo, s25
	s_cbranch_vccnz .LBB19_371
; %bb.364:
	s_wait_xcnt 0x0
	v_and_b32_e32 v1, 0x7fffffff, v4
	v_mov_b32_e32 v5, 0x80
	s_mov_b32 s25, exec_lo
	s_delay_alu instid0(VALU_DEP_2)
	v_cmpx_gt_u32_e32 0x43800000, v1
	s_cbranch_execz .LBB19_370
; %bb.365:
	v_cmp_lt_u32_e32 vcc_lo, 0x3bffffff, v1
	s_mov_b32 s26, 0
                                        ; implicit-def: $vgpr1
	s_and_saveexec_b32 s27, vcc_lo
	s_delay_alu instid0(SALU_CYCLE_1)
	s_xor_b32 s27, exec_lo, s27
	s_cbranch_execz .LBB19_600
; %bb.366:
	v_bfe_u32 v1, v4, 20, 1
	s_mov_b32 s26, exec_lo
	s_delay_alu instid0(VALU_DEP_1) | instskip(NEXT) | instid1(VALU_DEP_1)
	v_add3_u32 v1, v4, v1, 0x487ffff
	v_lshrrev_b32_e32 v1, 20, v1
	s_and_not1_saveexec_b32 s27, s27
	s_cbranch_execnz .LBB19_601
.LBB19_367:
	s_or_b32 exec_lo, exec_lo, s27
	v_mov_b32_e32 v5, 0
	s_and_saveexec_b32 s27, s26
.LBB19_368:
	v_lshrrev_b32_e32 v5, 24, v4
	s_delay_alu instid0(VALU_DEP_1)
	v_and_or_b32 v5, 0x80, v5, v1
.LBB19_369:
	s_or_b32 exec_lo, exec_lo, s27
.LBB19_370:
	s_delay_alu instid0(SALU_CYCLE_1)
	s_or_b32 exec_lo, exec_lo, s25
	global_store_b8 v[2:3], v5, off
.LBB19_371:
	s_mov_b32 s25, -1
.LBB19_372:
	s_mov_b32 s26, 0
.LBB19_373:
	s_delay_alu instid0(SALU_CYCLE_1)
	s_and_b32 vcc_lo, exec_lo, s26
	s_cbranch_vccz .LBB19_414
; %bb.374:
	s_cmp_gt_i32 s24, 22
	s_mov_b32 s26, -1
	s_cbranch_scc0 .LBB19_406
; %bb.375:
	s_cmp_lt_i32 s24, 24
	s_mov_b32 s25, -1
	s_cbranch_scc1 .LBB19_395
; %bb.376:
	s_cmp_gt_i32 s24, 24
	s_cbranch_scc0 .LBB19_384
; %bb.377:
	s_wait_xcnt 0x0
	v_and_b32_e32 v1, 0x7fffffff, v4
	v_mov_b32_e32 v5, 0x80
	s_mov_b32 s25, exec_lo
	s_delay_alu instid0(VALU_DEP_2)
	v_cmpx_gt_u32_e32 0x47800000, v1
	s_cbranch_execz .LBB19_383
; %bb.378:
	v_cmp_lt_u32_e32 vcc_lo, 0x37ffffff, v1
	s_mov_b32 s26, 0
                                        ; implicit-def: $vgpr1
	s_and_saveexec_b32 s27, vcc_lo
	s_delay_alu instid0(SALU_CYCLE_1)
	s_xor_b32 s27, exec_lo, s27
	s_cbranch_execz .LBB19_603
; %bb.379:
	v_bfe_u32 v1, v4, 21, 1
	s_mov_b32 s26, exec_lo
	s_delay_alu instid0(VALU_DEP_1) | instskip(NEXT) | instid1(VALU_DEP_1)
	v_add3_u32 v1, v4, v1, 0x88fffff
	v_lshrrev_b32_e32 v1, 21, v1
	s_and_not1_saveexec_b32 s27, s27
	s_cbranch_execnz .LBB19_604
.LBB19_380:
	s_or_b32 exec_lo, exec_lo, s27
	v_mov_b32_e32 v5, 0
	s_and_saveexec_b32 s27, s26
.LBB19_381:
	v_lshrrev_b32_e32 v5, 24, v4
	s_delay_alu instid0(VALU_DEP_1)
	v_and_or_b32 v5, 0x80, v5, v1
.LBB19_382:
	s_or_b32 exec_lo, exec_lo, s27
.LBB19_383:
	s_delay_alu instid0(SALU_CYCLE_1)
	s_or_b32 exec_lo, exec_lo, s25
	s_mov_b32 s25, 0
	global_store_b8 v[2:3], v5, off
.LBB19_384:
	s_and_b32 vcc_lo, exec_lo, s25
	s_cbranch_vccz .LBB19_394
; %bb.385:
	s_wait_xcnt 0x0
	v_and_b32_e32 v5, 0x7fffffff, v4
	s_mov_b32 s25, exec_lo
                                        ; implicit-def: $vgpr1
	s_delay_alu instid0(VALU_DEP_1)
	v_cmpx_gt_u32_e32 0x43f00000, v5
	s_xor_b32 s25, exec_lo, s25
	s_cbranch_execz .LBB19_391
; %bb.386:
	s_mov_b32 s26, exec_lo
                                        ; implicit-def: $vgpr1
	v_cmpx_lt_u32_e32 0x3c7fffff, v5
	s_xor_b32 s26, exec_lo, s26
; %bb.387:
	v_bfe_u32 v1, v4, 20, 1
	s_delay_alu instid0(VALU_DEP_1) | instskip(NEXT) | instid1(VALU_DEP_1)
	v_add3_u32 v1, v4, v1, 0x407ffff
	v_and_b32_e32 v5, 0xff00000, v1
	v_lshrrev_b32_e32 v1, 20, v1
	s_delay_alu instid0(VALU_DEP_2) | instskip(NEXT) | instid1(VALU_DEP_2)
	v_cmp_ne_u32_e32 vcc_lo, 0x7f00000, v5
	v_cndmask_b32_e32 v1, 0x7e, v1, vcc_lo
; %bb.388:
	s_and_not1_saveexec_b32 s26, s26
; %bb.389:
	v_add_f32_e64 v1, 0x46800000, |v4|
; %bb.390:
	s_or_b32 exec_lo, exec_lo, s26
                                        ; implicit-def: $vgpr5
.LBB19_391:
	s_and_not1_saveexec_b32 s25, s25
; %bb.392:
	v_mov_b32_e32 v1, 0x7f
	v_cmp_lt_u32_e32 vcc_lo, 0x7f800000, v5
	s_delay_alu instid0(VALU_DEP_2)
	v_cndmask_b32_e32 v1, 0x7e, v1, vcc_lo
; %bb.393:
	s_or_b32 exec_lo, exec_lo, s25
	v_lshrrev_b32_e32 v5, 24, v4
	s_delay_alu instid0(VALU_DEP_1)
	v_and_or_b32 v1, 0x80, v5, v1
	global_store_b8 v[2:3], v1, off
.LBB19_394:
	s_mov_b32 s25, 0
.LBB19_395:
	s_delay_alu instid0(SALU_CYCLE_1)
	s_and_not1_b32 vcc_lo, exec_lo, s25
	s_cbranch_vccnz .LBB19_405
; %bb.396:
	s_wait_xcnt 0x0
	v_and_b32_e32 v5, 0x7fffffff, v4
	s_mov_b32 s25, exec_lo
                                        ; implicit-def: $vgpr1
	s_delay_alu instid0(VALU_DEP_1)
	v_cmpx_gt_u32_e32 0x47800000, v5
	s_xor_b32 s25, exec_lo, s25
	s_cbranch_execz .LBB19_402
; %bb.397:
	s_mov_b32 s26, exec_lo
                                        ; implicit-def: $vgpr1
	v_cmpx_lt_u32_e32 0x387fffff, v5
	s_xor_b32 s26, exec_lo, s26
; %bb.398:
	v_bfe_u32 v1, v4, 21, 1
	s_delay_alu instid0(VALU_DEP_1) | instskip(NEXT) | instid1(VALU_DEP_1)
	v_add3_u32 v1, v4, v1, 0x80fffff
	v_lshrrev_b32_e32 v1, 21, v1
; %bb.399:
	s_and_not1_saveexec_b32 s26, s26
; %bb.400:
	v_add_f32_e64 v1, 0x43000000, |v4|
; %bb.401:
	s_or_b32 exec_lo, exec_lo, s26
                                        ; implicit-def: $vgpr5
.LBB19_402:
	s_and_not1_saveexec_b32 s25, s25
; %bb.403:
	v_mov_b32_e32 v1, 0x7f
	v_cmp_lt_u32_e32 vcc_lo, 0x7f800000, v5
	s_delay_alu instid0(VALU_DEP_2)
	v_cndmask_b32_e32 v1, 0x7c, v1, vcc_lo
; %bb.404:
	s_or_b32 exec_lo, exec_lo, s25
	v_lshrrev_b32_e32 v5, 24, v4
	s_delay_alu instid0(VALU_DEP_1)
	v_and_or_b32 v1, 0x80, v5, v1
	global_store_b8 v[2:3], v1, off
.LBB19_405:
	s_mov_b32 s26, 0
	s_mov_b32 s25, -1
.LBB19_406:
	s_and_not1_b32 vcc_lo, exec_lo, s26
	s_cbranch_vccnz .LBB19_414
; %bb.407:
	s_cmp_gt_i32 s24, 14
	s_mov_b32 s26, -1
	s_cbranch_scc0 .LBB19_411
; %bb.408:
	s_cmp_eq_u32 s24, 15
	s_mov_b32 s0, -1
	s_cbranch_scc0 .LBB19_410
; %bb.409:
	s_wait_xcnt 0x0
	v_bfe_u32 v1, v4, 16, 1
	v_cmp_o_f32_e32 vcc_lo, v4, v4
	s_mov_b32 s25, -1
	s_mov_b32 s0, 0
	s_delay_alu instid0(VALU_DEP_2) | instskip(NEXT) | instid1(VALU_DEP_1)
	v_add3_u32 v1, v4, v1, 0x7fff
	v_lshrrev_b32_e32 v1, 16, v1
	s_delay_alu instid0(VALU_DEP_1)
	v_cndmask_b32_e32 v1, 0x7fc0, v1, vcc_lo
	global_store_b16 v[2:3], v1, off
.LBB19_410:
	s_mov_b32 s26, 0
.LBB19_411:
	s_delay_alu instid0(SALU_CYCLE_1)
	s_and_b32 vcc_lo, exec_lo, s26
	s_cbranch_vccz .LBB19_414
; %bb.412:
	s_cmp_eq_u32 s24, 11
	s_mov_b32 s0, -1
	s_cbranch_scc0 .LBB19_414
; %bb.413:
	v_cmp_neq_f32_e32 vcc_lo, 0, v4
	s_mov_b32 s0, 0
	s_mov_b32 s25, -1
	s_wait_xcnt 0x0
	v_cndmask_b32_e64 v1, 0, 1, vcc_lo
	global_store_b8 v[2:3], v1, off
.LBB19_414:
	s_mov_b32 s24, 0
.LBB19_415:
	s_delay_alu instid0(SALU_CYCLE_1)
	s_and_b32 vcc_lo, exec_lo, s24
	s_cbranch_vccz .LBB19_454
; %bb.416:
	s_and_b32 s23, 0xffff, s23
	s_mov_b32 s24, -1
	s_cmp_lt_i32 s23, 5
	s_cbranch_scc1 .LBB19_437
; %bb.417:
	s_cmp_lt_i32 s23, 8
	s_cbranch_scc1 .LBB19_427
; %bb.418:
	;; [unrolled: 3-line block ×3, first 2 shown]
	s_cmp_gt_i32 s23, 9
	s_cbranch_scc0 .LBB19_421
; %bb.420:
	s_wait_xcnt 0x0
	v_cvt_f64_f32_e32 v[6:7], v4
	v_mov_b32_e32 v8, 0
	s_mov_b32 s24, 0
	s_delay_alu instid0(VALU_DEP_1)
	v_mov_b32_e32 v9, v8
	global_store_b128 v[2:3], v[6:9], off
.LBB19_421:
	s_and_not1_b32 vcc_lo, exec_lo, s24
	s_cbranch_vccnz .LBB19_423
; %bb.422:
	s_wait_xcnt 0x0
	v_mov_b32_e32 v5, 0
	global_store_b64 v[2:3], v[4:5], off
.LBB19_423:
	s_mov_b32 s24, 0
.LBB19_424:
	s_delay_alu instid0(SALU_CYCLE_1)
	s_and_not1_b32 vcc_lo, exec_lo, s24
	s_cbranch_vccnz .LBB19_426
; %bb.425:
	s_wait_xcnt 0x0
	v_cvt_f16_f32_e32 v1, v4
	s_delay_alu instid0(VALU_DEP_1)
	v_and_b32_e32 v1, 0xffff, v1
	global_store_b32 v[2:3], v1, off
.LBB19_426:
	s_mov_b32 s24, 0
.LBB19_427:
	s_delay_alu instid0(SALU_CYCLE_1)
	s_and_not1_b32 vcc_lo, exec_lo, s24
	s_cbranch_vccnz .LBB19_436
; %bb.428:
	s_cmp_lt_i32 s23, 6
	s_mov_b32 s24, -1
	s_cbranch_scc1 .LBB19_434
; %bb.429:
	s_cmp_gt_i32 s23, 6
	s_cbranch_scc0 .LBB19_431
; %bb.430:
	s_wait_xcnt 0x0
	v_cvt_f64_f32_e32 v[6:7], v4
	s_mov_b32 s24, 0
	global_store_b64 v[2:3], v[6:7], off
.LBB19_431:
	s_and_not1_b32 vcc_lo, exec_lo, s24
	s_cbranch_vccnz .LBB19_433
; %bb.432:
	global_store_b32 v[2:3], v4, off
.LBB19_433:
	s_mov_b32 s24, 0
.LBB19_434:
	s_delay_alu instid0(SALU_CYCLE_1)
	s_and_not1_b32 vcc_lo, exec_lo, s24
	s_cbranch_vccnz .LBB19_436
; %bb.435:
	s_wait_xcnt 0x0
	v_cvt_f16_f32_e32 v1, v4
	global_store_b16 v[2:3], v1, off
.LBB19_436:
	s_mov_b32 s24, 0
.LBB19_437:
	s_delay_alu instid0(SALU_CYCLE_1)
	s_and_not1_b32 vcc_lo, exec_lo, s24
	s_cbranch_vccnz .LBB19_453
; %bb.438:
	s_cmp_lt_i32 s23, 2
	s_mov_b32 s24, -1
	s_cbranch_scc1 .LBB19_448
; %bb.439:
	s_cmp_lt_i32 s23, 3
	s_cbranch_scc1 .LBB19_445
; %bb.440:
	s_cmp_gt_i32 s23, 3
	s_cbranch_scc0 .LBB19_442
; %bb.441:
	s_wait_xcnt 0x0
	v_trunc_f32_e32 v1, v4
	s_mov_b32 s24, 0
	s_delay_alu instid0(VALU_DEP_1) | instskip(SKIP_1) | instid1(VALU_DEP_2)
	v_mul_f32_e64 v5, 0x2f800000, |v1|
	v_ashrrev_i32_e32 v6, 31, v1
	v_floor_f32_e32 v5, v5
	s_delay_alu instid0(VALU_DEP_1) | instskip(SKIP_1) | instid1(VALU_DEP_2)
	v_fma_f32 v7, 0xcf800000, v5, |v1|
	v_cvt_u32_f32_e32 v1, v5
	v_cvt_u32_f32_e32 v5, v7
	s_delay_alu instid0(VALU_DEP_2) | instskip(NEXT) | instid1(VALU_DEP_2)
	v_dual_mov_b32 v7, v6 :: v_dual_bitop2_b32 v9, v1, v6 bitop3:0x14
	v_xor_b32_e32 v8, v5, v6
	s_delay_alu instid0(VALU_DEP_1)
	v_sub_nc_u64_e32 v[6:7], v[8:9], v[6:7]
	global_store_b64 v[2:3], v[6:7], off
.LBB19_442:
	s_and_not1_b32 vcc_lo, exec_lo, s24
	s_cbranch_vccnz .LBB19_444
; %bb.443:
	s_wait_xcnt 0x0
	v_cvt_i32_f32_e32 v1, v4
	global_store_b32 v[2:3], v1, off
.LBB19_444:
	s_mov_b32 s24, 0
.LBB19_445:
	s_delay_alu instid0(SALU_CYCLE_1)
	s_and_not1_b32 vcc_lo, exec_lo, s24
	s_cbranch_vccnz .LBB19_447
; %bb.446:
	s_wait_xcnt 0x0
	v_cvt_i32_f32_e32 v1, v4
	global_store_b16 v[2:3], v1, off
.LBB19_447:
	s_mov_b32 s24, 0
.LBB19_448:
	s_delay_alu instid0(SALU_CYCLE_1)
	s_and_not1_b32 vcc_lo, exec_lo, s24
	s_cbranch_vccnz .LBB19_453
; %bb.449:
	s_cmp_gt_i32 s23, 0
	s_mov_b32 s23, -1
	s_cbranch_scc0 .LBB19_451
; %bb.450:
	s_wait_xcnt 0x0
	v_cvt_i32_f32_e32 v1, v4
	s_mov_b32 s23, 0
	global_store_b8 v[2:3], v1, off
.LBB19_451:
	s_and_not1_b32 vcc_lo, exec_lo, s23
	s_cbranch_vccnz .LBB19_453
; %bb.452:
	s_wait_xcnt 0x0
	v_trunc_f32_e32 v1, v4
	s_delay_alu instid0(VALU_DEP_1) | instskip(NEXT) | instid1(VALU_DEP_1)
	v_mul_f32_e64 v4, 0x2f800000, |v1|
	v_floor_f32_e32 v4, v4
	s_delay_alu instid0(VALU_DEP_1) | instskip(SKIP_1) | instid1(VALU_DEP_2)
	v_fma_f32 v4, 0xcf800000, v4, |v1|
	v_ashrrev_i32_e32 v1, 31, v1
	v_cvt_u32_f32_e32 v4, v4
	s_delay_alu instid0(VALU_DEP_1) | instskip(NEXT) | instid1(VALU_DEP_1)
	v_xor_b32_e32 v4, v4, v1
	v_sub_nc_u32_e32 v1, v4, v1
	global_store_b8 v[2:3], v1, off
.LBB19_453:
	s_mov_b32 s25, -1
.LBB19_454:
	s_delay_alu instid0(SALU_CYCLE_1)
	s_and_not1_b32 vcc_lo, exec_lo, s25
	s_cbranch_vccnz .LBB19_456
; %bb.455:
	v_add_nc_u32_e32 v0, 0x80, v0
	s_mov_b32 s23, -1
	s_branch .LBB19_569
.LBB19_456:
	s_mov_b32 s23, 0
	s_branch .LBB19_568
.LBB19_457:
	s_mov_b32 s22, -1
                                        ; implicit-def: $vgpr1
.LBB19_458:
	s_mov_b32 s24, 0
.LBB19_459:
	s_delay_alu instid0(SALU_CYCLE_1)
	s_and_b32 vcc_lo, exec_lo, s24
	s_cbranch_vccz .LBB19_463
; %bb.460:
	s_cmp_eq_u32 s0, 29
	s_cbranch_scc0 .LBB19_462
; %bb.461:
	global_load_b64 v[6:7], v[4:5], off
	s_mov_b32 s23, -1
	s_mov_b32 s22, 0
	s_mov_b32 s24, 0
	s_wait_loadcnt 0x0
	v_clz_i32_u32_e32 v1, v7
	s_delay_alu instid0(VALU_DEP_1) | instskip(NEXT) | instid1(VALU_DEP_1)
	v_min_u32_e32 v1, 32, v1
	v_lshlrev_b64_e32 v[6:7], v1, v[6:7]
	v_sub_nc_u32_e32 v1, 32, v1
	s_delay_alu instid0(VALU_DEP_2) | instskip(NEXT) | instid1(VALU_DEP_1)
	v_min_u32_e32 v3, 1, v6
	v_or_b32_e32 v3, v7, v3
	s_delay_alu instid0(VALU_DEP_1) | instskip(NEXT) | instid1(VALU_DEP_1)
	v_cvt_f32_u32_e32 v3, v3
	v_ldexp_f32 v1, v3, v1
	s_branch .LBB19_464
.LBB19_462:
	s_mov_b32 s22, -1
                                        ; implicit-def: $vgpr1
.LBB19_463:
	s_mov_b32 s24, 0
.LBB19_464:
	s_delay_alu instid0(SALU_CYCLE_1)
	s_and_b32 vcc_lo, exec_lo, s24
	s_cbranch_vccz .LBB19_482
; %bb.465:
	s_cmp_lt_i32 s0, 27
	s_cbranch_scc1 .LBB19_468
; %bb.466:
	s_cmp_gt_i32 s0, 27
	s_cbranch_scc0 .LBB19_469
; %bb.467:
	s_wait_loadcnt 0x0
	global_load_b32 v1, v[4:5], off
	s_mov_b32 s23, 0
	s_wait_loadcnt 0x0
	v_cvt_f32_u32_e32 v1, v1
	s_branch .LBB19_470
.LBB19_468:
	s_mov_b32 s23, -1
                                        ; implicit-def: $vgpr1
	s_branch .LBB19_473
.LBB19_469:
	s_mov_b32 s23, -1
                                        ; implicit-def: $vgpr1
.LBB19_470:
	s_delay_alu instid0(SALU_CYCLE_1)
	s_and_not1_b32 vcc_lo, exec_lo, s23
	s_cbranch_vccnz .LBB19_472
; %bb.471:
	s_wait_loadcnt 0x0
	global_load_u16 v1, v[4:5], off
	s_wait_loadcnt 0x0
	v_cvt_f32_u32_e32 v1, v1
.LBB19_472:
	s_mov_b32 s23, 0
.LBB19_473:
	s_delay_alu instid0(SALU_CYCLE_1)
	s_and_not1_b32 vcc_lo, exec_lo, s23
	s_cbranch_vccnz .LBB19_481
; %bb.474:
	global_load_u8 v3, v[4:5], off
	s_mov_b32 s23, 0
	s_mov_b32 s24, exec_lo
	s_wait_loadcnt 0x0
	v_cmpx_lt_i16_e32 0x7f, v3
	s_xor_b32 s24, exec_lo, s24
	s_cbranch_execz .LBB19_495
; %bb.475:
	s_mov_b32 s23, -1
	s_mov_b32 s25, exec_lo
	v_cmpx_eq_u16_e32 0x80, v3
; %bb.476:
	s_xor_b32 s23, exec_lo, -1
; %bb.477:
	s_or_b32 exec_lo, exec_lo, s25
	s_delay_alu instid0(SALU_CYCLE_1)
	s_and_b32 s23, s23, exec_lo
	s_or_saveexec_b32 s24, s24
	v_mov_b32_e32 v1, 0x7f800001
	s_xor_b32 exec_lo, exec_lo, s24
	s_cbranch_execnz .LBB19_496
.LBB19_478:
	s_or_b32 exec_lo, exec_lo, s24
	s_and_saveexec_b32 s24, s23
	s_cbranch_execz .LBB19_480
.LBB19_479:
	v_and_b32_e32 v1, 0xffff, v3
	s_delay_alu instid0(VALU_DEP_1) | instskip(SKIP_1) | instid1(VALU_DEP_2)
	v_and_b32_e32 v6, 7, v1
	v_bfe_u32 v9, v1, 3, 4
	v_clz_i32_u32_e32 v7, v6
	s_delay_alu instid0(VALU_DEP_2) | instskip(NEXT) | instid1(VALU_DEP_2)
	v_cmp_eq_u32_e32 vcc_lo, 0, v9
	v_min_u32_e32 v7, 32, v7
	s_delay_alu instid0(VALU_DEP_1) | instskip(NEXT) | instid1(VALU_DEP_1)
	v_subrev_nc_u32_e32 v8, 28, v7
	v_dual_lshlrev_b32 v1, v8, v1 :: v_dual_sub_nc_u32 v7, 29, v7
	s_delay_alu instid0(VALU_DEP_1) | instskip(NEXT) | instid1(VALU_DEP_1)
	v_dual_lshlrev_b32 v3, 24, v3 :: v_dual_bitop2_b32 v1, 7, v1 bitop3:0x40
	v_dual_cndmask_b32 v1, v6, v1, vcc_lo :: v_dual_cndmask_b32 v7, v9, v7, vcc_lo
	s_delay_alu instid0(VALU_DEP_2) | instskip(NEXT) | instid1(VALU_DEP_2)
	v_and_b32_e32 v3, 0x80000000, v3
	v_lshlrev_b32_e32 v1, 20, v1
	s_delay_alu instid0(VALU_DEP_3) | instskip(NEXT) | instid1(VALU_DEP_1)
	v_lshl_add_u32 v6, v7, 23, 0x3b800000
	v_or3_b32 v1, v3, v6, v1
.LBB19_480:
	s_or_b32 exec_lo, exec_lo, s24
.LBB19_481:
	s_mov_b32 s23, -1
.LBB19_482:
	s_mov_b32 s24, 0
.LBB19_483:
	s_delay_alu instid0(SALU_CYCLE_1)
	s_and_b32 vcc_lo, exec_lo, s24
	s_cbranch_vccz .LBB19_518
; %bb.484:
	s_cmp_gt_i32 s0, 22
	s_cbranch_scc0 .LBB19_494
; %bb.485:
	s_cmp_lt_i32 s0, 24
	s_cbranch_scc1 .LBB19_497
; %bb.486:
	s_cmp_gt_i32 s0, 24
	s_cbranch_scc0 .LBB19_498
; %bb.487:
	global_load_u8 v3, v[4:5], off
	s_mov_b32 s23, 0
	s_mov_b32 s24, exec_lo
	s_wait_loadcnt 0x0
	v_cmpx_lt_i16_e32 0x7f, v3
	s_xor_b32 s24, exec_lo, s24
	s_cbranch_execz .LBB19_510
; %bb.488:
	s_mov_b32 s23, -1
	s_mov_b32 s25, exec_lo
	v_cmpx_eq_u16_e32 0x80, v3
; %bb.489:
	s_xor_b32 s23, exec_lo, -1
; %bb.490:
	s_or_b32 exec_lo, exec_lo, s25
	s_delay_alu instid0(SALU_CYCLE_1)
	s_and_b32 s23, s23, exec_lo
	s_or_saveexec_b32 s24, s24
	v_mov_b32_e32 v1, 0x7f800001
	s_xor_b32 exec_lo, exec_lo, s24
	s_cbranch_execnz .LBB19_511
.LBB19_491:
	s_or_b32 exec_lo, exec_lo, s24
	s_and_saveexec_b32 s24, s23
	s_cbranch_execz .LBB19_493
.LBB19_492:
	v_and_b32_e32 v1, 0xffff, v3
	s_delay_alu instid0(VALU_DEP_1) | instskip(SKIP_1) | instid1(VALU_DEP_2)
	v_and_b32_e32 v6, 3, v1
	v_bfe_u32 v9, v1, 2, 5
	v_clz_i32_u32_e32 v7, v6
	s_delay_alu instid0(VALU_DEP_2) | instskip(NEXT) | instid1(VALU_DEP_2)
	v_cmp_eq_u32_e32 vcc_lo, 0, v9
	v_min_u32_e32 v7, 32, v7
	s_delay_alu instid0(VALU_DEP_1) | instskip(NEXT) | instid1(VALU_DEP_1)
	v_subrev_nc_u32_e32 v8, 29, v7
	v_dual_lshlrev_b32 v1, v8, v1 :: v_dual_sub_nc_u32 v7, 30, v7
	s_delay_alu instid0(VALU_DEP_1) | instskip(NEXT) | instid1(VALU_DEP_1)
	v_dual_lshlrev_b32 v3, 24, v3 :: v_dual_bitop2_b32 v1, 3, v1 bitop3:0x40
	v_dual_cndmask_b32 v1, v6, v1, vcc_lo :: v_dual_cndmask_b32 v7, v9, v7, vcc_lo
	s_delay_alu instid0(VALU_DEP_2) | instskip(NEXT) | instid1(VALU_DEP_2)
	v_and_b32_e32 v3, 0x80000000, v3
	v_lshlrev_b32_e32 v1, 21, v1
	s_delay_alu instid0(VALU_DEP_3) | instskip(NEXT) | instid1(VALU_DEP_1)
	v_lshl_add_u32 v6, v7, 23, 0x37800000
	v_or3_b32 v1, v3, v6, v1
.LBB19_493:
	s_or_b32 exec_lo, exec_lo, s24
	s_mov_b32 s23, 0
	s_branch .LBB19_499
.LBB19_494:
	s_mov_b32 s24, -1
                                        ; implicit-def: $vgpr1
	s_branch .LBB19_505
.LBB19_495:
	s_or_saveexec_b32 s24, s24
	v_mov_b32_e32 v1, 0x7f800001
	s_xor_b32 exec_lo, exec_lo, s24
	s_cbranch_execz .LBB19_478
.LBB19_496:
	v_cmp_ne_u16_e32 vcc_lo, 0, v3
	v_mov_b32_e32 v1, 0
	s_and_not1_b32 s23, s23, exec_lo
	s_and_b32 s25, vcc_lo, exec_lo
	s_delay_alu instid0(SALU_CYCLE_1)
	s_or_b32 s23, s23, s25
	s_or_b32 exec_lo, exec_lo, s24
	s_and_saveexec_b32 s24, s23
	s_cbranch_execnz .LBB19_479
	s_branch .LBB19_480
.LBB19_497:
	s_mov_b32 s23, -1
                                        ; implicit-def: $vgpr1
	s_branch .LBB19_502
.LBB19_498:
	s_mov_b32 s23, -1
                                        ; implicit-def: $vgpr1
.LBB19_499:
	s_delay_alu instid0(SALU_CYCLE_1)
	s_and_b32 vcc_lo, exec_lo, s23
	s_cbranch_vccz .LBB19_501
; %bb.500:
	s_wait_loadcnt 0x0
	global_load_u8 v1, v[4:5], off
	s_wait_loadcnt 0x0
	v_lshlrev_b32_e32 v1, 24, v1
	s_delay_alu instid0(VALU_DEP_1) | instskip(NEXT) | instid1(VALU_DEP_1)
	v_and_b32_e32 v3, 0x7f000000, v1
	v_clz_i32_u32_e32 v6, v3
	v_cmp_ne_u32_e32 vcc_lo, 0, v3
	v_add_nc_u32_e32 v8, 0x1000000, v3
	s_delay_alu instid0(VALU_DEP_3) | instskip(NEXT) | instid1(VALU_DEP_1)
	v_min_u32_e32 v6, 32, v6
	v_sub_nc_u32_e64 v6, v6, 4 clamp
	s_delay_alu instid0(VALU_DEP_1) | instskip(NEXT) | instid1(VALU_DEP_1)
	v_dual_lshlrev_b32 v7, v6, v3 :: v_dual_lshlrev_b32 v6, 23, v6
	v_lshrrev_b32_e32 v7, 4, v7
	s_delay_alu instid0(VALU_DEP_1) | instskip(NEXT) | instid1(VALU_DEP_1)
	v_dual_sub_nc_u32 v6, v7, v6 :: v_dual_ashrrev_i32 v7, 8, v8
	v_add_nc_u32_e32 v6, 0x3c000000, v6
	s_delay_alu instid0(VALU_DEP_1) | instskip(NEXT) | instid1(VALU_DEP_1)
	v_and_or_b32 v6, 0x7f800000, v7, v6
	v_cndmask_b32_e32 v3, 0, v6, vcc_lo
	s_delay_alu instid0(VALU_DEP_1)
	v_and_or_b32 v1, 0x80000000, v1, v3
.LBB19_501:
	s_mov_b32 s23, 0
.LBB19_502:
	s_delay_alu instid0(SALU_CYCLE_1)
	s_and_not1_b32 vcc_lo, exec_lo, s23
	s_cbranch_vccnz .LBB19_504
; %bb.503:
	s_wait_loadcnt 0x0
	global_load_u8 v1, v[4:5], off
	s_wait_loadcnt 0x0
	v_lshlrev_b32_e32 v3, 25, v1
	v_lshlrev_b16 v1, 8, v1
	s_delay_alu instid0(VALU_DEP_1) | instskip(SKIP_1) | instid1(VALU_DEP_2)
	v_and_or_b32 v7, 0x7f00, v1, 0.5
	v_bfe_i32 v1, v1, 0, 16
	v_add_f32_e32 v7, -0.5, v7
	v_lshrrev_b32_e32 v6, 4, v3
	v_cmp_gt_u32_e32 vcc_lo, 0x8000000, v3
	s_delay_alu instid0(VALU_DEP_2) | instskip(NEXT) | instid1(VALU_DEP_1)
	v_or_b32_e32 v6, 0x70000000, v6
	v_mul_f32_e32 v6, 0x7800000, v6
	s_delay_alu instid0(VALU_DEP_1) | instskip(NEXT) | instid1(VALU_DEP_1)
	v_cndmask_b32_e32 v3, v6, v7, vcc_lo
	v_and_or_b32 v1, 0x80000000, v1, v3
.LBB19_504:
	s_mov_b32 s24, 0
	s_mov_b32 s23, -1
.LBB19_505:
	s_and_not1_b32 vcc_lo, exec_lo, s24
	s_cbranch_vccnz .LBB19_518
; %bb.506:
	s_cmp_gt_i32 s0, 14
	s_cbranch_scc0 .LBB19_509
; %bb.507:
	s_cmp_eq_u32 s0, 15
	s_cbranch_scc0 .LBB19_512
; %bb.508:
	s_wait_loadcnt 0x0
	global_load_u16 v1, v[4:5], off
	s_mov_b32 s23, -1
	s_mov_b32 s22, 0
	s_wait_loadcnt 0x0
	v_lshlrev_b32_e32 v1, 16, v1
	s_branch .LBB19_513
.LBB19_509:
	s_mov_b32 s24, -1
                                        ; implicit-def: $vgpr1
	s_branch .LBB19_514
.LBB19_510:
	s_or_saveexec_b32 s24, s24
	v_mov_b32_e32 v1, 0x7f800001
	s_xor_b32 exec_lo, exec_lo, s24
	s_cbranch_execz .LBB19_491
.LBB19_511:
	v_cmp_ne_u16_e32 vcc_lo, 0, v3
	v_mov_b32_e32 v1, 0
	s_and_not1_b32 s23, s23, exec_lo
	s_and_b32 s25, vcc_lo, exec_lo
	s_delay_alu instid0(SALU_CYCLE_1)
	s_or_b32 s23, s23, s25
	s_or_b32 exec_lo, exec_lo, s24
	s_and_saveexec_b32 s24, s23
	s_cbranch_execnz .LBB19_492
	s_branch .LBB19_493
.LBB19_512:
	s_mov_b32 s22, -1
                                        ; implicit-def: $vgpr1
.LBB19_513:
	s_mov_b32 s24, 0
.LBB19_514:
	s_delay_alu instid0(SALU_CYCLE_1)
	s_and_b32 vcc_lo, exec_lo, s24
	s_cbranch_vccz .LBB19_518
; %bb.515:
	s_cmp_eq_u32 s0, 11
	s_cbranch_scc0 .LBB19_517
; %bb.516:
	s_wait_loadcnt 0x0
	global_load_u8 v1, v[4:5], off
	s_mov_b32 s22, 0
	s_mov_b32 s23, -1
	s_wait_loadcnt 0x0
	v_cmp_ne_u16_e32 vcc_lo, 0, v1
	v_cndmask_b32_e64 v1, 0, 1.0, vcc_lo
	s_branch .LBB19_518
.LBB19_517:
	s_mov_b32 s22, -1
                                        ; implicit-def: $vgpr1
.LBB19_518:
	s_branch .LBB19_308
.LBB19_519:
	s_cmp_lt_i32 s0, 5
	s_cbranch_scc1 .LBB19_524
; %bb.520:
	s_cmp_lt_i32 s0, 8
	s_cbranch_scc1 .LBB19_525
; %bb.521:
	;; [unrolled: 3-line block ×3, first 2 shown]
	s_cmp_gt_i32 s0, 9
	s_cbranch_scc0 .LBB19_527
; %bb.523:
	global_load_b64 v[6:7], v[4:5], off
	s_mov_b32 s23, 0
	s_wait_loadcnt 0x0
	v_cvt_f32_f64_e32 v1, v[6:7]
	s_branch .LBB19_528
.LBB19_524:
	s_mov_b32 s23, -1
                                        ; implicit-def: $vgpr1
	s_branch .LBB19_546
.LBB19_525:
	s_mov_b32 s23, -1
                                        ; implicit-def: $vgpr1
	s_branch .LBB19_534
.LBB19_526:
	s_mov_b32 s23, -1
                                        ; implicit-def: $vgpr1
	s_branch .LBB19_531
.LBB19_527:
	s_mov_b32 s23, -1
                                        ; implicit-def: $vgpr1
.LBB19_528:
	s_delay_alu instid0(SALU_CYCLE_1)
	s_and_not1_b32 vcc_lo, exec_lo, s23
	s_cbranch_vccnz .LBB19_530
; %bb.529:
	s_wait_loadcnt 0x0
	global_load_b32 v1, v[4:5], off
.LBB19_530:
	s_mov_b32 s23, 0
.LBB19_531:
	s_delay_alu instid0(SALU_CYCLE_1)
	s_and_not1_b32 vcc_lo, exec_lo, s23
	s_cbranch_vccnz .LBB19_533
; %bb.532:
	s_wait_loadcnt 0x0
	global_load_b32 v1, v[4:5], off
	s_wait_loadcnt 0x0
	v_cvt_f32_f16_e32 v1, v1
.LBB19_533:
	s_mov_b32 s23, 0
.LBB19_534:
	s_delay_alu instid0(SALU_CYCLE_1)
	s_and_not1_b32 vcc_lo, exec_lo, s23
	s_cbranch_vccnz .LBB19_545
; %bb.535:
	s_cmp_lt_i32 s0, 6
	s_cbranch_scc1 .LBB19_538
; %bb.536:
	s_cmp_gt_i32 s0, 6
	s_cbranch_scc0 .LBB19_539
; %bb.537:
	global_load_b64 v[6:7], v[4:5], off
	s_mov_b32 s23, 0
	s_wait_loadcnt 0x0
	v_cvt_f32_f64_e32 v1, v[6:7]
	s_branch .LBB19_540
.LBB19_538:
	s_mov_b32 s23, -1
                                        ; implicit-def: $vgpr1
	s_branch .LBB19_543
.LBB19_539:
	s_mov_b32 s23, -1
                                        ; implicit-def: $vgpr1
.LBB19_540:
	s_delay_alu instid0(SALU_CYCLE_1)
	s_and_not1_b32 vcc_lo, exec_lo, s23
	s_cbranch_vccnz .LBB19_542
; %bb.541:
	s_wait_loadcnt 0x0
	global_load_b32 v1, v[4:5], off
.LBB19_542:
	s_mov_b32 s23, 0
.LBB19_543:
	s_delay_alu instid0(SALU_CYCLE_1)
	s_and_not1_b32 vcc_lo, exec_lo, s23
	s_cbranch_vccnz .LBB19_545
; %bb.544:
	s_wait_loadcnt 0x0
	global_load_u16 v1, v[4:5], off
	s_wait_loadcnt 0x0
	v_cvt_f32_f16_e32 v1, v1
.LBB19_545:
	s_mov_b32 s23, 0
.LBB19_546:
	s_delay_alu instid0(SALU_CYCLE_1)
	s_and_not1_b32 vcc_lo, exec_lo, s23
	s_cbranch_vccnz .LBB19_566
; %bb.547:
	s_cmp_lt_i32 s0, 2
	s_cbranch_scc1 .LBB19_551
; %bb.548:
	s_cmp_lt_i32 s0, 3
	s_cbranch_scc1 .LBB19_552
; %bb.549:
	s_cmp_gt_i32 s0, 3
	s_cbranch_scc0 .LBB19_553
; %bb.550:
	global_load_b64 v[6:7], v[4:5], off
	s_mov_b32 s23, 0
	s_wait_loadcnt 0x0
	v_xor_b32_e32 v1, v6, v7
	v_cls_i32_e32 v3, v7
	s_delay_alu instid0(VALU_DEP_2) | instskip(NEXT) | instid1(VALU_DEP_1)
	v_ashrrev_i32_e32 v1, 31, v1
	v_add_nc_u32_e32 v1, 32, v1
	s_delay_alu instid0(VALU_DEP_1) | instskip(NEXT) | instid1(VALU_DEP_1)
	v_add_min_u32_e64 v1, v3, -1, v1
	v_lshlrev_b64_e32 v[6:7], v1, v[6:7]
	v_sub_nc_u32_e32 v1, 32, v1
	s_delay_alu instid0(VALU_DEP_2) | instskip(NEXT) | instid1(VALU_DEP_1)
	v_min_u32_e32 v3, 1, v6
	v_or_b32_e32 v3, v7, v3
	s_delay_alu instid0(VALU_DEP_1) | instskip(NEXT) | instid1(VALU_DEP_1)
	v_cvt_f32_i32_e32 v3, v3
	v_ldexp_f32 v1, v3, v1
	s_branch .LBB19_554
.LBB19_551:
	s_mov_b32 s23, -1
                                        ; implicit-def: $vgpr1
	s_branch .LBB19_560
.LBB19_552:
	s_mov_b32 s23, -1
                                        ; implicit-def: $vgpr1
	s_branch .LBB19_557
.LBB19_553:
	s_mov_b32 s23, -1
                                        ; implicit-def: $vgpr1
.LBB19_554:
	s_delay_alu instid0(SALU_CYCLE_1)
	s_and_not1_b32 vcc_lo, exec_lo, s23
	s_cbranch_vccnz .LBB19_556
; %bb.555:
	s_wait_loadcnt 0x0
	global_load_b32 v1, v[4:5], off
	s_wait_loadcnt 0x0
	v_cvt_f32_i32_e32 v1, v1
.LBB19_556:
	s_mov_b32 s23, 0
.LBB19_557:
	s_delay_alu instid0(SALU_CYCLE_1)
	s_and_not1_b32 vcc_lo, exec_lo, s23
	s_cbranch_vccnz .LBB19_559
; %bb.558:
	s_wait_loadcnt 0x0
	global_load_i16 v1, v[4:5], off
	s_wait_loadcnt 0x0
	v_cvt_f32_i32_e32 v1, v1
.LBB19_559:
	s_mov_b32 s23, 0
.LBB19_560:
	s_delay_alu instid0(SALU_CYCLE_1)
	s_and_not1_b32 vcc_lo, exec_lo, s23
	s_cbranch_vccnz .LBB19_566
; %bb.561:
	s_cmp_gt_i32 s0, 0
	s_mov_b32 s0, 0
	s_cbranch_scc0 .LBB19_563
; %bb.562:
	s_wait_loadcnt 0x0
	global_load_i8 v1, v[4:5], off
	s_wait_loadcnt 0x0
	v_cvt_f32_i32_e32 v1, v1
	s_branch .LBB19_564
.LBB19_563:
	s_mov_b32 s0, -1
                                        ; implicit-def: $vgpr1
.LBB19_564:
	s_delay_alu instid0(SALU_CYCLE_1)
	s_and_not1_b32 vcc_lo, exec_lo, s0
	s_cbranch_vccnz .LBB19_566
; %bb.565:
	s_wait_loadcnt 0x0
	global_load_u8 v1, v[4:5], off
	s_wait_loadcnt 0x0
	v_cvt_f32_ubyte0_e32 v1, v1
.LBB19_566:
	s_branch .LBB19_309
.LBB19_567:
	s_mov_b32 s23, 0
	s_mov_b32 s0, s39
.LBB19_568:
                                        ; implicit-def: $vgpr0
.LBB19_569:
	s_and_not1_b32 s24, s39, exec_lo
	s_and_b32 s0, s0, exec_lo
	s_and_not1_b32 s25, s40, exec_lo
	s_and_b32 s22, s22, exec_lo
	s_or_b32 s43, s24, s0
	s_or_b32 s42, s25, s22
	s_or_not1_b32 s0, s23, exec_lo
.LBB19_570:
	s_wait_xcnt 0x0
	s_or_b32 exec_lo, exec_lo, s44
	s_mov_b32 s22, 0
	s_mov_b32 s23, 0
	;; [unrolled: 1-line block ×3, first 2 shown]
                                        ; implicit-def: $vgpr4_vgpr5
                                        ; implicit-def: $vgpr2
                                        ; implicit-def: $vgpr1
	s_and_saveexec_b32 s44, s0
	s_cbranch_execz .LBB19_963
; %bb.571:
	s_mov_b32 s25, -1
	s_mov_b32 s0, s42
	s_mov_b32 s26, s43
	s_mov_b32 s45, exec_lo
	v_cmpx_gt_i32_e64 s36, v0
	s_cbranch_execz .LBB19_860
; %bb.572:
	s_and_not1_b32 vcc_lo, exec_lo, s31
	s_cbranch_vccnz .LBB19_578
; %bb.573:
	s_and_not1_b32 vcc_lo, exec_lo, s38
	s_cbranch_vccnz .LBB19_579
; %bb.574:
	s_add_co_i32 s0, s37, 1
	s_cmp_eq_u32 s29, 2
	s_cbranch_scc1 .LBB19_580
; %bb.575:
	v_dual_mov_b32 v2, 0 :: v_dual_mov_b32 v4, 0
	s_wait_loadcnt 0x0
	v_mov_b32_e32 v1, v0
	s_and_b32 s22, s0, 28
	s_mov_b64 s[24:25], s[2:3]
	s_mov_b64 s[26:27], s[20:21]
.LBB19_576:                             ; =>This Inner Loop Header: Depth=1
	s_clause 0x1
	s_load_b256 s[48:55], s[24:25], 0x4
	s_load_b128 s[64:67], s[24:25], 0x24
	s_load_b256 s[56:63], s[26:27], 0x0
	s_add_co_i32 s23, s23, 4
	s_wait_xcnt 0x0
	s_add_nc_u64 s[24:25], s[24:25], 48
	s_cmp_eq_u32 s22, s23
	s_add_nc_u64 s[26:27], s[26:27], 32
	s_wait_kmcnt 0x0
	v_mul_hi_u32 v3, s49, v1
	s_delay_alu instid0(VALU_DEP_1) | instskip(NEXT) | instid1(VALU_DEP_1)
	v_add_nc_u32_e32 v3, v1, v3
	v_lshrrev_b32_e32 v3, s50, v3
	s_delay_alu instid0(VALU_DEP_1) | instskip(NEXT) | instid1(VALU_DEP_1)
	v_mul_hi_u32 v5, s52, v3
	v_add_nc_u32_e32 v5, v3, v5
	s_delay_alu instid0(VALU_DEP_1) | instskip(NEXT) | instid1(VALU_DEP_1)
	v_lshrrev_b32_e32 v5, s53, v5
	v_mul_hi_u32 v6, s55, v5
	s_delay_alu instid0(VALU_DEP_1) | instskip(SKIP_1) | instid1(VALU_DEP_1)
	v_add_nc_u32_e32 v6, v5, v6
	v_mul_lo_u32 v7, v3, s48
	v_sub_nc_u32_e32 v1, v1, v7
	v_mul_lo_u32 v7, v5, s51
	s_delay_alu instid0(VALU_DEP_4) | instskip(NEXT) | instid1(VALU_DEP_3)
	v_lshrrev_b32_e32 v6, s64, v6
	v_mad_u32 v4, v1, s57, v4
	v_mad_u32 v1, v1, s56, v2
	s_delay_alu instid0(VALU_DEP_4) | instskip(NEXT) | instid1(VALU_DEP_4)
	v_sub_nc_u32_e32 v2, v3, v7
	v_mul_hi_u32 v8, s66, v6
	v_mul_lo_u32 v3, v6, s54
	s_delay_alu instid0(VALU_DEP_3) | instskip(SKIP_1) | instid1(VALU_DEP_3)
	v_mad_u32 v4, v2, s59, v4
	v_mad_u32 v2, v2, s58, v1
	v_dual_add_nc_u32 v7, v6, v8 :: v_dual_sub_nc_u32 v3, v5, v3
	s_delay_alu instid0(VALU_DEP_1) | instskip(NEXT) | instid1(VALU_DEP_2)
	v_lshrrev_b32_e32 v1, s67, v7
	v_mad_u32 v4, v3, s61, v4
	s_delay_alu instid0(VALU_DEP_4) | instskip(NEXT) | instid1(VALU_DEP_3)
	v_mad_u32 v2, v3, s60, v2
	v_mul_lo_u32 v5, v1, s65
	s_delay_alu instid0(VALU_DEP_1) | instskip(NEXT) | instid1(VALU_DEP_1)
	v_sub_nc_u32_e32 v3, v6, v5
	v_mad_u32 v4, v3, s63, v4
	s_delay_alu instid0(VALU_DEP_4)
	v_mad_u32 v2, v3, s62, v2
	s_cbranch_scc0 .LBB19_576
; %bb.577:
	s_delay_alu instid0(VALU_DEP_2)
	v_mov_b32_e32 v3, v4
	s_branch .LBB19_581
.LBB19_578:
	s_mov_b32 s0, -1
                                        ; implicit-def: $vgpr4
                                        ; implicit-def: $vgpr2
	s_branch .LBB19_586
.LBB19_579:
	v_dual_mov_b32 v4, 0 :: v_dual_mov_b32 v2, 0
	s_branch .LBB19_585
.LBB19_580:
	v_mov_b64_e32 v[2:3], 0
	s_wait_loadcnt 0x0
	v_mov_b32_e32 v1, v0
                                        ; implicit-def: $vgpr4
.LBB19_581:
	s_and_b32 s0, s0, 3
	s_mov_b32 s23, 0
	s_cmp_eq_u32 s0, 0
	s_cbranch_scc1 .LBB19_585
; %bb.582:
	s_lshl_b32 s24, s22, 3
	s_mov_b32 s25, s23
	s_mul_u64 s[26:27], s[22:23], 12
	s_add_nc_u64 s[24:25], s[2:3], s[24:25]
	s_delay_alu instid0(SALU_CYCLE_1)
	s_add_nc_u64 s[22:23], s[24:25], 0xc4
	s_add_nc_u64 s[24:25], s[2:3], s[26:27]
.LBB19_583:                             ; =>This Inner Loop Header: Depth=1
	s_load_b96 s[48:50], s[24:25], 0x4
	s_load_b64 s[26:27], s[22:23], 0x0
	s_add_co_i32 s0, s0, -1
	s_wait_xcnt 0x0
	s_add_nc_u64 s[24:25], s[24:25], 12
	s_cmp_lg_u32 s0, 0
	s_add_nc_u64 s[22:23], s[22:23], 8
	s_wait_kmcnt 0x0
	v_mul_hi_u32 v4, s49, v1
	s_delay_alu instid0(VALU_DEP_1) | instskip(NEXT) | instid1(VALU_DEP_1)
	v_add_nc_u32_e32 v4, v1, v4
	v_lshrrev_b32_e32 v4, s50, v4
	s_delay_alu instid0(VALU_DEP_1) | instskip(NEXT) | instid1(VALU_DEP_1)
	v_mul_lo_u32 v5, v4, s48
	v_sub_nc_u32_e32 v1, v1, v5
	s_delay_alu instid0(VALU_DEP_1)
	v_mad_u32 v3, v1, s27, v3
	v_mad_u32 v2, v1, s26, v2
	v_mov_b32_e32 v1, v4
	s_cbranch_scc1 .LBB19_583
; %bb.584:
	s_delay_alu instid0(VALU_DEP_3)
	v_mov_b32_e32 v4, v3
.LBB19_585:
	s_mov_b32 s0, 0
.LBB19_586:
	s_delay_alu instid0(SALU_CYCLE_1)
	s_and_not1_b32 vcc_lo, exec_lo, s0
	s_cbranch_vccnz .LBB19_589
; %bb.587:
	s_wait_loadcnt 0x0
	v_mov_b32_e32 v1, 0
	s_and_not1_b32 vcc_lo, exec_lo, s35
	s_delay_alu instid0(VALU_DEP_1) | instskip(NEXT) | instid1(VALU_DEP_1)
	v_mul_u64_e32 v[2:3], s[16:17], v[0:1]
	v_add_nc_u32_e32 v2, v0, v3
	s_delay_alu instid0(VALU_DEP_1) | instskip(NEXT) | instid1(VALU_DEP_1)
	v_lshrrev_b32_e32 v6, s14, v2
	v_mul_lo_u32 v2, v6, s12
	s_delay_alu instid0(VALU_DEP_1) | instskip(NEXT) | instid1(VALU_DEP_1)
	v_sub_nc_u32_e32 v2, v0, v2
	v_mul_lo_u32 v4, v2, s9
	v_mul_lo_u32 v2, v2, s8
	s_cbranch_vccnz .LBB19_589
; %bb.588:
	v_mov_b32_e32 v7, v1
	s_delay_alu instid0(VALU_DEP_1) | instskip(NEXT) | instid1(VALU_DEP_1)
	v_mul_u64_e32 v[8:9], s[18:19], v[6:7]
	v_add_nc_u32_e32 v1, v6, v9
	s_delay_alu instid0(VALU_DEP_1) | instskip(NEXT) | instid1(VALU_DEP_1)
	v_lshrrev_b32_e32 v1, s1, v1
	v_mul_lo_u32 v1, v1, s15
	s_delay_alu instid0(VALU_DEP_1) | instskip(NEXT) | instid1(VALU_DEP_1)
	v_sub_nc_u32_e32 v1, v6, v1
	v_mad_u32 v2, v1, s10, v2
	v_mad_u32 v4, v1, s11, v4
.LBB19_589:
	v_mov_b32_e32 v5, 0
	s_and_b32 s0, 0xffff, s13
	s_delay_alu instid0(SALU_CYCLE_1) | instskip(NEXT) | instid1(VALU_DEP_1)
	s_cmp_lt_i32 s0, 11
	v_add_nc_u64_e32 v[4:5], s[6:7], v[4:5]
	s_cbranch_scc1 .LBB19_596
; %bb.590:
	s_cmp_gt_i32 s0, 25
	s_cbranch_scc0 .LBB19_597
; %bb.591:
	s_cmp_gt_i32 s0, 28
	s_cbranch_scc0 .LBB19_598
	;; [unrolled: 3-line block ×4, first 2 shown]
; %bb.594:
	s_cmp_eq_u32 s0, 46
	s_mov_b32 s24, 0
	s_cbranch_scc0 .LBB19_605
; %bb.595:
	s_wait_loadcnt 0x0
	global_load_b32 v1, v[4:5], off
	s_mov_b32 s23, -1
	s_mov_b32 s22, 0
	s_wait_loadcnt 0x0
	v_lshlrev_b32_e32 v1, 16, v1
	s_branch .LBB19_607
.LBB19_596:
	s_mov_b32 s24, -1
	s_mov_b32 s23, 0
	s_mov_b32 s22, s42
                                        ; implicit-def: $vgpr1
	s_branch .LBB19_672
.LBB19_597:
	s_mov_b32 s24, -1
	s_mov_b32 s23, 0
	s_mov_b32 s22, s42
                                        ; implicit-def: $vgpr1
	s_branch .LBB19_636
.LBB19_598:
	s_mov_b32 s24, -1
	s_mov_b32 s23, 0
	s_mov_b32 s22, s42
                                        ; implicit-def: $vgpr1
	s_branch .LBB19_617
.LBB19_599:
	s_mov_b32 s24, -1
	s_mov_b32 s23, 0
	s_mov_b32 s22, s42
                                        ; implicit-def: $vgpr1
	s_branch .LBB19_612
.LBB19_600:
	s_and_not1_saveexec_b32 s27, s27
	s_cbranch_execz .LBB19_367
.LBB19_601:
	v_add_f32_e64 v1, 0x46000000, |v4|
	s_and_not1_b32 s26, s26, exec_lo
	s_delay_alu instid0(VALU_DEP_1) | instskip(NEXT) | instid1(VALU_DEP_1)
	v_and_b32_e32 v1, 0xff, v1
	v_cmp_ne_u32_e32 vcc_lo, 0, v1
	s_and_b32 s42, vcc_lo, exec_lo
	s_delay_alu instid0(SALU_CYCLE_1)
	s_or_b32 s26, s26, s42
	s_or_b32 exec_lo, exec_lo, s27
	v_mov_b32_e32 v5, 0
	s_and_saveexec_b32 s27, s26
	s_cbranch_execnz .LBB19_368
	s_branch .LBB19_369
.LBB19_602:
	s_mov_b32 s24, -1
	s_mov_b32 s23, 0
	s_mov_b32 s22, s42
	s_branch .LBB19_606
.LBB19_603:
	s_and_not1_saveexec_b32 s27, s27
	s_cbranch_execz .LBB19_380
.LBB19_604:
	v_add_f32_e64 v1, 0x42800000, |v4|
	s_and_not1_b32 s26, s26, exec_lo
	s_delay_alu instid0(VALU_DEP_1) | instskip(NEXT) | instid1(VALU_DEP_1)
	v_and_b32_e32 v1, 0xff, v1
	v_cmp_ne_u32_e32 vcc_lo, 0, v1
	s_and_b32 s42, vcc_lo, exec_lo
	s_delay_alu instid0(SALU_CYCLE_1)
	s_or_b32 s26, s26, s42
	s_or_b32 exec_lo, exec_lo, s27
	v_mov_b32_e32 v5, 0
	s_and_saveexec_b32 s27, s26
	s_cbranch_execnz .LBB19_381
	s_branch .LBB19_382
.LBB19_605:
	s_mov_b32 s22, -1
	s_mov_b32 s23, 0
.LBB19_606:
                                        ; implicit-def: $vgpr1
.LBB19_607:
	s_and_b32 vcc_lo, exec_lo, s24
	s_cbranch_vccz .LBB19_611
; %bb.608:
	s_cmp_eq_u32 s0, 44
	s_cbranch_scc0 .LBB19_610
; %bb.609:
	s_wait_loadcnt 0x0
	global_load_u8 v1, v[4:5], off
	s_mov_b32 s22, 0
	s_mov_b32 s23, -1
	s_wait_loadcnt 0x0
	v_lshlrev_b32_e32 v3, 23, v1
	v_cmp_ne_u32_e32 vcc_lo, 0xff, v1
	s_delay_alu instid0(VALU_DEP_2) | instskip(SKIP_1) | instid1(VALU_DEP_2)
	v_cndmask_b32_e32 v3, 0x7f800001, v3, vcc_lo
	v_cmp_ne_u32_e32 vcc_lo, 0, v1
	v_cndmask_b32_e32 v1, 0x400000, v3, vcc_lo
	s_branch .LBB19_611
.LBB19_610:
	s_mov_b32 s22, -1
                                        ; implicit-def: $vgpr1
.LBB19_611:
	s_mov_b32 s24, 0
.LBB19_612:
	s_delay_alu instid0(SALU_CYCLE_1)
	s_and_b32 vcc_lo, exec_lo, s24
	s_cbranch_vccz .LBB19_616
; %bb.613:
	s_cmp_eq_u32 s0, 29
	s_cbranch_scc0 .LBB19_615
; %bb.614:
	global_load_b64 v[6:7], v[4:5], off
	s_mov_b32 s23, -1
	s_mov_b32 s22, 0
	s_mov_b32 s24, 0
	s_wait_loadcnt 0x0
	v_clz_i32_u32_e32 v1, v7
	s_delay_alu instid0(VALU_DEP_1) | instskip(NEXT) | instid1(VALU_DEP_1)
	v_min_u32_e32 v1, 32, v1
	v_lshlrev_b64_e32 v[6:7], v1, v[6:7]
	v_sub_nc_u32_e32 v1, 32, v1
	s_delay_alu instid0(VALU_DEP_2) | instskip(NEXT) | instid1(VALU_DEP_1)
	v_min_u32_e32 v3, 1, v6
	v_or_b32_e32 v3, v7, v3
	s_delay_alu instid0(VALU_DEP_1) | instskip(NEXT) | instid1(VALU_DEP_1)
	v_cvt_f32_u32_e32 v3, v3
	v_ldexp_f32 v1, v3, v1
	s_branch .LBB19_617
.LBB19_615:
	s_mov_b32 s22, -1
                                        ; implicit-def: $vgpr1
.LBB19_616:
	s_mov_b32 s24, 0
.LBB19_617:
	s_delay_alu instid0(SALU_CYCLE_1)
	s_and_b32 vcc_lo, exec_lo, s24
	s_cbranch_vccz .LBB19_635
; %bb.618:
	s_cmp_lt_i32 s0, 27
	s_cbranch_scc1 .LBB19_621
; %bb.619:
	s_cmp_gt_i32 s0, 27
	s_cbranch_scc0 .LBB19_622
; %bb.620:
	s_wait_loadcnt 0x0
	global_load_b32 v1, v[4:5], off
	s_mov_b32 s23, 0
	s_wait_loadcnt 0x0
	v_cvt_f32_u32_e32 v1, v1
	s_branch .LBB19_623
.LBB19_621:
	s_mov_b32 s23, -1
                                        ; implicit-def: $vgpr1
	s_branch .LBB19_626
.LBB19_622:
	s_mov_b32 s23, -1
                                        ; implicit-def: $vgpr1
.LBB19_623:
	s_delay_alu instid0(SALU_CYCLE_1)
	s_and_not1_b32 vcc_lo, exec_lo, s23
	s_cbranch_vccnz .LBB19_625
; %bb.624:
	s_wait_loadcnt 0x0
	global_load_u16 v1, v[4:5], off
	s_wait_loadcnt 0x0
	v_cvt_f32_u32_e32 v1, v1
.LBB19_625:
	s_mov_b32 s23, 0
.LBB19_626:
	s_delay_alu instid0(SALU_CYCLE_1)
	s_and_not1_b32 vcc_lo, exec_lo, s23
	s_cbranch_vccnz .LBB19_634
; %bb.627:
	global_load_u8 v3, v[4:5], off
	s_mov_b32 s23, 0
	s_mov_b32 s24, exec_lo
	s_wait_loadcnt 0x0
	v_cmpx_lt_i16_e32 0x7f, v3
	s_xor_b32 s24, exec_lo, s24
	s_cbranch_execz .LBB19_648
; %bb.628:
	s_mov_b32 s23, -1
	s_mov_b32 s25, exec_lo
	v_cmpx_eq_u16_e32 0x80, v3
; %bb.629:
	s_xor_b32 s23, exec_lo, -1
; %bb.630:
	s_or_b32 exec_lo, exec_lo, s25
	s_delay_alu instid0(SALU_CYCLE_1)
	s_and_b32 s23, s23, exec_lo
	s_or_saveexec_b32 s24, s24
	v_mov_b32_e32 v1, 0x7f800001
	s_xor_b32 exec_lo, exec_lo, s24
	s_cbranch_execnz .LBB19_649
.LBB19_631:
	s_or_b32 exec_lo, exec_lo, s24
	s_and_saveexec_b32 s24, s23
	s_cbranch_execz .LBB19_633
.LBB19_632:
	v_and_b32_e32 v1, 0xffff, v3
	s_delay_alu instid0(VALU_DEP_1) | instskip(SKIP_1) | instid1(VALU_DEP_2)
	v_and_b32_e32 v6, 7, v1
	v_bfe_u32 v9, v1, 3, 4
	v_clz_i32_u32_e32 v7, v6
	s_delay_alu instid0(VALU_DEP_2) | instskip(NEXT) | instid1(VALU_DEP_2)
	v_cmp_eq_u32_e32 vcc_lo, 0, v9
	v_min_u32_e32 v7, 32, v7
	s_delay_alu instid0(VALU_DEP_1) | instskip(NEXT) | instid1(VALU_DEP_1)
	v_subrev_nc_u32_e32 v8, 28, v7
	v_dual_lshlrev_b32 v1, v8, v1 :: v_dual_sub_nc_u32 v7, 29, v7
	s_delay_alu instid0(VALU_DEP_1) | instskip(NEXT) | instid1(VALU_DEP_1)
	v_dual_lshlrev_b32 v3, 24, v3 :: v_dual_bitop2_b32 v1, 7, v1 bitop3:0x40
	v_dual_cndmask_b32 v1, v6, v1, vcc_lo :: v_dual_cndmask_b32 v7, v9, v7, vcc_lo
	s_delay_alu instid0(VALU_DEP_2) | instskip(NEXT) | instid1(VALU_DEP_2)
	v_and_b32_e32 v3, 0x80000000, v3
	v_lshlrev_b32_e32 v1, 20, v1
	s_delay_alu instid0(VALU_DEP_3) | instskip(NEXT) | instid1(VALU_DEP_1)
	v_lshl_add_u32 v6, v7, 23, 0x3b800000
	v_or3_b32 v1, v3, v6, v1
.LBB19_633:
	s_or_b32 exec_lo, exec_lo, s24
.LBB19_634:
	s_mov_b32 s23, -1
.LBB19_635:
	s_mov_b32 s24, 0
.LBB19_636:
	s_delay_alu instid0(SALU_CYCLE_1)
	s_and_b32 vcc_lo, exec_lo, s24
	s_cbranch_vccz .LBB19_671
; %bb.637:
	s_cmp_gt_i32 s0, 22
	s_cbranch_scc0 .LBB19_647
; %bb.638:
	s_cmp_lt_i32 s0, 24
	s_cbranch_scc1 .LBB19_650
; %bb.639:
	s_cmp_gt_i32 s0, 24
	s_cbranch_scc0 .LBB19_651
; %bb.640:
	global_load_u8 v3, v[4:5], off
	s_mov_b32 s23, 0
	s_mov_b32 s24, exec_lo
	s_wait_loadcnt 0x0
	v_cmpx_lt_i16_e32 0x7f, v3
	s_xor_b32 s24, exec_lo, s24
	s_cbranch_execz .LBB19_663
; %bb.641:
	s_mov_b32 s23, -1
	s_mov_b32 s25, exec_lo
	v_cmpx_eq_u16_e32 0x80, v3
; %bb.642:
	s_xor_b32 s23, exec_lo, -1
; %bb.643:
	s_or_b32 exec_lo, exec_lo, s25
	s_delay_alu instid0(SALU_CYCLE_1)
	s_and_b32 s23, s23, exec_lo
	s_or_saveexec_b32 s24, s24
	v_mov_b32_e32 v1, 0x7f800001
	s_xor_b32 exec_lo, exec_lo, s24
	s_cbranch_execnz .LBB19_664
.LBB19_644:
	s_or_b32 exec_lo, exec_lo, s24
	s_and_saveexec_b32 s24, s23
	s_cbranch_execz .LBB19_646
.LBB19_645:
	v_and_b32_e32 v1, 0xffff, v3
	s_delay_alu instid0(VALU_DEP_1) | instskip(SKIP_1) | instid1(VALU_DEP_2)
	v_and_b32_e32 v6, 3, v1
	v_bfe_u32 v9, v1, 2, 5
	v_clz_i32_u32_e32 v7, v6
	s_delay_alu instid0(VALU_DEP_2) | instskip(NEXT) | instid1(VALU_DEP_2)
	v_cmp_eq_u32_e32 vcc_lo, 0, v9
	v_min_u32_e32 v7, 32, v7
	s_delay_alu instid0(VALU_DEP_1) | instskip(NEXT) | instid1(VALU_DEP_1)
	v_subrev_nc_u32_e32 v8, 29, v7
	v_dual_lshlrev_b32 v1, v8, v1 :: v_dual_sub_nc_u32 v7, 30, v7
	s_delay_alu instid0(VALU_DEP_1) | instskip(NEXT) | instid1(VALU_DEP_1)
	v_dual_lshlrev_b32 v3, 24, v3 :: v_dual_bitop2_b32 v1, 3, v1 bitop3:0x40
	v_dual_cndmask_b32 v1, v6, v1, vcc_lo :: v_dual_cndmask_b32 v7, v9, v7, vcc_lo
	s_delay_alu instid0(VALU_DEP_2) | instskip(NEXT) | instid1(VALU_DEP_2)
	v_and_b32_e32 v3, 0x80000000, v3
	v_lshlrev_b32_e32 v1, 21, v1
	s_delay_alu instid0(VALU_DEP_3) | instskip(NEXT) | instid1(VALU_DEP_1)
	v_lshl_add_u32 v6, v7, 23, 0x37800000
	v_or3_b32 v1, v3, v6, v1
.LBB19_646:
	s_or_b32 exec_lo, exec_lo, s24
	s_mov_b32 s23, 0
	s_branch .LBB19_652
.LBB19_647:
	s_mov_b32 s24, -1
                                        ; implicit-def: $vgpr1
	s_branch .LBB19_658
.LBB19_648:
	s_or_saveexec_b32 s24, s24
	v_mov_b32_e32 v1, 0x7f800001
	s_xor_b32 exec_lo, exec_lo, s24
	s_cbranch_execz .LBB19_631
.LBB19_649:
	v_cmp_ne_u16_e32 vcc_lo, 0, v3
	v_mov_b32_e32 v1, 0
	s_and_not1_b32 s23, s23, exec_lo
	s_and_b32 s25, vcc_lo, exec_lo
	s_delay_alu instid0(SALU_CYCLE_1)
	s_or_b32 s23, s23, s25
	s_or_b32 exec_lo, exec_lo, s24
	s_and_saveexec_b32 s24, s23
	s_cbranch_execnz .LBB19_632
	s_branch .LBB19_633
.LBB19_650:
	s_mov_b32 s23, -1
                                        ; implicit-def: $vgpr1
	s_branch .LBB19_655
.LBB19_651:
	s_mov_b32 s23, -1
                                        ; implicit-def: $vgpr1
.LBB19_652:
	s_delay_alu instid0(SALU_CYCLE_1)
	s_and_b32 vcc_lo, exec_lo, s23
	s_cbranch_vccz .LBB19_654
; %bb.653:
	s_wait_loadcnt 0x0
	global_load_u8 v1, v[4:5], off
	s_wait_loadcnt 0x0
	v_lshlrev_b32_e32 v1, 24, v1
	s_delay_alu instid0(VALU_DEP_1) | instskip(NEXT) | instid1(VALU_DEP_1)
	v_and_b32_e32 v3, 0x7f000000, v1
	v_clz_i32_u32_e32 v6, v3
	v_cmp_ne_u32_e32 vcc_lo, 0, v3
	v_add_nc_u32_e32 v8, 0x1000000, v3
	s_delay_alu instid0(VALU_DEP_3) | instskip(NEXT) | instid1(VALU_DEP_1)
	v_min_u32_e32 v6, 32, v6
	v_sub_nc_u32_e64 v6, v6, 4 clamp
	s_delay_alu instid0(VALU_DEP_1) | instskip(NEXT) | instid1(VALU_DEP_1)
	v_dual_lshlrev_b32 v7, v6, v3 :: v_dual_lshlrev_b32 v6, 23, v6
	v_lshrrev_b32_e32 v7, 4, v7
	s_delay_alu instid0(VALU_DEP_1) | instskip(NEXT) | instid1(VALU_DEP_1)
	v_dual_sub_nc_u32 v6, v7, v6 :: v_dual_ashrrev_i32 v7, 8, v8
	v_add_nc_u32_e32 v6, 0x3c000000, v6
	s_delay_alu instid0(VALU_DEP_1) | instskip(NEXT) | instid1(VALU_DEP_1)
	v_and_or_b32 v6, 0x7f800000, v7, v6
	v_cndmask_b32_e32 v3, 0, v6, vcc_lo
	s_delay_alu instid0(VALU_DEP_1)
	v_and_or_b32 v1, 0x80000000, v1, v3
.LBB19_654:
	s_mov_b32 s23, 0
.LBB19_655:
	s_delay_alu instid0(SALU_CYCLE_1)
	s_and_not1_b32 vcc_lo, exec_lo, s23
	s_cbranch_vccnz .LBB19_657
; %bb.656:
	s_wait_loadcnt 0x0
	global_load_u8 v1, v[4:5], off
	s_wait_loadcnt 0x0
	v_lshlrev_b32_e32 v3, 25, v1
	v_lshlrev_b16 v1, 8, v1
	s_delay_alu instid0(VALU_DEP_1) | instskip(SKIP_1) | instid1(VALU_DEP_2)
	v_and_or_b32 v7, 0x7f00, v1, 0.5
	v_bfe_i32 v1, v1, 0, 16
	v_add_f32_e32 v7, -0.5, v7
	v_lshrrev_b32_e32 v6, 4, v3
	v_cmp_gt_u32_e32 vcc_lo, 0x8000000, v3
	s_delay_alu instid0(VALU_DEP_2) | instskip(NEXT) | instid1(VALU_DEP_1)
	v_or_b32_e32 v6, 0x70000000, v6
	v_mul_f32_e32 v6, 0x7800000, v6
	s_delay_alu instid0(VALU_DEP_1) | instskip(NEXT) | instid1(VALU_DEP_1)
	v_cndmask_b32_e32 v3, v6, v7, vcc_lo
	v_and_or_b32 v1, 0x80000000, v1, v3
.LBB19_657:
	s_mov_b32 s24, 0
	s_mov_b32 s23, -1
.LBB19_658:
	s_and_not1_b32 vcc_lo, exec_lo, s24
	s_cbranch_vccnz .LBB19_671
; %bb.659:
	s_cmp_gt_i32 s0, 14
	s_cbranch_scc0 .LBB19_662
; %bb.660:
	s_cmp_eq_u32 s0, 15
	s_cbranch_scc0 .LBB19_665
; %bb.661:
	s_wait_loadcnt 0x0
	global_load_u16 v1, v[4:5], off
	s_mov_b32 s23, -1
	s_mov_b32 s22, 0
	s_wait_loadcnt 0x0
	v_lshlrev_b32_e32 v1, 16, v1
	s_branch .LBB19_666
.LBB19_662:
	s_mov_b32 s24, -1
                                        ; implicit-def: $vgpr1
	s_branch .LBB19_667
.LBB19_663:
	s_or_saveexec_b32 s24, s24
	v_mov_b32_e32 v1, 0x7f800001
	s_xor_b32 exec_lo, exec_lo, s24
	s_cbranch_execz .LBB19_644
.LBB19_664:
	v_cmp_ne_u16_e32 vcc_lo, 0, v3
	v_mov_b32_e32 v1, 0
	s_and_not1_b32 s23, s23, exec_lo
	s_and_b32 s25, vcc_lo, exec_lo
	s_delay_alu instid0(SALU_CYCLE_1)
	s_or_b32 s23, s23, s25
	s_or_b32 exec_lo, exec_lo, s24
	s_and_saveexec_b32 s24, s23
	s_cbranch_execnz .LBB19_645
	s_branch .LBB19_646
.LBB19_665:
	s_mov_b32 s22, -1
                                        ; implicit-def: $vgpr1
.LBB19_666:
	s_mov_b32 s24, 0
.LBB19_667:
	s_delay_alu instid0(SALU_CYCLE_1)
	s_and_b32 vcc_lo, exec_lo, s24
	s_cbranch_vccz .LBB19_671
; %bb.668:
	s_cmp_eq_u32 s0, 11
	s_cbranch_scc0 .LBB19_670
; %bb.669:
	s_wait_loadcnt 0x0
	global_load_u8 v1, v[4:5], off
	s_mov_b32 s22, 0
	s_mov_b32 s23, -1
	s_wait_loadcnt 0x0
	v_cmp_ne_u16_e32 vcc_lo, 0, v1
	v_cndmask_b32_e64 v1, 0, 1.0, vcc_lo
	s_branch .LBB19_671
.LBB19_670:
	s_mov_b32 s22, -1
                                        ; implicit-def: $vgpr1
.LBB19_671:
	s_mov_b32 s24, 0
.LBB19_672:
	s_delay_alu instid0(SALU_CYCLE_1)
	s_and_b32 vcc_lo, exec_lo, s24
	s_cbranch_vccz .LBB19_721
; %bb.673:
	s_cmp_lt_i32 s0, 5
	s_cbranch_scc1 .LBB19_678
; %bb.674:
	s_cmp_lt_i32 s0, 8
	s_cbranch_scc1 .LBB19_679
	;; [unrolled: 3-line block ×3, first 2 shown]
; %bb.676:
	s_cmp_gt_i32 s0, 9
	s_cbranch_scc0 .LBB19_681
; %bb.677:
	global_load_b64 v[6:7], v[4:5], off
	s_mov_b32 s23, 0
	s_wait_loadcnt 0x0
	v_cvt_f32_f64_e32 v1, v[6:7]
	s_branch .LBB19_682
.LBB19_678:
	s_mov_b32 s23, -1
                                        ; implicit-def: $vgpr1
	s_branch .LBB19_700
.LBB19_679:
	s_mov_b32 s23, -1
                                        ; implicit-def: $vgpr1
	s_branch .LBB19_688
.LBB19_680:
	s_mov_b32 s23, -1
                                        ; implicit-def: $vgpr1
	s_branch .LBB19_685
.LBB19_681:
	s_mov_b32 s23, -1
                                        ; implicit-def: $vgpr1
.LBB19_682:
	s_delay_alu instid0(SALU_CYCLE_1)
	s_and_not1_b32 vcc_lo, exec_lo, s23
	s_cbranch_vccnz .LBB19_684
; %bb.683:
	s_wait_loadcnt 0x0
	global_load_b32 v1, v[4:5], off
.LBB19_684:
	s_mov_b32 s23, 0
.LBB19_685:
	s_delay_alu instid0(SALU_CYCLE_1)
	s_and_not1_b32 vcc_lo, exec_lo, s23
	s_cbranch_vccnz .LBB19_687
; %bb.686:
	s_wait_loadcnt 0x0
	global_load_b32 v1, v[4:5], off
	s_wait_loadcnt 0x0
	v_cvt_f32_f16_e32 v1, v1
.LBB19_687:
	s_mov_b32 s23, 0
.LBB19_688:
	s_delay_alu instid0(SALU_CYCLE_1)
	s_and_not1_b32 vcc_lo, exec_lo, s23
	s_cbranch_vccnz .LBB19_699
; %bb.689:
	s_cmp_lt_i32 s0, 6
	s_cbranch_scc1 .LBB19_692
; %bb.690:
	s_cmp_gt_i32 s0, 6
	s_cbranch_scc0 .LBB19_693
; %bb.691:
	global_load_b64 v[6:7], v[4:5], off
	s_mov_b32 s23, 0
	s_wait_loadcnt 0x0
	v_cvt_f32_f64_e32 v1, v[6:7]
	s_branch .LBB19_694
.LBB19_692:
	s_mov_b32 s23, -1
                                        ; implicit-def: $vgpr1
	s_branch .LBB19_697
.LBB19_693:
	s_mov_b32 s23, -1
                                        ; implicit-def: $vgpr1
.LBB19_694:
	s_delay_alu instid0(SALU_CYCLE_1)
	s_and_not1_b32 vcc_lo, exec_lo, s23
	s_cbranch_vccnz .LBB19_696
; %bb.695:
	s_wait_loadcnt 0x0
	global_load_b32 v1, v[4:5], off
.LBB19_696:
	s_mov_b32 s23, 0
.LBB19_697:
	s_delay_alu instid0(SALU_CYCLE_1)
	s_and_not1_b32 vcc_lo, exec_lo, s23
	s_cbranch_vccnz .LBB19_699
; %bb.698:
	s_wait_loadcnt 0x0
	global_load_u16 v1, v[4:5], off
	s_wait_loadcnt 0x0
	v_cvt_f32_f16_e32 v1, v1
.LBB19_699:
	s_mov_b32 s23, 0
.LBB19_700:
	s_delay_alu instid0(SALU_CYCLE_1)
	s_and_not1_b32 vcc_lo, exec_lo, s23
	s_cbranch_vccnz .LBB19_720
; %bb.701:
	s_cmp_lt_i32 s0, 2
	s_cbranch_scc1 .LBB19_705
; %bb.702:
	s_cmp_lt_i32 s0, 3
	s_cbranch_scc1 .LBB19_706
; %bb.703:
	s_cmp_gt_i32 s0, 3
	s_cbranch_scc0 .LBB19_707
; %bb.704:
	global_load_b64 v[6:7], v[4:5], off
	s_mov_b32 s23, 0
	s_wait_loadcnt 0x0
	v_xor_b32_e32 v1, v6, v7
	v_cls_i32_e32 v3, v7
	s_delay_alu instid0(VALU_DEP_2) | instskip(NEXT) | instid1(VALU_DEP_1)
	v_ashrrev_i32_e32 v1, 31, v1
	v_add_nc_u32_e32 v1, 32, v1
	s_delay_alu instid0(VALU_DEP_1) | instskip(NEXT) | instid1(VALU_DEP_1)
	v_add_min_u32_e64 v1, v3, -1, v1
	v_lshlrev_b64_e32 v[6:7], v1, v[6:7]
	v_sub_nc_u32_e32 v1, 32, v1
	s_delay_alu instid0(VALU_DEP_2) | instskip(NEXT) | instid1(VALU_DEP_1)
	v_min_u32_e32 v3, 1, v6
	v_or_b32_e32 v3, v7, v3
	s_delay_alu instid0(VALU_DEP_1) | instskip(NEXT) | instid1(VALU_DEP_1)
	v_cvt_f32_i32_e32 v3, v3
	v_ldexp_f32 v1, v3, v1
	s_branch .LBB19_708
.LBB19_705:
	s_mov_b32 s23, -1
                                        ; implicit-def: $vgpr1
	s_branch .LBB19_714
.LBB19_706:
	s_mov_b32 s23, -1
                                        ; implicit-def: $vgpr1
	s_branch .LBB19_711
.LBB19_707:
	s_mov_b32 s23, -1
                                        ; implicit-def: $vgpr1
.LBB19_708:
	s_delay_alu instid0(SALU_CYCLE_1)
	s_and_not1_b32 vcc_lo, exec_lo, s23
	s_cbranch_vccnz .LBB19_710
; %bb.709:
	s_wait_loadcnt 0x0
	global_load_b32 v1, v[4:5], off
	s_wait_loadcnt 0x0
	v_cvt_f32_i32_e32 v1, v1
.LBB19_710:
	s_mov_b32 s23, 0
.LBB19_711:
	s_delay_alu instid0(SALU_CYCLE_1)
	s_and_not1_b32 vcc_lo, exec_lo, s23
	s_cbranch_vccnz .LBB19_713
; %bb.712:
	s_wait_loadcnt 0x0
	global_load_i16 v1, v[4:5], off
	s_wait_loadcnt 0x0
	v_cvt_f32_i32_e32 v1, v1
.LBB19_713:
	s_mov_b32 s23, 0
.LBB19_714:
	s_delay_alu instid0(SALU_CYCLE_1)
	s_and_not1_b32 vcc_lo, exec_lo, s23
	s_cbranch_vccnz .LBB19_720
; %bb.715:
	s_cmp_gt_i32 s0, 0
	s_mov_b32 s0, 0
	s_cbranch_scc0 .LBB19_717
; %bb.716:
	s_wait_loadcnt 0x0
	global_load_i8 v1, v[4:5], off
	s_wait_loadcnt 0x0
	v_cvt_f32_i32_e32 v1, v1
	s_branch .LBB19_718
.LBB19_717:
	s_mov_b32 s0, -1
                                        ; implicit-def: $vgpr1
.LBB19_718:
	s_delay_alu instid0(SALU_CYCLE_1)
	s_and_not1_b32 vcc_lo, exec_lo, s0
	s_cbranch_vccnz .LBB19_720
; %bb.719:
	s_wait_loadcnt 0x0
	global_load_u8 v1, v[4:5], off
	s_wait_loadcnt 0x0
	v_cvt_f32_ubyte0_e32 v1, v1
.LBB19_720:
	s_mov_b32 s23, -1
.LBB19_721:
	s_delay_alu instid0(SALU_CYCLE_1)
	s_and_not1_b32 vcc_lo, exec_lo, s23
	s_cbranch_vccnz .LBB19_741
; %bb.722:
	s_mov_b32 s23, exec_lo
                                        ; implicit-def: $vgpr4
	s_wait_loadcnt 0x0
	s_delay_alu instid0(VALU_DEP_1)
	v_cmpx_ge_f32_e64 0x41000000, |v1|
	s_xor_b32 s23, exec_lo, s23
	s_cbranch_execz .LBB19_728
; %bb.723:
	v_fma_f32 v3, |v1|, 0.5, -2.0
	s_mov_b32 s0, 0x224cf950
	v_mul_f32_e64 v6, 0x3fb8aa3b, |v1|
	v_cmp_ngt_f32_e64 vcc_lo, 0xc2ce8ed0, |v1|
	s_delay_alu instid0(VALU_DEP_3) | instskip(SKIP_1) | instid1(VALU_DEP_4)
	v_fmaak_f32 v4, s0, v3, 0xa3c2be86
	v_cmp_nlt_f32_e64 s0, 0x42b17218, |v1|
	v_rndne_f32_e32 v7, v6
	v_fma_f32 v8, 0x3fb8aa3b, |v1|, -v6
	s_delay_alu instid0(VALU_DEP_2) | instskip(NEXT) | instid1(VALU_DEP_2)
	v_dual_fmaak_f32 v5, v3, v4, 0xa24cf950 :: v_dual_sub_f32 v6, v6, v7
	v_fma_f32 v8, 0x32a5705f, |v1|, v8
	s_delay_alu instid0(VALU_DEP_1) | instskip(NEXT) | instid1(VALU_DEP_1)
	v_dual_add_f32 v5, 0x25331f1f, v5 :: v_dual_add_f32 v6, v6, v8
	v_fma_f32 v4, v3, v5, -v4
	s_delay_alu instid0(VALU_DEP_1) | instskip(NEXT) | instid1(VALU_DEP_1)
	v_add_f32_e32 v4, 0xa69f5554, v4
	v_fma_f32 v5, v3, v4, -v5
	s_delay_alu instid0(VALU_DEP_1) | instskip(NEXT) | instid1(VALU_DEP_1)
	v_add_f32_e32 v5, 0x2808ebf8, v5
	;; [unrolled: 3-line block ×25, first 2 shown]
	v_fma_f32 v3, v3, v4, -v5
	v_exp_f32_e32 v4, v6
	v_nop
	v_cvt_i32_f32_e32 v6, v7
	s_delay_alu instid0(VALU_DEP_3)
	v_add_f32_e32 v3, 0x3e81531c, v3
	s_delay_alu instid0(TRANS32_DEP_1) | instid1(VALU_DEP_2)
	v_ldexp_f32 v4, v4, v6
	s_delay_alu instid0(VALU_DEP_1) | instskip(SKIP_1) | instid1(VALU_DEP_2)
	v_dual_sub_f32 v3, v3, v5 :: v_dual_cndmask_b32 v4, 0, v4
	v_cmp_ngt_f32_e32 vcc_lo, 0, v1
	v_mul_f32_e32 v3, 0.5, v3
	s_delay_alu instid0(VALU_DEP_1) | instskip(NEXT) | instid1(VALU_DEP_4)
	v_mul_f32_e64 v3, |v1|, v3
	v_cndmask_b32_e64 v1, 0x7f800000, v4, s0
                                        ; implicit-def: $vgpr4
	s_and_saveexec_b32 s0, vcc_lo
	s_delay_alu instid0(SALU_CYCLE_1)
	s_xor_b32 s0, exec_lo, s0
; %bb.724:
	s_delay_alu instid0(VALU_DEP_1)
	v_mul_f32_e32 v4, v1, v3
                                        ; implicit-def: $vgpr1
                                        ; implicit-def: $vgpr3
; %bb.725:
	s_and_not1_saveexec_b32 s0, s0
; %bb.726:
	v_mul_f32_e64 v4, v3, -v1
; %bb.727:
	s_or_b32 exec_lo, exec_lo, s0
                                        ; implicit-def: $vgpr1
.LBB19_728:
	s_and_not1_saveexec_b32 s23, s23
	s_cbranch_execz .LBB19_734
; %bb.729:
	v_and_b32_e32 v3, 0x7fffffff, v1
	s_mov_b32 s0, 0x230aab6e
	s_delay_alu instid0(VALU_DEP_1) | instskip(SKIP_1) | instid1(VALU_DEP_2)
	v_div_scale_f32 v4, null, v3, v3, 0x42000000
	v_div_scale_f32 v3, vcc_lo, 0x42000000, v3, 0x42000000
	v_rcp_f32_e32 v5, v4
	v_nop
	s_delay_alu instid0(TRANS32_DEP_1) | instskip(NEXT) | instid1(VALU_DEP_1)
	v_fma_f32 v6, -v4, v5, 1.0
	v_fmac_f32_e32 v5, v6, v5
	s_delay_alu instid0(VALU_DEP_1) | instskip(NEXT) | instid1(VALU_DEP_1)
	v_mul_f32_e32 v6, v3, v5
	v_fma_f32 v7, -v4, v6, v3
	s_delay_alu instid0(VALU_DEP_1) | instskip(NEXT) | instid1(VALU_DEP_1)
	v_fmac_f32_e32 v6, v7, v5
	v_fma_f32 v3, -v4, v6, v3
	s_delay_alu instid0(VALU_DEP_1) | instskip(SKIP_2) | instid1(VALU_DEP_3)
	v_div_fmas_f32 v3, v3, v5, v6
	v_mul_f32_e64 v6, 0x3fb8aa3b, |v1|
	v_cmp_ngt_f32_e64 vcc_lo, 0xc2ce8ed0, |v1|
	v_div_fixup_f32 v3, v3, |v1|, 0x42000000
	s_delay_alu instid0(VALU_DEP_3) | instskip(SKIP_1) | instid1(VALU_DEP_3)
	v_rndne_f32_e32 v7, v6
	v_fma_f32 v8, 0x3fb8aa3b, |v1|, -v6
	v_add_f32_e32 v3, -2.0, v3
	s_delay_alu instid0(VALU_DEP_3) | instskip(NEXT) | instid1(VALU_DEP_3)
	v_sub_f32_e32 v6, v6, v7
	v_fma_f32 v8, 0x32a5705f, |v1|, v8
	v_cvt_i32_f32_e32 v7, v7
	s_delay_alu instid0(VALU_DEP_4) | instskip(SKIP_1) | instid1(VALU_DEP_4)
	v_fmaak_f32 v4, s0, v3, 0x22a2dc57
	v_cmp_nlt_f32_e64 s0, 0x42b17218, |v1|
	v_add_f32_e32 v6, v6, v8
	s_delay_alu instid0(VALU_DEP_1) | instskip(SKIP_1) | instid1(TRANS32_DEP_1)
	v_exp_f32_e32 v6, v6
	v_nop
	v_ldexp_f32 v6, v6, v7
	v_fmaak_f32 v5, v3, v4, 0xa30aab6e
	s_delay_alu instid0(VALU_DEP_1) | instskip(NEXT) | instid1(VALU_DEP_1)
	v_add_f32_e32 v5, 0xa456751e, v5
	v_fma_f32 v4, v3, v5, -v4
	s_delay_alu instid0(VALU_DEP_1) | instskip(NEXT) | instid1(VALU_DEP_1)
	v_add_f32_e32 v4, 0xa4140365, v4
	v_fma_f32 v5, v3, v4, -v5
	;; [unrolled: 3-line block ×21, first 2 shown]
	s_delay_alu instid0(VALU_DEP_1) | instskip(NEXT) | instid1(VALU_DEP_1)
	v_add_f32_e32 v4, 0xbc1fed03, v4
	v_dual_fma_f32 v3, v3, v4, -v5 :: v_dual_cndmask_b32 v4, 0, v6, vcc_lo
	s_delay_alu instid0(VALU_DEP_1) | instskip(NEXT) | instid1(VALU_DEP_2)
	v_add_f32_e32 v6, 0x3f4750c6, v3
	v_cndmask_b32_e64 v3, 0x7f800000, v4, s0
                                        ; implicit-def: $vgpr4
	s_mov_b32 s0, exec_lo
	s_delay_alu instid0(VALU_DEP_2)
	v_sub_f32_e32 v5, v6, v5
	v_cmpx_ngt_f32_e32 0, v1
	s_xor_b32 s24, exec_lo, s0
	s_cbranch_execz .LBB19_731
; %bb.730:
	v_mul_f32_e64 v4, 0x4f800000, |v1|
	v_cmp_gt_f32_e64 vcc_lo, 0xf800000, |v1|
	v_mul_f32_e32 v5, 0.5, v5
	s_delay_alu instid0(VALU_DEP_2) | instskip(NEXT) | instid1(VALU_DEP_2)
	v_cndmask_b32_e64 v1, |v1|, v4, vcc_lo
	v_mul_f32_e32 v3, v3, v5
	s_delay_alu instid0(VALU_DEP_2) | instskip(SKIP_1) | instid1(TRANS32_DEP_1)
	v_sqrt_f32_e32 v4, v1
	v_nop
	v_dual_add_nc_u32 v6, -1, v4 :: v_dual_add_nc_u32 v7, 1, v4
	s_delay_alu instid0(VALU_DEP_1) | instskip(NEXT) | instid1(VALU_DEP_1)
	v_dual_fma_f32 v8, -v6, v4, v1 :: v_dual_fma_f32 v9, -v7, v4, v1
	v_cmp_ge_f32_e64 s0, 0, v8
	s_delay_alu instid0(VALU_DEP_1) | instskip(NEXT) | instid1(VALU_DEP_3)
	v_cndmask_b32_e64 v4, v4, v6, s0
	v_cmp_lt_f32_e64 s0, 0, v9
	s_delay_alu instid0(VALU_DEP_1) | instskip(NEXT) | instid1(VALU_DEP_1)
	v_cndmask_b32_e64 v4, v4, v7, s0
	v_mul_f32_e32 v6, 0x37800000, v4
	s_delay_alu instid0(VALU_DEP_1) | instskip(SKIP_1) | instid1(VALU_DEP_2)
	v_cndmask_b32_e32 v4, v4, v6, vcc_lo
	v_cmp_class_f32_e64 vcc_lo, v1, 0x260
	v_cndmask_b32_e32 v1, v4, v1, vcc_lo
	s_delay_alu instid0(VALU_DEP_1) | instskip(NEXT) | instid1(VALU_DEP_1)
	v_div_scale_f32 v4, null, v1, v1, v3
	v_rcp_f32_e32 v5, v4
	v_nop
	s_delay_alu instid0(TRANS32_DEP_1) | instskip(NEXT) | instid1(VALU_DEP_1)
	v_fma_f32 v6, -v4, v5, 1.0
	v_fmac_f32_e32 v5, v6, v5
	v_div_scale_f32 v6, vcc_lo, v3, v1, v3
	s_delay_alu instid0(VALU_DEP_1) | instskip(NEXT) | instid1(VALU_DEP_1)
	v_mul_f32_e32 v7, v6, v5
	v_fma_f32 v8, -v4, v7, v6
	s_delay_alu instid0(VALU_DEP_1) | instskip(NEXT) | instid1(VALU_DEP_1)
	v_fmac_f32_e32 v7, v8, v5
	v_fma_f32 v4, -v4, v7, v6
	s_delay_alu instid0(VALU_DEP_1) | instskip(NEXT) | instid1(VALU_DEP_1)
	v_div_fmas_f32 v4, v4, v5, v7
                                        ; implicit-def: $vgpr5
	v_div_fixup_f32 v4, v4, v1, v3
                                        ; implicit-def: $vgpr1
                                        ; implicit-def: $vgpr3
.LBB19_731:
	s_and_not1_saveexec_b32 s24, s24
	s_cbranch_execz .LBB19_733
; %bb.732:
	v_mul_f32_e64 v4, 0x4f800000, |v1|
	v_cmp_gt_f32_e64 vcc_lo, 0xf800000, |v1|
	v_mul_f32_e32 v5, -0.5, v5
	s_delay_alu instid0(VALU_DEP_2) | instskip(NEXT) | instid1(VALU_DEP_2)
	v_cndmask_b32_e64 v1, |v1|, v4, vcc_lo
	v_mul_f32_e32 v3, v3, v5
	s_delay_alu instid0(VALU_DEP_2) | instskip(SKIP_1) | instid1(TRANS32_DEP_1)
	v_sqrt_f32_e32 v4, v1
	v_nop
	v_dual_add_nc_u32 v6, -1, v4 :: v_dual_add_nc_u32 v7, 1, v4
	s_delay_alu instid0(VALU_DEP_1) | instskip(NEXT) | instid1(VALU_DEP_1)
	v_dual_fma_f32 v8, -v6, v4, v1 :: v_dual_fma_f32 v9, -v7, v4, v1
	v_cmp_ge_f32_e64 s0, 0, v8
	s_delay_alu instid0(VALU_DEP_1) | instskip(NEXT) | instid1(VALU_DEP_3)
	v_cndmask_b32_e64 v4, v4, v6, s0
	v_cmp_lt_f32_e64 s0, 0, v9
	s_delay_alu instid0(VALU_DEP_1) | instskip(NEXT) | instid1(VALU_DEP_1)
	v_cndmask_b32_e64 v4, v4, v7, s0
	v_mul_f32_e32 v6, 0x37800000, v4
	s_delay_alu instid0(VALU_DEP_1) | instskip(SKIP_1) | instid1(VALU_DEP_2)
	v_cndmask_b32_e32 v4, v4, v6, vcc_lo
	v_cmp_class_f32_e64 vcc_lo, v1, 0x260
	v_cndmask_b32_e32 v1, v4, v1, vcc_lo
	s_delay_alu instid0(VALU_DEP_1) | instskip(NEXT) | instid1(VALU_DEP_1)
	v_div_scale_f32 v4, null, v1, v1, v3
	v_rcp_f32_e32 v5, v4
	v_nop
	s_delay_alu instid0(TRANS32_DEP_1) | instskip(NEXT) | instid1(VALU_DEP_1)
	v_fma_f32 v6, -v4, v5, 1.0
	v_fmac_f32_e32 v5, v6, v5
	v_div_scale_f32 v6, vcc_lo, v3, v1, v3
	s_delay_alu instid0(VALU_DEP_1) | instskip(NEXT) | instid1(VALU_DEP_1)
	v_mul_f32_e32 v7, v6, v5
	v_fma_f32 v8, -v4, v7, v6
	s_delay_alu instid0(VALU_DEP_1) | instskip(NEXT) | instid1(VALU_DEP_1)
	v_fmac_f32_e32 v7, v8, v5
	v_fma_f32 v4, -v4, v7, v6
	s_delay_alu instid0(VALU_DEP_1) | instskip(NEXT) | instid1(VALU_DEP_1)
	v_div_fmas_f32 v4, v4, v5, v7
	v_div_fixup_f32 v4, v4, v1, v3
.LBB19_733:
	s_or_b32 exec_lo, exec_lo, s24
.LBB19_734:
	s_delay_alu instid0(SALU_CYCLE_1) | instskip(SKIP_2) | instid1(SALU_CYCLE_1)
	s_or_b32 exec_lo, exec_lo, s23
	v_mov_b32_e32 v3, 0
	s_and_b32 s23, s34, 0xff
	s_cmp_lt_i32 s23, 11
	s_delay_alu instid0(VALU_DEP_1)
	v_add_nc_u64_e32 v[2:3], s[4:5], v[2:3]
	s_cbranch_scc1 .LBB19_742
; %bb.735:
	s_and_b32 s24, 0xffff, s23
	s_delay_alu instid0(SALU_CYCLE_1)
	s_cmp_gt_i32 s24, 25
	s_cbranch_scc0 .LBB19_743
; %bb.736:
	s_cmp_gt_i32 s24, 28
	s_cbranch_scc0 .LBB19_744
; %bb.737:
	;; [unrolled: 3-line block ×4, first 2 shown]
	s_mov_b32 s26, 0
	s_mov_b32 s0, -1
	s_cmp_eq_u32 s24, 46
	s_mov_b32 s25, 0
	s_cbranch_scc0 .LBB19_747
; %bb.740:
	v_bfe_u32 v1, v4, 16, 1
	v_cmp_o_f32_e32 vcc_lo, v4, v4
	s_mov_b32 s25, -1
	s_mov_b32 s0, 0
	s_delay_alu instid0(VALU_DEP_2) | instskip(NEXT) | instid1(VALU_DEP_1)
	v_add3_u32 v1, v4, v1, 0x7fff
	v_lshrrev_b32_e32 v1, 16, v1
	s_delay_alu instid0(VALU_DEP_1)
	v_cndmask_b32_e32 v1, 0x7fc0, v1, vcc_lo
	global_store_b32 v[2:3], v1, off
	s_branch .LBB19_747
.LBB19_741:
	s_mov_b32 s23, 0
	s_mov_b32 s0, s43
	s_branch .LBB19_858
.LBB19_742:
	s_mov_b32 s24, -1
	s_mov_b32 s25, 0
	s_mov_b32 s0, s43
	s_branch .LBB19_816
.LBB19_743:
	s_mov_b32 s26, -1
	s_mov_b32 s25, 0
	s_mov_b32 s0, s43
	s_branch .LBB19_774
.LBB19_744:
	s_mov_b32 s26, -1
	s_mov_b32 s25, 0
	s_mov_b32 s0, s43
	s_branch .LBB19_757
.LBB19_745:
	s_mov_b32 s26, -1
	s_mov_b32 s25, 0
	s_mov_b32 s0, s43
	s_branch .LBB19_753
.LBB19_746:
	s_mov_b32 s26, -1
	s_mov_b32 s25, 0
	s_mov_b32 s0, s43
.LBB19_747:
	s_and_b32 vcc_lo, exec_lo, s26
	s_cbranch_vccz .LBB19_752
; %bb.748:
	s_cmp_eq_u32 s24, 44
	s_mov_b32 s0, -1
	s_cbranch_scc0 .LBB19_752
; %bb.749:
	v_bfe_u32 v5, v4, 23, 8
	s_wait_xcnt 0x0
	v_mov_b32_e32 v1, 0xff
	s_mov_b32 s25, exec_lo
	s_delay_alu instid0(VALU_DEP_2)
	v_cmpx_ne_u32_e32 0xff, v5
	s_cbranch_execz .LBB19_751
; %bb.750:
	v_and_b32_e32 v1, 0x400000, v4
	v_and_or_b32 v5, 0x3fffff, v4, v5
	s_delay_alu instid0(VALU_DEP_2) | instskip(NEXT) | instid1(VALU_DEP_2)
	v_cmp_ne_u32_e32 vcc_lo, 0, v1
	v_cmp_ne_u32_e64 s0, 0, v5
	v_lshrrev_b32_e32 v1, 23, v4
	s_and_b32 s0, vcc_lo, s0
	s_delay_alu instid0(SALU_CYCLE_1) | instskip(NEXT) | instid1(VALU_DEP_1)
	v_cndmask_b32_e64 v5, 0, 1, s0
	v_add_nc_u32_e32 v1, v1, v5
.LBB19_751:
	s_or_b32 exec_lo, exec_lo, s25
	s_mov_b32 s25, -1
	s_mov_b32 s0, 0
	global_store_b8 v[2:3], v1, off
.LBB19_752:
	s_mov_b32 s26, 0
.LBB19_753:
	s_delay_alu instid0(SALU_CYCLE_1)
	s_and_b32 vcc_lo, exec_lo, s26
	s_cbranch_vccz .LBB19_756
; %bb.754:
	s_cmp_eq_u32 s24, 29
	s_mov_b32 s0, -1
	s_cbranch_scc0 .LBB19_756
; %bb.755:
	s_wait_xcnt 0x0
	v_trunc_f32_e32 v1, v4
	s_mov_b32 s25, -1
	s_mov_b32 s0, 0
	s_mov_b32 s26, 0
	s_delay_alu instid0(VALU_DEP_1) | instskip(NEXT) | instid1(VALU_DEP_1)
	v_mul_f32_e32 v5, 0x2f800000, v1
	v_floor_f32_e32 v5, v5
	s_delay_alu instid0(VALU_DEP_1) | instskip(SKIP_1) | instid1(VALU_DEP_2)
	v_fmamk_f32 v1, v5, 0xcf800000, v1
	v_cvt_u32_f32_e32 v7, v5
	v_cvt_u32_f32_e32 v6, v1
	global_store_b64 v[2:3], v[6:7], off
	s_branch .LBB19_757
.LBB19_756:
	s_mov_b32 s26, 0
.LBB19_757:
	s_delay_alu instid0(SALU_CYCLE_1)
	s_and_b32 vcc_lo, exec_lo, s26
	s_cbranch_vccz .LBB19_773
; %bb.758:
	s_cmp_lt_i32 s24, 27
	s_mov_b32 s25, -1
	s_cbranch_scc1 .LBB19_764
; %bb.759:
	s_wait_xcnt 0x0
	v_cvt_u32_f32_e32 v1, v4
	s_cmp_gt_i32 s24, 27
	s_cbranch_scc0 .LBB19_761
; %bb.760:
	s_mov_b32 s25, 0
	global_store_b32 v[2:3], v1, off
.LBB19_761:
	s_and_not1_b32 vcc_lo, exec_lo, s25
	s_cbranch_vccnz .LBB19_763
; %bb.762:
	global_store_b16 v[2:3], v1, off
.LBB19_763:
	s_mov_b32 s25, 0
.LBB19_764:
	s_delay_alu instid0(SALU_CYCLE_1)
	s_and_not1_b32 vcc_lo, exec_lo, s25
	s_cbranch_vccnz .LBB19_772
; %bb.765:
	s_wait_xcnt 0x0
	v_and_b32_e32 v1, 0x7fffffff, v4
	v_mov_b32_e32 v5, 0x80
	s_mov_b32 s25, exec_lo
	s_delay_alu instid0(VALU_DEP_2)
	v_cmpx_gt_u32_e32 0x43800000, v1
	s_cbranch_execz .LBB19_771
; %bb.766:
	v_cmp_lt_u32_e32 vcc_lo, 0x3bffffff, v1
	s_mov_b32 s26, 0
                                        ; implicit-def: $vgpr1
	s_and_saveexec_b32 s27, vcc_lo
	s_delay_alu instid0(SALU_CYCLE_1)
	s_xor_b32 s27, exec_lo, s27
	s_cbranch_execz .LBB19_890
; %bb.767:
	v_bfe_u32 v1, v4, 20, 1
	s_mov_b32 s26, exec_lo
	s_delay_alu instid0(VALU_DEP_1) | instskip(NEXT) | instid1(VALU_DEP_1)
	v_add3_u32 v1, v4, v1, 0x487ffff
	v_lshrrev_b32_e32 v1, 20, v1
	s_and_not1_saveexec_b32 s27, s27
	s_cbranch_execnz .LBB19_891
.LBB19_768:
	s_or_b32 exec_lo, exec_lo, s27
	v_mov_b32_e32 v5, 0
	s_and_saveexec_b32 s27, s26
.LBB19_769:
	v_lshrrev_b32_e32 v5, 24, v4
	s_delay_alu instid0(VALU_DEP_1)
	v_and_or_b32 v5, 0x80, v5, v1
.LBB19_770:
	s_or_b32 exec_lo, exec_lo, s27
.LBB19_771:
	s_delay_alu instid0(SALU_CYCLE_1)
	s_or_b32 exec_lo, exec_lo, s25
	global_store_b8 v[2:3], v5, off
.LBB19_772:
	s_mov_b32 s25, -1
.LBB19_773:
	s_mov_b32 s26, 0
.LBB19_774:
	s_delay_alu instid0(SALU_CYCLE_1)
	s_and_b32 vcc_lo, exec_lo, s26
	s_cbranch_vccz .LBB19_815
; %bb.775:
	s_cmp_gt_i32 s24, 22
	s_mov_b32 s26, -1
	s_cbranch_scc0 .LBB19_807
; %bb.776:
	s_cmp_lt_i32 s24, 24
	s_mov_b32 s25, -1
	s_cbranch_scc1 .LBB19_796
; %bb.777:
	s_cmp_gt_i32 s24, 24
	s_cbranch_scc0 .LBB19_785
; %bb.778:
	s_wait_xcnt 0x0
	v_and_b32_e32 v1, 0x7fffffff, v4
	v_mov_b32_e32 v5, 0x80
	s_mov_b32 s25, exec_lo
	s_delay_alu instid0(VALU_DEP_2)
	v_cmpx_gt_u32_e32 0x47800000, v1
	s_cbranch_execz .LBB19_784
; %bb.779:
	v_cmp_lt_u32_e32 vcc_lo, 0x37ffffff, v1
	s_mov_b32 s26, 0
                                        ; implicit-def: $vgpr1
	s_and_saveexec_b32 s27, vcc_lo
	s_delay_alu instid0(SALU_CYCLE_1)
	s_xor_b32 s27, exec_lo, s27
	s_cbranch_execz .LBB19_893
; %bb.780:
	v_bfe_u32 v1, v4, 21, 1
	s_mov_b32 s26, exec_lo
	s_delay_alu instid0(VALU_DEP_1) | instskip(NEXT) | instid1(VALU_DEP_1)
	v_add3_u32 v1, v4, v1, 0x88fffff
	v_lshrrev_b32_e32 v1, 21, v1
	s_and_not1_saveexec_b32 s27, s27
	s_cbranch_execnz .LBB19_894
.LBB19_781:
	s_or_b32 exec_lo, exec_lo, s27
	v_mov_b32_e32 v5, 0
	s_and_saveexec_b32 s27, s26
.LBB19_782:
	v_lshrrev_b32_e32 v5, 24, v4
	s_delay_alu instid0(VALU_DEP_1)
	v_and_or_b32 v5, 0x80, v5, v1
.LBB19_783:
	s_or_b32 exec_lo, exec_lo, s27
.LBB19_784:
	s_delay_alu instid0(SALU_CYCLE_1)
	s_or_b32 exec_lo, exec_lo, s25
	s_mov_b32 s25, 0
	global_store_b8 v[2:3], v5, off
.LBB19_785:
	s_and_b32 vcc_lo, exec_lo, s25
	s_cbranch_vccz .LBB19_795
; %bb.786:
	s_wait_xcnt 0x0
	v_and_b32_e32 v5, 0x7fffffff, v4
	s_mov_b32 s25, exec_lo
                                        ; implicit-def: $vgpr1
	s_delay_alu instid0(VALU_DEP_1)
	v_cmpx_gt_u32_e32 0x43f00000, v5
	s_xor_b32 s25, exec_lo, s25
	s_cbranch_execz .LBB19_792
; %bb.787:
	s_mov_b32 s26, exec_lo
                                        ; implicit-def: $vgpr1
	v_cmpx_lt_u32_e32 0x3c7fffff, v5
	s_xor_b32 s26, exec_lo, s26
; %bb.788:
	v_bfe_u32 v1, v4, 20, 1
	s_delay_alu instid0(VALU_DEP_1) | instskip(NEXT) | instid1(VALU_DEP_1)
	v_add3_u32 v1, v4, v1, 0x407ffff
	v_and_b32_e32 v5, 0xff00000, v1
	v_lshrrev_b32_e32 v1, 20, v1
	s_delay_alu instid0(VALU_DEP_2) | instskip(NEXT) | instid1(VALU_DEP_2)
	v_cmp_ne_u32_e32 vcc_lo, 0x7f00000, v5
	v_cndmask_b32_e32 v1, 0x7e, v1, vcc_lo
; %bb.789:
	s_and_not1_saveexec_b32 s26, s26
; %bb.790:
	v_add_f32_e64 v1, 0x46800000, |v4|
; %bb.791:
	s_or_b32 exec_lo, exec_lo, s26
                                        ; implicit-def: $vgpr5
.LBB19_792:
	s_and_not1_saveexec_b32 s25, s25
; %bb.793:
	v_mov_b32_e32 v1, 0x7f
	v_cmp_lt_u32_e32 vcc_lo, 0x7f800000, v5
	s_delay_alu instid0(VALU_DEP_2)
	v_cndmask_b32_e32 v1, 0x7e, v1, vcc_lo
; %bb.794:
	s_or_b32 exec_lo, exec_lo, s25
	v_lshrrev_b32_e32 v5, 24, v4
	s_delay_alu instid0(VALU_DEP_1)
	v_and_or_b32 v1, 0x80, v5, v1
	global_store_b8 v[2:3], v1, off
.LBB19_795:
	s_mov_b32 s25, 0
.LBB19_796:
	s_delay_alu instid0(SALU_CYCLE_1)
	s_and_not1_b32 vcc_lo, exec_lo, s25
	s_cbranch_vccnz .LBB19_806
; %bb.797:
	s_wait_xcnt 0x0
	v_and_b32_e32 v5, 0x7fffffff, v4
	s_mov_b32 s25, exec_lo
                                        ; implicit-def: $vgpr1
	s_delay_alu instid0(VALU_DEP_1)
	v_cmpx_gt_u32_e32 0x47800000, v5
	s_xor_b32 s25, exec_lo, s25
	s_cbranch_execz .LBB19_803
; %bb.798:
	s_mov_b32 s26, exec_lo
                                        ; implicit-def: $vgpr1
	v_cmpx_lt_u32_e32 0x387fffff, v5
	s_xor_b32 s26, exec_lo, s26
; %bb.799:
	v_bfe_u32 v1, v4, 21, 1
	s_delay_alu instid0(VALU_DEP_1) | instskip(NEXT) | instid1(VALU_DEP_1)
	v_add3_u32 v1, v4, v1, 0x80fffff
	v_lshrrev_b32_e32 v1, 21, v1
; %bb.800:
	s_and_not1_saveexec_b32 s26, s26
; %bb.801:
	v_add_f32_e64 v1, 0x43000000, |v4|
; %bb.802:
	s_or_b32 exec_lo, exec_lo, s26
                                        ; implicit-def: $vgpr5
.LBB19_803:
	s_and_not1_saveexec_b32 s25, s25
; %bb.804:
	v_mov_b32_e32 v1, 0x7f
	v_cmp_lt_u32_e32 vcc_lo, 0x7f800000, v5
	s_delay_alu instid0(VALU_DEP_2)
	v_cndmask_b32_e32 v1, 0x7c, v1, vcc_lo
; %bb.805:
	s_or_b32 exec_lo, exec_lo, s25
	v_lshrrev_b32_e32 v5, 24, v4
	s_delay_alu instid0(VALU_DEP_1)
	v_and_or_b32 v1, 0x80, v5, v1
	global_store_b8 v[2:3], v1, off
.LBB19_806:
	s_mov_b32 s26, 0
	s_mov_b32 s25, -1
.LBB19_807:
	s_and_not1_b32 vcc_lo, exec_lo, s26
	s_cbranch_vccnz .LBB19_815
; %bb.808:
	s_cmp_gt_i32 s24, 14
	s_mov_b32 s26, -1
	s_cbranch_scc0 .LBB19_812
; %bb.809:
	s_cmp_eq_u32 s24, 15
	s_mov_b32 s0, -1
	s_cbranch_scc0 .LBB19_811
; %bb.810:
	s_wait_xcnt 0x0
	v_bfe_u32 v1, v4, 16, 1
	v_cmp_o_f32_e32 vcc_lo, v4, v4
	s_mov_b32 s25, -1
	s_mov_b32 s0, 0
	s_delay_alu instid0(VALU_DEP_2) | instskip(NEXT) | instid1(VALU_DEP_1)
	v_add3_u32 v1, v4, v1, 0x7fff
	v_lshrrev_b32_e32 v1, 16, v1
	s_delay_alu instid0(VALU_DEP_1)
	v_cndmask_b32_e32 v1, 0x7fc0, v1, vcc_lo
	global_store_b16 v[2:3], v1, off
.LBB19_811:
	s_mov_b32 s26, 0
.LBB19_812:
	s_delay_alu instid0(SALU_CYCLE_1)
	s_and_b32 vcc_lo, exec_lo, s26
	s_cbranch_vccz .LBB19_815
; %bb.813:
	s_cmp_eq_u32 s24, 11
	s_mov_b32 s0, -1
	s_cbranch_scc0 .LBB19_815
; %bb.814:
	v_cmp_neq_f32_e32 vcc_lo, 0, v4
	s_mov_b32 s0, 0
	s_mov_b32 s25, -1
	s_wait_xcnt 0x0
	v_cndmask_b32_e64 v1, 0, 1, vcc_lo
	global_store_b8 v[2:3], v1, off
.LBB19_815:
	s_mov_b32 s24, 0
.LBB19_816:
	s_delay_alu instid0(SALU_CYCLE_1)
	s_and_b32 vcc_lo, exec_lo, s24
	s_cbranch_vccz .LBB19_855
; %bb.817:
	s_and_b32 s23, 0xffff, s23
	s_mov_b32 s24, -1
	s_cmp_lt_i32 s23, 5
	s_cbranch_scc1 .LBB19_838
; %bb.818:
	s_cmp_lt_i32 s23, 8
	s_cbranch_scc1 .LBB19_828
; %bb.819:
	;; [unrolled: 3-line block ×3, first 2 shown]
	s_cmp_gt_i32 s23, 9
	s_cbranch_scc0 .LBB19_822
; %bb.821:
	s_wait_xcnt 0x0
	v_cvt_f64_f32_e32 v[6:7], v4
	v_mov_b32_e32 v8, 0
	s_mov_b32 s24, 0
	s_delay_alu instid0(VALU_DEP_1)
	v_mov_b32_e32 v9, v8
	global_store_b128 v[2:3], v[6:9], off
.LBB19_822:
	s_and_not1_b32 vcc_lo, exec_lo, s24
	s_cbranch_vccnz .LBB19_824
; %bb.823:
	s_wait_xcnt 0x0
	v_mov_b32_e32 v5, 0
	global_store_b64 v[2:3], v[4:5], off
.LBB19_824:
	s_mov_b32 s24, 0
.LBB19_825:
	s_delay_alu instid0(SALU_CYCLE_1)
	s_and_not1_b32 vcc_lo, exec_lo, s24
	s_cbranch_vccnz .LBB19_827
; %bb.826:
	s_wait_xcnt 0x0
	v_cvt_f16_f32_e32 v1, v4
	s_delay_alu instid0(VALU_DEP_1)
	v_and_b32_e32 v1, 0xffff, v1
	global_store_b32 v[2:3], v1, off
.LBB19_827:
	s_mov_b32 s24, 0
.LBB19_828:
	s_delay_alu instid0(SALU_CYCLE_1)
	s_and_not1_b32 vcc_lo, exec_lo, s24
	s_cbranch_vccnz .LBB19_837
; %bb.829:
	s_cmp_lt_i32 s23, 6
	s_mov_b32 s24, -1
	s_cbranch_scc1 .LBB19_835
; %bb.830:
	s_cmp_gt_i32 s23, 6
	s_cbranch_scc0 .LBB19_832
; %bb.831:
	s_wait_xcnt 0x0
	v_cvt_f64_f32_e32 v[6:7], v4
	s_mov_b32 s24, 0
	global_store_b64 v[2:3], v[6:7], off
.LBB19_832:
	s_and_not1_b32 vcc_lo, exec_lo, s24
	s_cbranch_vccnz .LBB19_834
; %bb.833:
	global_store_b32 v[2:3], v4, off
.LBB19_834:
	s_mov_b32 s24, 0
.LBB19_835:
	s_delay_alu instid0(SALU_CYCLE_1)
	s_and_not1_b32 vcc_lo, exec_lo, s24
	s_cbranch_vccnz .LBB19_837
; %bb.836:
	s_wait_xcnt 0x0
	v_cvt_f16_f32_e32 v1, v4
	global_store_b16 v[2:3], v1, off
.LBB19_837:
	s_mov_b32 s24, 0
.LBB19_838:
	s_delay_alu instid0(SALU_CYCLE_1)
	s_and_not1_b32 vcc_lo, exec_lo, s24
	s_cbranch_vccnz .LBB19_854
; %bb.839:
	s_cmp_lt_i32 s23, 2
	s_mov_b32 s24, -1
	s_cbranch_scc1 .LBB19_849
; %bb.840:
	s_cmp_lt_i32 s23, 3
	s_cbranch_scc1 .LBB19_846
; %bb.841:
	s_cmp_gt_i32 s23, 3
	s_cbranch_scc0 .LBB19_843
; %bb.842:
	s_wait_xcnt 0x0
	v_trunc_f32_e32 v1, v4
	s_mov_b32 s24, 0
	s_delay_alu instid0(VALU_DEP_1) | instskip(SKIP_1) | instid1(VALU_DEP_2)
	v_mul_f32_e64 v5, 0x2f800000, |v1|
	v_ashrrev_i32_e32 v6, 31, v1
	v_floor_f32_e32 v5, v5
	s_delay_alu instid0(VALU_DEP_1) | instskip(SKIP_1) | instid1(VALU_DEP_2)
	v_fma_f32 v7, 0xcf800000, v5, |v1|
	v_cvt_u32_f32_e32 v1, v5
	v_cvt_u32_f32_e32 v5, v7
	s_delay_alu instid0(VALU_DEP_2) | instskip(NEXT) | instid1(VALU_DEP_2)
	v_dual_mov_b32 v7, v6 :: v_dual_bitop2_b32 v9, v1, v6 bitop3:0x14
	v_xor_b32_e32 v8, v5, v6
	s_delay_alu instid0(VALU_DEP_1)
	v_sub_nc_u64_e32 v[6:7], v[8:9], v[6:7]
	global_store_b64 v[2:3], v[6:7], off
.LBB19_843:
	s_and_not1_b32 vcc_lo, exec_lo, s24
	s_cbranch_vccnz .LBB19_845
; %bb.844:
	s_wait_xcnt 0x0
	v_cvt_i32_f32_e32 v1, v4
	global_store_b32 v[2:3], v1, off
.LBB19_845:
	s_mov_b32 s24, 0
.LBB19_846:
	s_delay_alu instid0(SALU_CYCLE_1)
	s_and_not1_b32 vcc_lo, exec_lo, s24
	s_cbranch_vccnz .LBB19_848
; %bb.847:
	s_wait_xcnt 0x0
	v_cvt_i32_f32_e32 v1, v4
	global_store_b16 v[2:3], v1, off
.LBB19_848:
	s_mov_b32 s24, 0
.LBB19_849:
	s_delay_alu instid0(SALU_CYCLE_1)
	s_and_not1_b32 vcc_lo, exec_lo, s24
	s_cbranch_vccnz .LBB19_854
; %bb.850:
	s_cmp_gt_i32 s23, 0
	s_mov_b32 s23, -1
	s_cbranch_scc0 .LBB19_852
; %bb.851:
	s_wait_xcnt 0x0
	v_cvt_i32_f32_e32 v1, v4
	s_mov_b32 s23, 0
	global_store_b8 v[2:3], v1, off
.LBB19_852:
	s_and_not1_b32 vcc_lo, exec_lo, s23
	s_cbranch_vccnz .LBB19_854
; %bb.853:
	s_wait_xcnt 0x0
	v_trunc_f32_e32 v1, v4
	s_delay_alu instid0(VALU_DEP_1) | instskip(NEXT) | instid1(VALU_DEP_1)
	v_mul_f32_e64 v4, 0x2f800000, |v1|
	v_floor_f32_e32 v4, v4
	s_delay_alu instid0(VALU_DEP_1) | instskip(SKIP_1) | instid1(VALU_DEP_2)
	v_fma_f32 v4, 0xcf800000, v4, |v1|
	v_ashrrev_i32_e32 v1, 31, v1
	v_cvt_u32_f32_e32 v4, v4
	s_delay_alu instid0(VALU_DEP_1) | instskip(NEXT) | instid1(VALU_DEP_1)
	v_xor_b32_e32 v4, v4, v1
	v_sub_nc_u32_e32 v1, v4, v1
	global_store_b8 v[2:3], v1, off
.LBB19_854:
	s_mov_b32 s25, -1
.LBB19_855:
	s_delay_alu instid0(SALU_CYCLE_1)
	s_and_not1_b32 vcc_lo, exec_lo, s25
	s_cbranch_vccnz .LBB19_857
; %bb.856:
	v_add_nc_u32_e32 v0, 0x80, v0
	s_mov_b32 s23, -1
	s_branch .LBB19_859
.LBB19_857:
	s_mov_b32 s23, 0
.LBB19_858:
                                        ; implicit-def: $vgpr0
.LBB19_859:
	s_and_not1_b32 s24, s43, exec_lo
	s_and_b32 s0, s0, exec_lo
	s_and_not1_b32 s25, s42, exec_lo
	s_and_b32 s22, s22, exec_lo
	s_or_b32 s26, s24, s0
	s_or_b32 s0, s25, s22
	s_or_not1_b32 s25, s23, exec_lo
.LBB19_860:
	s_wait_xcnt 0x0
	s_or_b32 exec_lo, exec_lo, s45
	s_mov_b32 s22, 0
	s_mov_b32 s23, 0
	;; [unrolled: 1-line block ×3, first 2 shown]
                                        ; implicit-def: $vgpr4_vgpr5
                                        ; implicit-def: $vgpr2
                                        ; implicit-def: $vgpr1
	s_and_saveexec_b32 s27, s25
	s_cbranch_execz .LBB19_962
; %bb.861:
	v_cmp_gt_i32_e32 vcc_lo, s36, v0
	s_mov_b32 s25, s0
                                        ; implicit-def: $vgpr4_vgpr5
                                        ; implicit-def: $vgpr2
                                        ; implicit-def: $vgpr1
	s_and_saveexec_b32 s36, vcc_lo
	s_cbranch_execz .LBB19_961
; %bb.862:
	s_and_not1_b32 vcc_lo, exec_lo, s31
	s_cbranch_vccnz .LBB19_868
; %bb.863:
	s_and_not1_b32 vcc_lo, exec_lo, s38
	s_cbranch_vccnz .LBB19_869
; %bb.864:
	s_add_co_i32 s37, s37, 1
	s_cmp_eq_u32 s29, 2
	s_cbranch_scc1 .LBB19_870
; %bb.865:
	v_dual_mov_b32 v2, 0 :: v_dual_mov_b32 v4, 0
	s_wait_loadcnt 0x0
	v_mov_b32_e32 v1, v0
	s_and_b32 s22, s37, 28
	s_mov_b64 s[24:25], s[2:3]
.LBB19_866:                             ; =>This Inner Loop Header: Depth=1
	s_clause 0x1
	s_load_b256 s[48:55], s[24:25], 0x4
	s_load_b128 s[64:67], s[24:25], 0x24
	s_load_b256 s[56:63], s[20:21], 0x0
	s_add_co_i32 s23, s23, 4
	s_wait_xcnt 0x0
	s_add_nc_u64 s[24:25], s[24:25], 48
	s_cmp_eq_u32 s22, s23
	s_add_nc_u64 s[20:21], s[20:21], 32
	s_wait_kmcnt 0x0
	v_mul_hi_u32 v3, s49, v1
	s_delay_alu instid0(VALU_DEP_1) | instskip(NEXT) | instid1(VALU_DEP_1)
	v_add_nc_u32_e32 v3, v1, v3
	v_lshrrev_b32_e32 v3, s50, v3
	s_delay_alu instid0(VALU_DEP_1) | instskip(NEXT) | instid1(VALU_DEP_1)
	v_mul_hi_u32 v5, s52, v3
	v_add_nc_u32_e32 v5, v3, v5
	s_delay_alu instid0(VALU_DEP_1) | instskip(NEXT) | instid1(VALU_DEP_1)
	v_lshrrev_b32_e32 v5, s53, v5
	v_mul_hi_u32 v6, s55, v5
	s_delay_alu instid0(VALU_DEP_1) | instskip(SKIP_1) | instid1(VALU_DEP_1)
	v_add_nc_u32_e32 v6, v5, v6
	v_mul_lo_u32 v7, v3, s48
	v_sub_nc_u32_e32 v1, v1, v7
	v_mul_lo_u32 v7, v5, s51
	s_delay_alu instid0(VALU_DEP_4) | instskip(NEXT) | instid1(VALU_DEP_3)
	v_lshrrev_b32_e32 v6, s64, v6
	v_mad_u32 v4, v1, s57, v4
	v_mad_u32 v1, v1, s56, v2
	s_delay_alu instid0(VALU_DEP_4) | instskip(NEXT) | instid1(VALU_DEP_4)
	v_sub_nc_u32_e32 v2, v3, v7
	v_mul_hi_u32 v8, s66, v6
	v_mul_lo_u32 v3, v6, s54
	s_delay_alu instid0(VALU_DEP_3) | instskip(SKIP_1) | instid1(VALU_DEP_3)
	v_mad_u32 v4, v2, s59, v4
	v_mad_u32 v2, v2, s58, v1
	v_dual_add_nc_u32 v7, v6, v8 :: v_dual_sub_nc_u32 v3, v5, v3
	s_delay_alu instid0(VALU_DEP_1) | instskip(NEXT) | instid1(VALU_DEP_2)
	v_lshrrev_b32_e32 v1, s67, v7
	v_mad_u32 v4, v3, s61, v4
	s_delay_alu instid0(VALU_DEP_4) | instskip(NEXT) | instid1(VALU_DEP_3)
	v_mad_u32 v2, v3, s60, v2
	v_mul_lo_u32 v5, v1, s65
	s_delay_alu instid0(VALU_DEP_1) | instskip(NEXT) | instid1(VALU_DEP_1)
	v_sub_nc_u32_e32 v3, v6, v5
	v_mad_u32 v4, v3, s63, v4
	s_delay_alu instid0(VALU_DEP_4)
	v_mad_u32 v2, v3, s62, v2
	s_cbranch_scc0 .LBB19_866
; %bb.867:
	s_delay_alu instid0(VALU_DEP_2)
	v_mov_b32_e32 v3, v4
	s_branch .LBB19_871
.LBB19_868:
	s_mov_b32 s20, -1
                                        ; implicit-def: $vgpr4
                                        ; implicit-def: $vgpr2
	s_branch .LBB19_876
.LBB19_869:
	v_dual_mov_b32 v4, 0 :: v_dual_mov_b32 v2, 0
	s_branch .LBB19_875
.LBB19_870:
	v_mov_b64_e32 v[2:3], 0
	s_wait_loadcnt 0x0
	v_mov_b32_e32 v1, v0
                                        ; implicit-def: $vgpr4
.LBB19_871:
	s_and_b32 s24, s37, 3
	s_mov_b32 s23, 0
	s_cmp_eq_u32 s24, 0
	s_cbranch_scc1 .LBB19_875
; %bb.872:
	s_lshl_b32 s20, s22, 3
	s_mov_b32 s21, s23
	s_mul_u64 s[22:23], s[22:23], 12
	s_add_nc_u64 s[20:21], s[2:3], s[20:21]
	s_add_nc_u64 s[22:23], s[2:3], s[22:23]
	;; [unrolled: 1-line block ×3, first 2 shown]
.LBB19_873:                             ; =>This Inner Loop Header: Depth=1
	s_load_b96 s[48:50], s[22:23], 0x4
	s_load_b64 s[46:47], s[20:21], 0x0
	s_add_co_i32 s24, s24, -1
	s_wait_xcnt 0x0
	s_add_nc_u64 s[22:23], s[22:23], 12
	s_cmp_lg_u32 s24, 0
	s_add_nc_u64 s[20:21], s[20:21], 8
	s_wait_kmcnt 0x0
	v_mul_hi_u32 v4, s49, v1
	s_delay_alu instid0(VALU_DEP_1) | instskip(NEXT) | instid1(VALU_DEP_1)
	v_add_nc_u32_e32 v4, v1, v4
	v_lshrrev_b32_e32 v4, s50, v4
	s_delay_alu instid0(VALU_DEP_1) | instskip(NEXT) | instid1(VALU_DEP_1)
	v_mul_lo_u32 v5, v4, s48
	v_sub_nc_u32_e32 v1, v1, v5
	s_delay_alu instid0(VALU_DEP_1)
	v_mad_u32 v3, v1, s47, v3
	v_mad_u32 v2, v1, s46, v2
	v_mov_b32_e32 v1, v4
	s_cbranch_scc1 .LBB19_873
; %bb.874:
	s_delay_alu instid0(VALU_DEP_3)
	v_mov_b32_e32 v4, v3
.LBB19_875:
	s_mov_b32 s20, 0
.LBB19_876:
	s_delay_alu instid0(SALU_CYCLE_1)
	s_and_not1_b32 vcc_lo, exec_lo, s20
	s_cbranch_vccnz .LBB19_879
; %bb.877:
	s_wait_loadcnt 0x0
	v_mov_b32_e32 v1, 0
	s_and_not1_b32 vcc_lo, exec_lo, s35
	s_delay_alu instid0(VALU_DEP_1) | instskip(NEXT) | instid1(VALU_DEP_1)
	v_mul_u64_e32 v[2:3], s[16:17], v[0:1]
	v_add_nc_u32_e32 v2, v0, v3
	s_delay_alu instid0(VALU_DEP_1) | instskip(NEXT) | instid1(VALU_DEP_1)
	v_lshrrev_b32_e32 v6, s14, v2
	v_mul_lo_u32 v2, v6, s12
	s_delay_alu instid0(VALU_DEP_1) | instskip(NEXT) | instid1(VALU_DEP_1)
	v_sub_nc_u32_e32 v0, v0, v2
	v_mul_lo_u32 v4, v0, s9
	v_mul_lo_u32 v2, v0, s8
	s_cbranch_vccnz .LBB19_879
; %bb.878:
	v_mov_b32_e32 v7, v1
	s_delay_alu instid0(VALU_DEP_1) | instskip(NEXT) | instid1(VALU_DEP_1)
	v_mul_u64_e32 v[0:1], s[18:19], v[6:7]
	v_add_nc_u32_e32 v0, v6, v1
	s_delay_alu instid0(VALU_DEP_1) | instskip(NEXT) | instid1(VALU_DEP_1)
	v_lshrrev_b32_e32 v0, s1, v0
	v_mul_lo_u32 v0, v0, s15
	s_delay_alu instid0(VALU_DEP_1) | instskip(NEXT) | instid1(VALU_DEP_1)
	v_sub_nc_u32_e32 v0, v6, v0
	v_mad_u32 v2, v0, s10, v2
	v_mad_u32 v4, v0, s11, v4
.LBB19_879:
	v_mov_b32_e32 v5, 0
	s_and_b32 s1, 0xffff, s13
	s_delay_alu instid0(SALU_CYCLE_1) | instskip(NEXT) | instid1(VALU_DEP_1)
	s_cmp_lt_i32 s1, 11
	v_add_nc_u64_e32 v[4:5], s[6:7], v[4:5]
	s_cbranch_scc1 .LBB19_886
; %bb.880:
	s_cmp_gt_i32 s1, 25
	s_mov_b32 s7, 0
	s_cbranch_scc0 .LBB19_887
; %bb.881:
	s_cmp_gt_i32 s1, 28
	s_cbranch_scc0 .LBB19_888
; %bb.882:
	s_cmp_gt_i32 s1, 43
	;; [unrolled: 3-line block ×3, first 2 shown]
	s_cbranch_scc0 .LBB19_892
; %bb.884:
	s_cmp_eq_u32 s1, 46
	s_mov_b32 s9, 0
	s_cbranch_scc0 .LBB19_895
; %bb.885:
	global_load_b32 v0, v[4:5], off
	s_mov_b32 s6, 0
	s_mov_b32 s8, -1
	s_wait_loadcnt 0x0
	v_lshlrev_b32_e32 v1, 16, v0
	s_branch .LBB19_897
.LBB19_886:
	s_mov_b32 s1, -1
	s_mov_b32 s8, 0
	s_mov_b32 s7, 0
	;; [unrolled: 1-line block ×3, first 2 shown]
                                        ; implicit-def: $vgpr1
	s_branch .LBB19_960
.LBB19_887:
	s_mov_b32 s9, -1
	s_mov_b32 s8, 0
	s_mov_b32 s6, s0
                                        ; implicit-def: $vgpr1
	s_branch .LBB19_926
.LBB19_888:
	s_mov_b32 s9, -1
	s_mov_b32 s8, 0
	s_mov_b32 s6, s0
                                        ; implicit-def: $vgpr1
	s_branch .LBB19_907
.LBB19_889:
	s_mov_b32 s9, -1
	s_mov_b32 s8, 0
	s_mov_b32 s6, s0
                                        ; implicit-def: $vgpr1
	s_branch .LBB19_902
.LBB19_890:
	s_and_not1_saveexec_b32 s27, s27
	s_cbranch_execz .LBB19_768
.LBB19_891:
	v_add_f32_e64 v1, 0x46000000, |v4|
	s_and_not1_b32 s26, s26, exec_lo
	s_delay_alu instid0(VALU_DEP_1) | instskip(NEXT) | instid1(VALU_DEP_1)
	v_and_b32_e32 v1, 0xff, v1
	v_cmp_ne_u32_e32 vcc_lo, 0, v1
	s_and_b32 s46, vcc_lo, exec_lo
	s_delay_alu instid0(SALU_CYCLE_1)
	s_or_b32 s26, s26, s46
	s_or_b32 exec_lo, exec_lo, s27
	v_mov_b32_e32 v5, 0
	s_and_saveexec_b32 s27, s26
	s_cbranch_execnz .LBB19_769
	s_branch .LBB19_770
.LBB19_892:
	s_mov_b32 s9, -1
	s_mov_b32 s8, 0
	s_mov_b32 s6, s0
	s_branch .LBB19_896
.LBB19_893:
	s_and_not1_saveexec_b32 s27, s27
	s_cbranch_execz .LBB19_781
.LBB19_894:
	v_add_f32_e64 v1, 0x42800000, |v4|
	s_and_not1_b32 s26, s26, exec_lo
	s_delay_alu instid0(VALU_DEP_1) | instskip(NEXT) | instid1(VALU_DEP_1)
	v_and_b32_e32 v1, 0xff, v1
	v_cmp_ne_u32_e32 vcc_lo, 0, v1
	s_and_b32 s46, vcc_lo, exec_lo
	s_delay_alu instid0(SALU_CYCLE_1)
	s_or_b32 s26, s26, s46
	s_or_b32 exec_lo, exec_lo, s27
	v_mov_b32_e32 v5, 0
	s_and_saveexec_b32 s27, s26
	s_cbranch_execnz .LBB19_782
	s_branch .LBB19_783
.LBB19_895:
	s_mov_b32 s6, -1
	s_mov_b32 s8, 0
.LBB19_896:
                                        ; implicit-def: $vgpr1
.LBB19_897:
	s_and_b32 vcc_lo, exec_lo, s9
	s_cbranch_vccz .LBB19_901
; %bb.898:
	s_cmp_eq_u32 s1, 44
	s_cbranch_scc0 .LBB19_900
; %bb.899:
	global_load_u8 v0, v[4:5], off
	s_mov_b32 s6, 0
	s_mov_b32 s8, -1
	s_wait_loadcnt 0x0
	v_lshlrev_b32_e32 v1, 23, v0
	v_cmp_ne_u32_e32 vcc_lo, 0xff, v0
	s_delay_alu instid0(VALU_DEP_2) | instskip(SKIP_1) | instid1(VALU_DEP_2)
	v_cndmask_b32_e32 v1, 0x7f800001, v1, vcc_lo
	v_cmp_ne_u32_e32 vcc_lo, 0, v0
	v_cndmask_b32_e32 v1, 0x400000, v1, vcc_lo
	s_branch .LBB19_901
.LBB19_900:
	s_mov_b32 s6, -1
                                        ; implicit-def: $vgpr1
.LBB19_901:
	s_mov_b32 s9, 0
.LBB19_902:
	s_delay_alu instid0(SALU_CYCLE_1)
	s_and_b32 vcc_lo, exec_lo, s9
	s_cbranch_vccz .LBB19_906
; %bb.903:
	s_cmp_eq_u32 s1, 29
	s_cbranch_scc0 .LBB19_905
; %bb.904:
	s_wait_loadcnt 0x0
	global_load_b64 v[0:1], v[4:5], off
	s_mov_b32 s6, 0
	s_mov_b32 s8, -1
	s_mov_b32 s9, 0
	s_wait_loadcnt 0x0
	v_clz_i32_u32_e32 v3, v1
	s_delay_alu instid0(VALU_DEP_1) | instskip(NEXT) | instid1(VALU_DEP_1)
	v_min_u32_e32 v3, 32, v3
	v_lshlrev_b64_e32 v[0:1], v3, v[0:1]
	s_delay_alu instid0(VALU_DEP_1) | instskip(NEXT) | instid1(VALU_DEP_1)
	v_min_u32_e32 v0, 1, v0
	v_dual_sub_nc_u32 v1, 32, v3 :: v_dual_bitop2_b32 v0, v1, v0 bitop3:0x54
	s_delay_alu instid0(VALU_DEP_1) | instskip(NEXT) | instid1(VALU_DEP_1)
	v_cvt_f32_u32_e32 v0, v0
	v_ldexp_f32 v1, v0, v1
	s_branch .LBB19_907
.LBB19_905:
	s_mov_b32 s6, -1
                                        ; implicit-def: $vgpr1
.LBB19_906:
	s_mov_b32 s9, 0
.LBB19_907:
	s_delay_alu instid0(SALU_CYCLE_1)
	s_and_b32 vcc_lo, exec_lo, s9
	s_cbranch_vccz .LBB19_925
; %bb.908:
	s_cmp_lt_i32 s1, 27
	s_cbranch_scc1 .LBB19_911
; %bb.909:
	s_cmp_gt_i32 s1, 27
	s_cbranch_scc0 .LBB19_912
; %bb.910:
	global_load_b32 v0, v[4:5], off
	s_mov_b32 s8, 0
	s_wait_loadcnt 0x0
	v_cvt_f32_u32_e32 v1, v0
	s_branch .LBB19_913
.LBB19_911:
	s_mov_b32 s8, -1
                                        ; implicit-def: $vgpr1
	s_branch .LBB19_916
.LBB19_912:
	s_mov_b32 s8, -1
                                        ; implicit-def: $vgpr1
.LBB19_913:
	s_delay_alu instid0(SALU_CYCLE_1)
	s_and_not1_b32 vcc_lo, exec_lo, s8
	s_cbranch_vccnz .LBB19_915
; %bb.914:
	global_load_u16 v0, v[4:5], off
	s_wait_loadcnt 0x0
	v_cvt_f32_u32_e32 v1, v0
.LBB19_915:
	s_mov_b32 s8, 0
.LBB19_916:
	s_delay_alu instid0(SALU_CYCLE_1)
	s_and_not1_b32 vcc_lo, exec_lo, s8
	s_cbranch_vccnz .LBB19_924
; %bb.917:
	global_load_u8 v0, v[4:5], off
	s_mov_b32 s8, 0
	s_mov_b32 s9, exec_lo
	s_wait_loadcnt 0x0
	v_cmpx_lt_i16_e32 0x7f, v0
	s_xor_b32 s9, exec_lo, s9
	s_cbranch_execz .LBB19_938
; %bb.918:
	s_mov_b32 s8, -1
	s_mov_b32 s10, exec_lo
	v_cmpx_eq_u16_e32 0x80, v0
; %bb.919:
	s_xor_b32 s8, exec_lo, -1
; %bb.920:
	s_or_b32 exec_lo, exec_lo, s10
	s_delay_alu instid0(SALU_CYCLE_1)
	s_and_b32 s8, s8, exec_lo
	s_or_saveexec_b32 s9, s9
	v_mov_b32_e32 v1, 0x7f800001
	s_xor_b32 exec_lo, exec_lo, s9
	s_cbranch_execnz .LBB19_939
.LBB19_921:
	s_or_b32 exec_lo, exec_lo, s9
	s_and_saveexec_b32 s9, s8
	s_cbranch_execz .LBB19_923
.LBB19_922:
	v_and_b32_e32 v1, 0xffff, v0
	s_delay_alu instid0(VALU_DEP_1) | instskip(SKIP_1) | instid1(VALU_DEP_2)
	v_and_b32_e32 v3, 7, v1
	v_bfe_u32 v8, v1, 3, 4
	v_clz_i32_u32_e32 v6, v3
	s_delay_alu instid0(VALU_DEP_2) | instskip(NEXT) | instid1(VALU_DEP_2)
	v_cmp_eq_u32_e32 vcc_lo, 0, v8
	v_min_u32_e32 v6, 32, v6
	s_delay_alu instid0(VALU_DEP_1) | instskip(NEXT) | instid1(VALU_DEP_1)
	v_subrev_nc_u32_e32 v7, 28, v6
	v_dual_lshlrev_b32 v1, v7, v1 :: v_dual_sub_nc_u32 v6, 29, v6
	s_delay_alu instid0(VALU_DEP_1) | instskip(NEXT) | instid1(VALU_DEP_1)
	v_dual_lshlrev_b32 v0, 24, v0 :: v_dual_bitop2_b32 v1, 7, v1 bitop3:0x40
	v_dual_cndmask_b32 v6, v8, v6 :: v_dual_cndmask_b32 v1, v3, v1
	s_delay_alu instid0(VALU_DEP_2) | instskip(NEXT) | instid1(VALU_DEP_2)
	v_and_b32_e32 v0, 0x80000000, v0
	v_lshl_add_u32 v3, v6, 23, 0x3b800000
	s_delay_alu instid0(VALU_DEP_3) | instskip(NEXT) | instid1(VALU_DEP_1)
	v_lshlrev_b32_e32 v1, 20, v1
	v_or3_b32 v1, v0, v3, v1
.LBB19_923:
	s_or_b32 exec_lo, exec_lo, s9
.LBB19_924:
	s_mov_b32 s8, -1
.LBB19_925:
	s_mov_b32 s9, 0
.LBB19_926:
	s_delay_alu instid0(SALU_CYCLE_1)
	s_and_b32 vcc_lo, exec_lo, s9
	s_cbranch_vccz .LBB19_959
; %bb.927:
	s_cmp_gt_i32 s1, 22
	s_cbranch_scc0 .LBB19_937
; %bb.928:
	s_cmp_lt_i32 s1, 24
	s_cbranch_scc1 .LBB19_940
; %bb.929:
	s_cmp_gt_i32 s1, 24
	s_cbranch_scc0 .LBB19_941
; %bb.930:
	global_load_u8 v0, v[4:5], off
	s_mov_b32 s8, exec_lo
	s_wait_loadcnt 0x0
	v_cmpx_lt_i16_e32 0x7f, v0
	s_xor_b32 s8, exec_lo, s8
	s_cbranch_execz .LBB19_953
; %bb.931:
	s_mov_b32 s7, -1
	s_mov_b32 s9, exec_lo
	v_cmpx_eq_u16_e32 0x80, v0
; %bb.932:
	s_xor_b32 s7, exec_lo, -1
; %bb.933:
	s_or_b32 exec_lo, exec_lo, s9
	s_delay_alu instid0(SALU_CYCLE_1)
	s_and_b32 s7, s7, exec_lo
	s_or_saveexec_b32 s8, s8
	v_mov_b32_e32 v1, 0x7f800001
	s_xor_b32 exec_lo, exec_lo, s8
	s_cbranch_execnz .LBB19_954
.LBB19_934:
	s_or_b32 exec_lo, exec_lo, s8
	s_and_saveexec_b32 s8, s7
	s_cbranch_execz .LBB19_936
.LBB19_935:
	v_and_b32_e32 v1, 0xffff, v0
	s_delay_alu instid0(VALU_DEP_1) | instskip(SKIP_1) | instid1(VALU_DEP_2)
	v_and_b32_e32 v3, 3, v1
	v_bfe_u32 v8, v1, 2, 5
	v_clz_i32_u32_e32 v6, v3
	s_delay_alu instid0(VALU_DEP_2) | instskip(NEXT) | instid1(VALU_DEP_2)
	v_cmp_eq_u32_e32 vcc_lo, 0, v8
	v_min_u32_e32 v6, 32, v6
	s_delay_alu instid0(VALU_DEP_1) | instskip(NEXT) | instid1(VALU_DEP_1)
	v_subrev_nc_u32_e32 v7, 29, v6
	v_dual_lshlrev_b32 v1, v7, v1 :: v_dual_sub_nc_u32 v6, 30, v6
	s_delay_alu instid0(VALU_DEP_1) | instskip(NEXT) | instid1(VALU_DEP_1)
	v_dual_lshlrev_b32 v0, 24, v0 :: v_dual_bitop2_b32 v1, 3, v1 bitop3:0x40
	v_dual_cndmask_b32 v6, v8, v6 :: v_dual_cndmask_b32 v1, v3, v1
	s_delay_alu instid0(VALU_DEP_2) | instskip(NEXT) | instid1(VALU_DEP_2)
	v_and_b32_e32 v0, 0x80000000, v0
	v_lshl_add_u32 v3, v6, 23, 0x37800000
	s_delay_alu instid0(VALU_DEP_3) | instskip(NEXT) | instid1(VALU_DEP_1)
	v_lshlrev_b32_e32 v1, 21, v1
	v_or3_b32 v1, v0, v3, v1
.LBB19_936:
	s_or_b32 exec_lo, exec_lo, s8
	s_mov_b32 s7, 0
	s_branch .LBB19_942
.LBB19_937:
	s_mov_b32 s7, -1
                                        ; implicit-def: $vgpr1
	s_branch .LBB19_948
.LBB19_938:
	s_or_saveexec_b32 s9, s9
	v_mov_b32_e32 v1, 0x7f800001
	s_xor_b32 exec_lo, exec_lo, s9
	s_cbranch_execz .LBB19_921
.LBB19_939:
	v_cmp_ne_u16_e32 vcc_lo, 0, v0
	v_mov_b32_e32 v1, 0
	s_and_not1_b32 s8, s8, exec_lo
	s_and_b32 s10, vcc_lo, exec_lo
	s_delay_alu instid0(SALU_CYCLE_1)
	s_or_b32 s8, s8, s10
	s_or_b32 exec_lo, exec_lo, s9
	s_and_saveexec_b32 s9, s8
	s_cbranch_execnz .LBB19_922
	s_branch .LBB19_923
.LBB19_940:
	s_mov_b32 s7, -1
                                        ; implicit-def: $vgpr1
	s_branch .LBB19_945
.LBB19_941:
	s_mov_b32 s7, -1
                                        ; implicit-def: $vgpr1
.LBB19_942:
	s_delay_alu instid0(SALU_CYCLE_1)
	s_and_b32 vcc_lo, exec_lo, s7
	s_cbranch_vccz .LBB19_944
; %bb.943:
	global_load_u8 v0, v[4:5], off
	s_wait_loadcnt 0x0
	v_lshlrev_b32_e32 v0, 24, v0
	s_delay_alu instid0(VALU_DEP_1) | instskip(NEXT) | instid1(VALU_DEP_1)
	v_and_b32_e32 v1, 0x7f000000, v0
	v_clz_i32_u32_e32 v3, v1
	v_add_nc_u32_e32 v7, 0x1000000, v1
	v_cmp_ne_u32_e32 vcc_lo, 0, v1
	s_delay_alu instid0(VALU_DEP_3) | instskip(NEXT) | instid1(VALU_DEP_1)
	v_min_u32_e32 v3, 32, v3
	v_sub_nc_u32_e64 v3, v3, 4 clamp
	s_delay_alu instid0(VALU_DEP_1) | instskip(NEXT) | instid1(VALU_DEP_1)
	v_dual_lshlrev_b32 v6, v3, v1 :: v_dual_lshlrev_b32 v3, 23, v3
	v_lshrrev_b32_e32 v6, 4, v6
	s_delay_alu instid0(VALU_DEP_1) | instskip(SKIP_1) | instid1(VALU_DEP_2)
	v_sub_nc_u32_e32 v3, v6, v3
	v_ashrrev_i32_e32 v6, 8, v7
	v_add_nc_u32_e32 v3, 0x3c000000, v3
	s_delay_alu instid0(VALU_DEP_1) | instskip(NEXT) | instid1(VALU_DEP_1)
	v_and_or_b32 v3, 0x7f800000, v6, v3
	v_cndmask_b32_e32 v1, 0, v3, vcc_lo
	s_delay_alu instid0(VALU_DEP_1)
	v_and_or_b32 v1, 0x80000000, v0, v1
.LBB19_944:
	s_mov_b32 s7, 0
.LBB19_945:
	s_delay_alu instid0(SALU_CYCLE_1)
	s_and_not1_b32 vcc_lo, exec_lo, s7
	s_cbranch_vccnz .LBB19_947
; %bb.946:
	global_load_u8 v0, v[4:5], off
	s_wait_loadcnt 0x0
	v_lshlrev_b32_e32 v1, 25, v0
	v_lshlrev_b16 v0, 8, v0
	s_delay_alu instid0(VALU_DEP_1) | instskip(SKIP_1) | instid1(VALU_DEP_2)
	v_and_or_b32 v6, 0x7f00, v0, 0.5
	v_bfe_i32 v0, v0, 0, 16
	v_dual_add_f32 v6, -0.5, v6 :: v_dual_lshrrev_b32 v3, 4, v1
	v_cmp_gt_u32_e32 vcc_lo, 0x8000000, v1
	s_delay_alu instid0(VALU_DEP_2) | instskip(NEXT) | instid1(VALU_DEP_1)
	v_or_b32_e32 v3, 0x70000000, v3
	v_mul_f32_e32 v3, 0x7800000, v3
	s_delay_alu instid0(VALU_DEP_1) | instskip(NEXT) | instid1(VALU_DEP_1)
	v_cndmask_b32_e32 v1, v3, v6, vcc_lo
	v_and_or_b32 v1, 0x80000000, v0, v1
.LBB19_947:
	s_mov_b32 s7, 0
	s_mov_b32 s8, -1
.LBB19_948:
	s_and_not1_b32 vcc_lo, exec_lo, s7
	s_mov_b32 s7, 0
	s_cbranch_vccnz .LBB19_959
; %bb.949:
	s_cmp_gt_i32 s1, 14
	s_cbranch_scc0 .LBB19_952
; %bb.950:
	s_cmp_eq_u32 s1, 15
	s_cbranch_scc0 .LBB19_955
; %bb.951:
	global_load_u16 v0, v[4:5], off
	s_mov_b32 s6, 0
	s_mov_b32 s8, -1
	s_wait_loadcnt 0x0
	v_lshlrev_b32_e32 v1, 16, v0
	s_branch .LBB19_957
.LBB19_952:
	s_mov_b32 s7, -1
	s_branch .LBB19_956
.LBB19_953:
	s_or_saveexec_b32 s8, s8
	v_mov_b32_e32 v1, 0x7f800001
	s_xor_b32 exec_lo, exec_lo, s8
	s_cbranch_execz .LBB19_934
.LBB19_954:
	v_cmp_ne_u16_e32 vcc_lo, 0, v0
	v_mov_b32_e32 v1, 0
	s_and_not1_b32 s7, s7, exec_lo
	s_and_b32 s9, vcc_lo, exec_lo
	s_delay_alu instid0(SALU_CYCLE_1)
	s_or_b32 s7, s7, s9
	s_or_b32 exec_lo, exec_lo, s8
	s_and_saveexec_b32 s8, s7
	s_cbranch_execnz .LBB19_935
	s_branch .LBB19_936
.LBB19_955:
	s_mov_b32 s6, -1
.LBB19_956:
                                        ; implicit-def: $vgpr1
.LBB19_957:
	s_and_b32 vcc_lo, exec_lo, s7
	s_mov_b32 s7, 0
	s_cbranch_vccz .LBB19_959
; %bb.958:
	s_cmp_lg_u32 s1, 11
	s_mov_b32 s7, -1
	s_cselect_b32 s1, -1, 0
	s_and_not1_b32 s6, s6, exec_lo
	s_and_b32 s1, s1, exec_lo
	s_delay_alu instid0(SALU_CYCLE_1)
	s_or_b32 s6, s6, s1
.LBB19_959:
	s_mov_b32 s1, 0
.LBB19_960:
	s_delay_alu instid0(SALU_CYCLE_1)
	s_and_b32 s23, s1, exec_lo
	s_and_not1_b32 s1, s0, exec_lo
	s_and_b32 s6, s6, exec_lo
	s_and_b32 s24, s8, exec_lo
	;; [unrolled: 1-line block ×3, first 2 shown]
	s_or_b32 s25, s1, s6
.LBB19_961:
	s_wait_xcnt 0x0
	s_or_b32 exec_lo, exec_lo, s36
	s_delay_alu instid0(SALU_CYCLE_1)
	s_and_not1_b32 s0, s0, exec_lo
	s_and_b32 s1, s25, exec_lo
	s_and_b32 s24, s24, exec_lo
	;; [unrolled: 1-line block ×4, first 2 shown]
	s_or_b32 s0, s0, s1
.LBB19_962:
	s_or_b32 exec_lo, exec_lo, s27
	s_delay_alu instid0(SALU_CYCLE_1)
	s_and_not1_b32 s1, s43, exec_lo
	s_and_b32 s6, s26, exec_lo
	s_and_b32 s0, s0, exec_lo
	s_or_b32 s43, s1, s6
	s_and_not1_b32 s1, s42, exec_lo
	s_and_b32 s24, s24, exec_lo
	s_and_b32 s23, s23, exec_lo
	;; [unrolled: 1-line block ×3, first 2 shown]
	s_or_b32 s42, s1, s0
.LBB19_963:
	s_or_b32 exec_lo, exec_lo, s44
	s_delay_alu instid0(SALU_CYCLE_1)
	s_and_not1_b32 s0, s39, exec_lo
	s_and_b32 s1, s43, exec_lo
	s_and_b32 s6, s42, exec_lo
	s_or_b32 s39, s0, s1
	s_and_not1_b32 s1, s40, exec_lo
	s_and_b32 s0, s24, exec_lo
	s_and_b32 s23, s23, exec_lo
	;; [unrolled: 1-line block ×3, first 2 shown]
	s_or_b32 s40, s1, s6
	s_or_b32 exec_lo, exec_lo, s41
	s_mov_b32 s1, 0
	s_and_saveexec_b32 s6, s40
	s_cbranch_execz .LBB19_288
.LBB19_964:
	s_mov_b32 s1, exec_lo
	s_and_not1_b32 s17, s17, exec_lo
	s_trap 2
	s_or_b32 exec_lo, exec_lo, s6
	s_and_saveexec_b32 s6, s17
	s_delay_alu instid0(SALU_CYCLE_1)
	s_xor_b32 s6, exec_lo, s6
	s_cbranch_execnz .LBB19_289
.LBB19_965:
	s_or_b32 exec_lo, exec_lo, s6
	s_and_saveexec_b32 s6, s23
	s_cbranch_execz .LBB19_1011
.LBB19_966:
	s_sext_i32_i16 s7, s13
	s_delay_alu instid0(SALU_CYCLE_1)
	s_cmp_lt_i32 s7, 5
	s_cbranch_scc1 .LBB19_971
; %bb.967:
	s_cmp_lt_i32 s7, 8
	s_cbranch_scc1 .LBB19_972
; %bb.968:
	;; [unrolled: 3-line block ×3, first 2 shown]
	s_cmp_gt_i32 s7, 9
	s_cbranch_scc0 .LBB19_974
; %bb.970:
	s_wait_loadcnt 0x0
	global_load_b64 v[0:1], v[4:5], off
	s_mov_b32 s7, 0
	s_wait_loadcnt 0x0
	v_cvt_f32_f64_e32 v1, v[0:1]
	s_branch .LBB19_975
.LBB19_971:
                                        ; implicit-def: $vgpr1
	s_branch .LBB19_992
.LBB19_972:
                                        ; implicit-def: $vgpr1
	s_branch .LBB19_981
.LBB19_973:
	s_mov_b32 s7, -1
                                        ; implicit-def: $vgpr1
	s_branch .LBB19_978
.LBB19_974:
	s_mov_b32 s7, -1
                                        ; implicit-def: $vgpr1
.LBB19_975:
	s_delay_alu instid0(SALU_CYCLE_1)
	s_and_not1_b32 vcc_lo, exec_lo, s7
	s_cbranch_vccnz .LBB19_977
; %bb.976:
	s_wait_loadcnt 0x0
	global_load_b32 v1, v[4:5], off
.LBB19_977:
	s_mov_b32 s7, 0
.LBB19_978:
	s_delay_alu instid0(SALU_CYCLE_1)
	s_and_not1_b32 vcc_lo, exec_lo, s7
	s_cbranch_vccnz .LBB19_980
; %bb.979:
	global_load_b32 v0, v[4:5], off
	s_wait_loadcnt 0x0
	v_cvt_f32_f16_e32 v1, v0
.LBB19_980:
	s_cbranch_execnz .LBB19_991
.LBB19_981:
	s_sext_i32_i16 s7, s13
	s_delay_alu instid0(SALU_CYCLE_1)
	s_cmp_lt_i32 s7, 6
	s_cbranch_scc1 .LBB19_984
; %bb.982:
	s_cmp_gt_i32 s7, 6
	s_cbranch_scc0 .LBB19_985
; %bb.983:
	s_wait_loadcnt 0x0
	global_load_b64 v[0:1], v[4:5], off
	s_mov_b32 s7, 0
	s_wait_loadcnt 0x0
	v_cvt_f32_f64_e32 v1, v[0:1]
	s_branch .LBB19_986
.LBB19_984:
	s_mov_b32 s7, -1
                                        ; implicit-def: $vgpr1
	s_branch .LBB19_989
.LBB19_985:
	s_mov_b32 s7, -1
                                        ; implicit-def: $vgpr1
.LBB19_986:
	s_delay_alu instid0(SALU_CYCLE_1)
	s_and_not1_b32 vcc_lo, exec_lo, s7
	s_cbranch_vccnz .LBB19_988
; %bb.987:
	s_wait_loadcnt 0x0
	global_load_b32 v1, v[4:5], off
.LBB19_988:
	s_mov_b32 s7, 0
.LBB19_989:
	s_delay_alu instid0(SALU_CYCLE_1)
	s_and_not1_b32 vcc_lo, exec_lo, s7
	s_cbranch_vccnz .LBB19_991
; %bb.990:
	global_load_u16 v0, v[4:5], off
	s_wait_loadcnt 0x0
	v_cvt_f32_f16_e32 v1, v0
.LBB19_991:
	s_cbranch_execnz .LBB19_1010
.LBB19_992:
	s_sext_i32_i16 s7, s13
	s_delay_alu instid0(SALU_CYCLE_1)
	s_cmp_lt_i32 s7, 2
	s_cbranch_scc1 .LBB19_996
; %bb.993:
	s_cmp_lt_i32 s7, 3
	s_cbranch_scc1 .LBB19_997
; %bb.994:
	s_cmp_gt_i32 s7, 3
	s_cbranch_scc0 .LBB19_998
; %bb.995:
	s_wait_loadcnt 0x0
	global_load_b64 v[0:1], v[4:5], off
	s_mov_b32 s7, 0
	s_wait_loadcnt 0x0
	v_xor_b32_e32 v3, v0, v1
	v_cls_i32_e32 v6, v1
	s_delay_alu instid0(VALU_DEP_2) | instskip(NEXT) | instid1(VALU_DEP_1)
	v_ashrrev_i32_e32 v3, 31, v3
	v_add_nc_u32_e32 v3, 32, v3
	s_delay_alu instid0(VALU_DEP_1) | instskip(NEXT) | instid1(VALU_DEP_1)
	v_add_min_u32_e64 v3, v6, -1, v3
	v_lshlrev_b64_e32 v[0:1], v3, v[0:1]
	s_delay_alu instid0(VALU_DEP_1) | instskip(NEXT) | instid1(VALU_DEP_1)
	v_min_u32_e32 v0, 1, v0
	v_dual_sub_nc_u32 v1, 32, v3 :: v_dual_bitop2_b32 v0, v1, v0 bitop3:0x54
	s_delay_alu instid0(VALU_DEP_1) | instskip(NEXT) | instid1(VALU_DEP_1)
	v_cvt_f32_i32_e32 v0, v0
	v_ldexp_f32 v1, v0, v1
	s_branch .LBB19_999
.LBB19_996:
                                        ; implicit-def: $vgpr1
	s_branch .LBB19_1005
.LBB19_997:
	s_mov_b32 s7, -1
                                        ; implicit-def: $vgpr1
	s_branch .LBB19_1002
.LBB19_998:
	s_mov_b32 s7, -1
                                        ; implicit-def: $vgpr1
.LBB19_999:
	s_delay_alu instid0(SALU_CYCLE_1)
	s_and_not1_b32 vcc_lo, exec_lo, s7
	s_cbranch_vccnz .LBB19_1001
; %bb.1000:
	global_load_b32 v0, v[4:5], off
	s_wait_loadcnt 0x0
	v_cvt_f32_i32_e32 v1, v0
.LBB19_1001:
	s_mov_b32 s7, 0
.LBB19_1002:
	s_delay_alu instid0(SALU_CYCLE_1)
	s_and_not1_b32 vcc_lo, exec_lo, s7
	s_cbranch_vccnz .LBB19_1004
; %bb.1003:
	global_load_i16 v0, v[4:5], off
	s_wait_loadcnt 0x0
	v_cvt_f32_i32_e32 v1, v0
.LBB19_1004:
	s_cbranch_execnz .LBB19_1010
.LBB19_1005:
	s_sext_i32_i16 s7, s13
	s_delay_alu instid0(SALU_CYCLE_1)
	s_cmp_gt_i32 s7, 0
	s_mov_b32 s7, 0
	s_cbranch_scc0 .LBB19_1007
; %bb.1006:
	global_load_i8 v0, v[4:5], off
	s_wait_loadcnt 0x0
	v_cvt_f32_i32_e32 v1, v0
	s_branch .LBB19_1008
.LBB19_1007:
	s_mov_b32 s7, -1
                                        ; implicit-def: $vgpr1
.LBB19_1008:
	s_delay_alu instid0(SALU_CYCLE_1)
	s_and_not1_b32 vcc_lo, exec_lo, s7
	s_cbranch_vccnz .LBB19_1010
; %bb.1009:
	global_load_u8 v0, v[4:5], off
	s_wait_loadcnt 0x0
	v_cvt_f32_ubyte0_e32 v1, v0
.LBB19_1010:
	s_or_b32 s0, s0, exec_lo
.LBB19_1011:
	s_wait_xcnt 0x0
	s_or_b32 exec_lo, exec_lo, s6
	s_mov_b32 s9, 0
	s_mov_b32 s8, 0
                                        ; implicit-def: $sgpr7
                                        ; implicit-def: $vgpr4_vgpr5
                                        ; implicit-def: $vgpr0
	s_and_saveexec_b32 s6, s0
	s_cbranch_execz .LBB19_1031
; %bb.1012:
	s_wait_loadcnt 0x0
	s_delay_alu instid0(VALU_DEP_1)
	v_mul_f32_e64 v3, 0x3fb8aa3b, |v1|
	s_mov_b32 s7, exec_lo
                                        ; implicit-def: $vgpr0
	v_cmpx_ge_f32_e64 0x41000000, |v1|
	s_xor_b32 s7, exec_lo, s7
	s_cbranch_execz .LBB19_1018
; %bb.1013:
	v_fma_f32 v0, |v1|, 0.5, -2.0
	s_mov_b32 s0, 0x224cf950
	v_rndne_f32_e32 v6, v3
	v_fma_f32 v7, 0x3fb8aa3b, |v1|, -v3
	v_cmp_ngt_f32_e64 vcc_lo, 0xc2ce8ed0, |v1|
	v_fmaak_f32 v4, s0, v0, 0xa3c2be86
	v_cmp_nlt_f32_e64 s0, 0x42b17218, |v1|
	v_sub_f32_e32 v3, v3, v6
	v_fma_f32 v7, 0x32a5705f, |v1|, v7
	s_delay_alu instid0(VALU_DEP_4) | instskip(NEXT) | instid1(VALU_DEP_2)
	v_fmaak_f32 v5, v0, v4, 0xa24cf950
	v_add_f32_e32 v3, v3, v7
	s_delay_alu instid0(VALU_DEP_2) | instskip(NEXT) | instid1(VALU_DEP_2)
	v_add_f32_e32 v5, 0x25331f1f, v5
	v_exp_f32_e32 v3, v3
	s_delay_alu instid0(VALU_DEP_1) | instskip(NEXT) | instid1(VALU_DEP_1)
	v_fma_f32 v4, v0, v5, -v4
	v_add_f32_e32 v4, 0xa69f5554, v4
	s_delay_alu instid0(VALU_DEP_1) | instskip(NEXT) | instid1(VALU_DEP_1)
	v_fma_f32 v5, v0, v4, -v5
	v_add_f32_e32 v5, 0x2808ebf8, v5
	;; [unrolled: 3-line block ×25, first 2 shown]
	s_delay_alu instid0(VALU_DEP_1) | instskip(SKIP_1) | instid1(VALU_DEP_2)
	v_fma_f32 v0, v0, v4, -v5
	v_cvt_i32_f32_e32 v4, v6
	v_add_f32_e32 v0, 0x3e81531c, v0
	s_delay_alu instid0(VALU_DEP_2) | instskip(NEXT) | instid1(VALU_DEP_1)
	v_ldexp_f32 v3, v3, v4
	v_dual_sub_f32 v0, v0, v5 :: v_dual_cndmask_b32 v4, 0, v3, vcc_lo
	v_cmp_ngt_f32_e32 vcc_lo, 0, v1
	s_delay_alu instid0(VALU_DEP_2) | instskip(NEXT) | instid1(VALU_DEP_1)
	v_mul_f32_e32 v0, 0.5, v0
	v_mul_f32_e64 v3, |v1|, v0
	s_delay_alu instid0(VALU_DEP_4) | instskip(SKIP_1) | instid1(SALU_CYCLE_1)
	v_cndmask_b32_e64 v1, 0x7f800000, v4, s0
                                        ; implicit-def: $vgpr0
	s_and_saveexec_b32 s0, vcc_lo
	s_xor_b32 s0, exec_lo, s0
; %bb.1014:
	s_delay_alu instid0(VALU_DEP_1)
	v_mul_f32_e32 v0, v1, v3
                                        ; implicit-def: $vgpr1
                                        ; implicit-def: $vgpr3
; %bb.1015:
	s_and_not1_saveexec_b32 s0, s0
; %bb.1016:
	v_mul_f32_e64 v0, v3, -v1
; %bb.1017:
	s_or_b32 exec_lo, exec_lo, s0
                                        ; implicit-def: $vgpr1
                                        ; implicit-def: $vgpr3
.LBB19_1018:
	s_and_not1_saveexec_b32 s7, s7
	s_cbranch_execz .LBB19_1024
; %bb.1019:
	v_and_b32_e32 v0, 0x7fffffff, v1
	s_mov_b32 s0, 0x230aab6e
	s_delay_alu instid0(VALU_DEP_1) | instskip(SKIP_1) | instid1(VALU_DEP_2)
	v_div_scale_f32 v4, null, v0, v0, 0x42000000
	v_div_scale_f32 v0, vcc_lo, 0x42000000, v0, 0x42000000
	v_rcp_f32_e32 v5, v4
	v_nop
	s_delay_alu instid0(TRANS32_DEP_1) | instskip(NEXT) | instid1(VALU_DEP_1)
	v_fma_f32 v6, -v4, v5, 1.0
	v_fmac_f32_e32 v5, v6, v5
	s_delay_alu instid0(VALU_DEP_1) | instskip(NEXT) | instid1(VALU_DEP_1)
	v_mul_f32_e32 v6, v0, v5
	v_fma_f32 v7, -v4, v6, v0
	s_delay_alu instid0(VALU_DEP_1) | instskip(SKIP_1) | instid1(VALU_DEP_2)
	v_fmac_f32_e32 v6, v7, v5
	v_fma_f32 v7, 0x3fb8aa3b, |v1|, -v3
	v_fma_f32 v0, -v4, v6, v0
	s_delay_alu instid0(VALU_DEP_2) | instskip(NEXT) | instid1(VALU_DEP_2)
	v_fma_f32 v7, 0x32a5705f, |v1|, v7
	v_div_fmas_f32 v0, v0, v5, v6
	v_rndne_f32_e32 v6, v3
	v_cmp_ngt_f32_e64 vcc_lo, 0xc2ce8ed0, |v1|
	s_delay_alu instid0(VALU_DEP_3) | instskip(NEXT) | instid1(VALU_DEP_3)
	v_div_fixup_f32 v0, v0, |v1|, 0x42000000
	v_sub_f32_e32 v3, v3, v6
	v_cvt_i32_f32_e32 v6, v6
	s_delay_alu instid0(VALU_DEP_2) | instskip(NEXT) | instid1(VALU_DEP_1)
	v_dual_add_f32 v0, -2.0, v0 :: v_dual_add_f32 v3, v3, v7
	v_fmaak_f32 v4, s0, v0, 0x22a2dc57
	v_cmp_nlt_f32_e64 s0, 0x42b17218, |v1|
	s_delay_alu instid0(VALU_DEP_3) | instskip(NEXT) | instid1(VALU_DEP_2)
	v_exp_f32_e32 v3, v3
	v_fmaak_f32 v5, v0, v4, 0xa30aab6e
	s_delay_alu instid0(TRANS32_DEP_1) | instskip(NEXT) | instid1(VALU_DEP_2)
	v_ldexp_f32 v3, v3, v6
	v_add_f32_e32 v5, 0xa456751e, v5
	s_delay_alu instid0(VALU_DEP_1) | instskip(NEXT) | instid1(VALU_DEP_1)
	v_dual_cndmask_b32 v3, 0, v3, vcc_lo :: v_dual_fma_f32 v4, v0, v5, -v4
	v_cndmask_b32_e64 v3, 0x7f800000, v3, s0
	s_delay_alu instid0(VALU_DEP_2) | instskip(SKIP_1) | instid1(VALU_DEP_1)
	v_add_f32_e32 v4, 0xa4140365, v4
	s_mov_b32 s0, exec_lo
	v_fma_f32 v5, v0, v4, -v5
	s_delay_alu instid0(VALU_DEP_1) | instskip(NEXT) | instid1(VALU_DEP_1)
	v_add_f32_e32 v5, 0x25aac8b0, v5
	v_fma_f32 v4, v0, v5, -v4
	s_delay_alu instid0(VALU_DEP_1) | instskip(NEXT) | instid1(VALU_DEP_1)
	v_add_f32_e32 v4, 0x25beb473, v4
	;; [unrolled: 3-line block ×21, first 2 shown]
	v_sub_f32_e32 v4, v0, v5
                                        ; implicit-def: $vgpr0
	v_cmpx_ngt_f32_e32 0, v1
	s_xor_b32 s8, exec_lo, s0
	s_cbranch_execz .LBB19_1021
; %bb.1020:
	v_mul_f32_e64 v0, 0x4f800000, |v1|
	v_cmp_gt_f32_e64 vcc_lo, 0xf800000, |v1|
	v_mul_f32_e32 v4, 0.5, v4
	s_delay_alu instid0(VALU_DEP_2) | instskip(NEXT) | instid1(VALU_DEP_2)
	v_cndmask_b32_e64 v0, |v1|, v0, vcc_lo
	v_mul_f32_e32 v3, v3, v4
	s_delay_alu instid0(VALU_DEP_2) | instskip(SKIP_1) | instid1(TRANS32_DEP_1)
	v_sqrt_f32_e32 v1, v0
	v_nop
	v_dual_add_nc_u32 v5, -1, v1 :: v_dual_add_nc_u32 v6, 1, v1
	s_delay_alu instid0(VALU_DEP_1) | instskip(NEXT) | instid1(VALU_DEP_1)
	v_dual_fma_f32 v7, -v5, v1, v0 :: v_dual_fma_f32 v8, -v6, v1, v0
	v_cmp_ge_f32_e64 s0, 0, v7
	s_delay_alu instid0(VALU_DEP_1) | instskip(NEXT) | instid1(VALU_DEP_3)
	v_cndmask_b32_e64 v1, v1, v5, s0
	v_cmp_lt_f32_e64 s0, 0, v8
	s_delay_alu instid0(VALU_DEP_1) | instskip(NEXT) | instid1(VALU_DEP_1)
	v_cndmask_b32_e64 v1, v1, v6, s0
	v_mul_f32_e32 v5, 0x37800000, v1
	s_delay_alu instid0(VALU_DEP_1) | instskip(SKIP_1) | instid1(VALU_DEP_2)
	v_cndmask_b32_e32 v1, v1, v5, vcc_lo
	v_cmp_class_f32_e64 vcc_lo, v0, 0x260
	v_cndmask_b32_e32 v0, v1, v0, vcc_lo
	s_delay_alu instid0(VALU_DEP_1) | instskip(NEXT) | instid1(VALU_DEP_1)
	v_div_scale_f32 v1, null, v0, v0, v3
	v_rcp_f32_e32 v4, v1
	v_nop
	s_delay_alu instid0(TRANS32_DEP_1) | instskip(NEXT) | instid1(VALU_DEP_1)
	v_fma_f32 v5, -v1, v4, 1.0
	v_fmac_f32_e32 v4, v5, v4
	v_div_scale_f32 v5, vcc_lo, v3, v0, v3
	s_delay_alu instid0(VALU_DEP_1) | instskip(NEXT) | instid1(VALU_DEP_1)
	v_mul_f32_e32 v6, v5, v4
	v_fma_f32 v7, -v1, v6, v5
	s_delay_alu instid0(VALU_DEP_1) | instskip(NEXT) | instid1(VALU_DEP_1)
	v_fmac_f32_e32 v6, v7, v4
	v_fma_f32 v1, -v1, v6, v5
	s_delay_alu instid0(VALU_DEP_1) | instskip(NEXT) | instid1(VALU_DEP_1)
	v_div_fmas_f32 v1, v1, v4, v6
                                        ; implicit-def: $vgpr4
	v_div_fixup_f32 v0, v1, v0, v3
                                        ; implicit-def: $vgpr1
                                        ; implicit-def: $vgpr3
.LBB19_1021:
	s_and_not1_saveexec_b32 s8, s8
	s_cbranch_execz .LBB19_1023
; %bb.1022:
	v_mul_f32_e64 v0, 0x4f800000, |v1|
	v_cmp_gt_f32_e64 vcc_lo, 0xf800000, |v1|
	v_mul_f32_e32 v4, -0.5, v4
	s_delay_alu instid0(VALU_DEP_2) | instskip(NEXT) | instid1(VALU_DEP_2)
	v_cndmask_b32_e64 v0, |v1|, v0, vcc_lo
	v_mul_f32_e32 v3, v3, v4
	s_delay_alu instid0(VALU_DEP_2) | instskip(SKIP_1) | instid1(TRANS32_DEP_1)
	v_sqrt_f32_e32 v1, v0
	v_nop
	v_dual_add_nc_u32 v5, -1, v1 :: v_dual_add_nc_u32 v6, 1, v1
	s_delay_alu instid0(VALU_DEP_1) | instskip(NEXT) | instid1(VALU_DEP_1)
	v_dual_fma_f32 v7, -v5, v1, v0 :: v_dual_fma_f32 v8, -v6, v1, v0
	v_cmp_ge_f32_e64 s0, 0, v7
	s_delay_alu instid0(VALU_DEP_1) | instskip(NEXT) | instid1(VALU_DEP_3)
	v_cndmask_b32_e64 v1, v1, v5, s0
	v_cmp_lt_f32_e64 s0, 0, v8
	s_delay_alu instid0(VALU_DEP_1) | instskip(NEXT) | instid1(VALU_DEP_1)
	v_cndmask_b32_e64 v1, v1, v6, s0
	v_mul_f32_e32 v5, 0x37800000, v1
	s_delay_alu instid0(VALU_DEP_1) | instskip(SKIP_1) | instid1(VALU_DEP_2)
	v_cndmask_b32_e32 v1, v1, v5, vcc_lo
	v_cmp_class_f32_e64 vcc_lo, v0, 0x260
	v_cndmask_b32_e32 v0, v1, v0, vcc_lo
	s_delay_alu instid0(VALU_DEP_1) | instskip(NEXT) | instid1(VALU_DEP_1)
	v_div_scale_f32 v1, null, v0, v0, v3
	v_rcp_f32_e32 v4, v1
	v_nop
	s_delay_alu instid0(TRANS32_DEP_1) | instskip(NEXT) | instid1(VALU_DEP_1)
	v_fma_f32 v5, -v1, v4, 1.0
	v_fmac_f32_e32 v4, v5, v4
	v_div_scale_f32 v5, vcc_lo, v3, v0, v3
	s_delay_alu instid0(VALU_DEP_1) | instskip(NEXT) | instid1(VALU_DEP_1)
	v_mul_f32_e32 v6, v5, v4
	v_fma_f32 v7, -v1, v6, v5
	s_delay_alu instid0(VALU_DEP_1) | instskip(NEXT) | instid1(VALU_DEP_1)
	v_fmac_f32_e32 v6, v7, v4
	v_fma_f32 v1, -v1, v6, v5
	s_delay_alu instid0(VALU_DEP_1) | instskip(NEXT) | instid1(VALU_DEP_1)
	v_div_fmas_f32 v1, v1, v4, v6
	v_div_fixup_f32 v0, v1, v0, v3
.LBB19_1023:
	s_or_b32 exec_lo, exec_lo, s8
.LBB19_1024:
	s_delay_alu instid0(SALU_CYCLE_1) | instskip(SKIP_2) | instid1(SALU_CYCLE_1)
	s_or_b32 exec_lo, exec_lo, s7
	v_mov_b32_e32 v3, 0
	s_and_b32 s7, s34, 0xff
	s_cmp_lt_i32 s7, 11
	s_delay_alu instid0(VALU_DEP_1)
	v_add_nc_u64_e32 v[4:5], s[4:5], v[2:3]
	s_cbranch_scc1 .LBB19_1034
; %bb.1025:
	s_and_b32 s4, 0xffff, s7
	s_mov_b32 s5, -1
	s_cmp_gt_i32 s4, 25
	s_mov_b32 s0, s39
	s_cbranch_scc0 .LBB19_1062
; %bb.1026:
	s_cmp_gt_i32 s4, 28
	s_mov_b32 s0, s39
	s_cbranch_scc0 .LBB19_1046
; %bb.1027:
	;; [unrolled: 4-line block ×4, first 2 shown]
	s_cmp_eq_u32 s4, 46
	s_mov_b32 s0, -1
	s_cbranch_scc0 .LBB19_1035
; %bb.1030:
	v_bfe_u32 v1, v0, 16, 1
	v_cmp_o_f32_e32 vcc_lo, v0, v0
	s_mov_b32 s0, 0
	s_mov_b32 s5, 0
	s_delay_alu instid0(VALU_DEP_2) | instskip(NEXT) | instid1(VALU_DEP_1)
	v_add3_u32 v1, v0, v1, 0x7fff
	v_lshrrev_b32_e32 v1, 16, v1
	s_delay_alu instid0(VALU_DEP_1)
	v_cndmask_b32_e32 v1, 0x7fc0, v1, vcc_lo
	global_store_b32 v[4:5], v1, off
	s_branch .LBB19_1036
.LBB19_1031:
	s_or_b32 exec_lo, exec_lo, s6
	s_and_saveexec_b32 s0, s39
	s_cbranch_execnz .LBB19_1104
.LBB19_1032:
	s_or_b32 exec_lo, exec_lo, s0
	s_and_saveexec_b32 s0, s9
	s_delay_alu instid0(SALU_CYCLE_1)
	s_xor_b32 s0, exec_lo, s0
	s_cbranch_execz .LBB19_1105
.LBB19_1033:
	v_cmp_neq_f32_e32 vcc_lo, 0, v0
	s_wait_loadcnt 0x0
	v_cndmask_b32_e64 v1, 0, 1, vcc_lo
	global_store_b8 v[4:5], v1, off
	s_wait_xcnt 0x0
	s_or_b32 exec_lo, exec_lo, s0
	s_and_saveexec_b32 s0, s8
	s_delay_alu instid0(SALU_CYCLE_1)
	s_xor_b32 s0, exec_lo, s0
	s_cbranch_execz .LBB19_1143
	s_branch .LBB19_1106
.LBB19_1034:
	s_mov_b32 s5, -1
	s_mov_b32 s0, s39
	s_branch .LBB19_1103
.LBB19_1035:
	s_mov_b32 s5, 0
.LBB19_1036:
	s_delay_alu instid0(SALU_CYCLE_1)
	s_and_b32 vcc_lo, exec_lo, s5
	s_cbranch_vccz .LBB19_1041
; %bb.1037:
	s_cmp_eq_u32 s4, 44
	s_mov_b32 s0, -1
	s_cbranch_scc0 .LBB19_1041
; %bb.1038:
	v_bfe_u32 v2, v0, 23, 8
	s_wait_xcnt 0x0
	v_mov_b32_e32 v1, 0xff
	s_mov_b32 s5, exec_lo
	s_delay_alu instid0(VALU_DEP_2)
	v_cmpx_ne_u32_e32 0xff, v2
	s_cbranch_execz .LBB19_1040
; %bb.1039:
	v_and_b32_e32 v1, 0x400000, v0
	v_and_or_b32 v2, 0x3fffff, v0, v2
	s_delay_alu instid0(VALU_DEP_2) | instskip(NEXT) | instid1(VALU_DEP_2)
	v_cmp_ne_u32_e32 vcc_lo, 0, v1
	v_cmp_ne_u32_e64 s0, 0, v2
	v_lshrrev_b32_e32 v1, 23, v0
	s_and_b32 s0, vcc_lo, s0
	s_delay_alu instid0(SALU_CYCLE_1) | instskip(NEXT) | instid1(VALU_DEP_1)
	v_cndmask_b32_e64 v2, 0, 1, s0
	v_add_nc_u32_e32 v1, v1, v2
.LBB19_1040:
	s_or_b32 exec_lo, exec_lo, s5
	s_mov_b32 s0, 0
	global_store_b8 v[4:5], v1, off
.LBB19_1041:
	s_mov_b32 s5, 0
.LBB19_1042:
	s_delay_alu instid0(SALU_CYCLE_1)
	s_and_b32 vcc_lo, exec_lo, s5
	s_cbranch_vccz .LBB19_1045
; %bb.1043:
	s_cmp_eq_u32 s4, 29
	s_mov_b32 s0, -1
	s_cbranch_scc0 .LBB19_1045
; %bb.1044:
	s_wait_xcnt 0x0
	v_trunc_f32_e32 v1, v0
	s_mov_b32 s0, 0
	s_mov_b32 s5, 0
	s_delay_alu instid0(VALU_DEP_1) | instskip(NEXT) | instid1(VALU_DEP_1)
	v_mul_f32_e32 v2, 0x2f800000, v1
	v_floor_f32_e32 v2, v2
	s_delay_alu instid0(VALU_DEP_1) | instskip(SKIP_1) | instid1(VALU_DEP_2)
	v_fmamk_f32 v1, v2, 0xcf800000, v1
	v_cvt_u32_f32_e32 v3, v2
	v_cvt_u32_f32_e32 v2, v1
	global_store_b64 v[4:5], v[2:3], off
	s_branch .LBB19_1046
.LBB19_1045:
	s_mov_b32 s5, 0
.LBB19_1046:
	s_delay_alu instid0(SALU_CYCLE_1)
	s_and_b32 vcc_lo, exec_lo, s5
	s_cbranch_vccz .LBB19_1061
; %bb.1047:
	s_cmp_lt_i32 s4, 27
	s_mov_b32 s5, -1
	s_cbranch_scc1 .LBB19_1053
; %bb.1048:
	s_cmp_gt_i32 s4, 27
	s_cbranch_scc0 .LBB19_1050
; %bb.1049:
	s_wait_xcnt 0x0
	v_cvt_u32_f32_e32 v1, v0
	s_mov_b32 s5, 0
	global_store_b32 v[4:5], v1, off
.LBB19_1050:
	s_and_not1_b32 vcc_lo, exec_lo, s5
	s_cbranch_vccnz .LBB19_1052
; %bb.1051:
	s_wait_xcnt 0x0
	v_cvt_u32_f32_e32 v1, v0
	global_store_b16 v[4:5], v1, off
.LBB19_1052:
	s_mov_b32 s5, 0
.LBB19_1053:
	s_delay_alu instid0(SALU_CYCLE_1)
	s_and_not1_b32 vcc_lo, exec_lo, s5
	s_cbranch_vccnz .LBB19_1061
; %bb.1054:
	s_wait_xcnt 0x0
	v_and_b32_e32 v1, 0x7fffffff, v0
	v_mov_b32_e32 v2, 0x80
	s_mov_b32 s5, exec_lo
	s_delay_alu instid0(VALU_DEP_2)
	v_cmpx_gt_u32_e32 0x43800000, v1
	s_cbranch_execz .LBB19_1060
; %bb.1055:
	v_cmp_lt_u32_e32 vcc_lo, 0x3bffffff, v1
	s_mov_b32 s8, 0
                                        ; implicit-def: $vgpr1
	s_and_saveexec_b32 s9, vcc_lo
	s_delay_alu instid0(SALU_CYCLE_1)
	s_xor_b32 s9, exec_lo, s9
	s_cbranch_execz .LBB19_1218
; %bb.1056:
	v_bfe_u32 v1, v0, 20, 1
	s_mov_b32 s8, exec_lo
	s_delay_alu instid0(VALU_DEP_1) | instskip(NEXT) | instid1(VALU_DEP_1)
	v_add3_u32 v1, v0, v1, 0x487ffff
	v_lshrrev_b32_e32 v1, 20, v1
	s_and_not1_saveexec_b32 s9, s9
	s_cbranch_execnz .LBB19_1219
.LBB19_1057:
	s_or_b32 exec_lo, exec_lo, s9
	v_mov_b32_e32 v2, 0
	s_and_saveexec_b32 s9, s8
.LBB19_1058:
	v_lshrrev_b32_e32 v2, 24, v0
	s_delay_alu instid0(VALU_DEP_1)
	v_and_or_b32 v2, 0x80, v2, v1
.LBB19_1059:
	s_or_b32 exec_lo, exec_lo, s9
.LBB19_1060:
	s_delay_alu instid0(SALU_CYCLE_1)
	s_or_b32 exec_lo, exec_lo, s5
	global_store_b8 v[4:5], v2, off
.LBB19_1061:
	s_mov_b32 s5, 0
.LBB19_1062:
	s_delay_alu instid0(SALU_CYCLE_1)
	s_and_b32 vcc_lo, exec_lo, s5
	s_mov_b32 s5, 0
	s_cbranch_vccz .LBB19_1102
; %bb.1063:
	s_cmp_gt_i32 s4, 22
	s_mov_b32 s8, -1
	s_cbranch_scc0 .LBB19_1095
; %bb.1064:
	s_cmp_lt_i32 s4, 24
	s_cbranch_scc1 .LBB19_1084
; %bb.1065:
	s_cmp_gt_i32 s4, 24
	s_cbranch_scc0 .LBB19_1073
; %bb.1066:
	s_wait_xcnt 0x0
	v_and_b32_e32 v1, 0x7fffffff, v0
	v_mov_b32_e32 v2, 0x80
	s_mov_b32 s8, exec_lo
	s_delay_alu instid0(VALU_DEP_2)
	v_cmpx_gt_u32_e32 0x47800000, v1
	s_cbranch_execz .LBB19_1072
; %bb.1067:
	v_cmp_lt_u32_e32 vcc_lo, 0x37ffffff, v1
	s_mov_b32 s9, 0
                                        ; implicit-def: $vgpr1
	s_and_saveexec_b32 s10, vcc_lo
	s_delay_alu instid0(SALU_CYCLE_1)
	s_xor_b32 s10, exec_lo, s10
	s_cbranch_execz .LBB19_1356
; %bb.1068:
	v_bfe_u32 v1, v0, 21, 1
	s_mov_b32 s9, exec_lo
	s_delay_alu instid0(VALU_DEP_1) | instskip(NEXT) | instid1(VALU_DEP_1)
	v_add3_u32 v1, v0, v1, 0x88fffff
	v_lshrrev_b32_e32 v1, 21, v1
	s_and_not1_saveexec_b32 s10, s10
	s_cbranch_execnz .LBB19_1357
.LBB19_1069:
	s_or_b32 exec_lo, exec_lo, s10
	v_mov_b32_e32 v2, 0
	s_and_saveexec_b32 s10, s9
.LBB19_1070:
	v_lshrrev_b32_e32 v2, 24, v0
	s_delay_alu instid0(VALU_DEP_1)
	v_and_or_b32 v2, 0x80, v2, v1
.LBB19_1071:
	s_or_b32 exec_lo, exec_lo, s10
.LBB19_1072:
	s_delay_alu instid0(SALU_CYCLE_1)
	s_or_b32 exec_lo, exec_lo, s8
	s_mov_b32 s8, 0
	global_store_b8 v[4:5], v2, off
.LBB19_1073:
	s_and_b32 vcc_lo, exec_lo, s8
	s_cbranch_vccz .LBB19_1083
; %bb.1074:
	s_wait_xcnt 0x0
	v_and_b32_e32 v2, 0x7fffffff, v0
	s_mov_b32 s8, exec_lo
                                        ; implicit-def: $vgpr1
	s_delay_alu instid0(VALU_DEP_1)
	v_cmpx_gt_u32_e32 0x43f00000, v2
	s_xor_b32 s8, exec_lo, s8
	s_cbranch_execz .LBB19_1080
; %bb.1075:
	s_mov_b32 s9, exec_lo
                                        ; implicit-def: $vgpr1
	v_cmpx_lt_u32_e32 0x3c7fffff, v2
	s_xor_b32 s9, exec_lo, s9
; %bb.1076:
	v_bfe_u32 v1, v0, 20, 1
	s_delay_alu instid0(VALU_DEP_1) | instskip(NEXT) | instid1(VALU_DEP_1)
	v_add3_u32 v1, v0, v1, 0x407ffff
	v_and_b32_e32 v2, 0xff00000, v1
	v_lshrrev_b32_e32 v1, 20, v1
	s_delay_alu instid0(VALU_DEP_2) | instskip(NEXT) | instid1(VALU_DEP_2)
	v_cmp_ne_u32_e32 vcc_lo, 0x7f00000, v2
	v_cndmask_b32_e32 v1, 0x7e, v1, vcc_lo
; %bb.1077:
	s_and_not1_saveexec_b32 s9, s9
; %bb.1078:
	v_add_f32_e64 v1, 0x46800000, |v0|
; %bb.1079:
	s_or_b32 exec_lo, exec_lo, s9
                                        ; implicit-def: $vgpr2
.LBB19_1080:
	s_and_not1_saveexec_b32 s8, s8
; %bb.1081:
	v_mov_b32_e32 v1, 0x7f
	v_cmp_lt_u32_e32 vcc_lo, 0x7f800000, v2
	s_delay_alu instid0(VALU_DEP_2)
	v_cndmask_b32_e32 v1, 0x7e, v1, vcc_lo
; %bb.1082:
	s_or_b32 exec_lo, exec_lo, s8
	v_lshrrev_b32_e32 v2, 24, v0
	s_delay_alu instid0(VALU_DEP_1)
	v_and_or_b32 v1, 0x80, v2, v1
	global_store_b8 v[4:5], v1, off
.LBB19_1083:
	s_mov_b32 s8, 0
.LBB19_1084:
	s_delay_alu instid0(SALU_CYCLE_1)
	s_and_not1_b32 vcc_lo, exec_lo, s8
	s_cbranch_vccnz .LBB19_1094
; %bb.1085:
	s_wait_xcnt 0x0
	v_and_b32_e32 v2, 0x7fffffff, v0
	s_mov_b32 s8, exec_lo
                                        ; implicit-def: $vgpr1
	s_delay_alu instid0(VALU_DEP_1)
	v_cmpx_gt_u32_e32 0x47800000, v2
	s_xor_b32 s8, exec_lo, s8
	s_cbranch_execz .LBB19_1091
; %bb.1086:
	s_mov_b32 s9, exec_lo
                                        ; implicit-def: $vgpr1
	v_cmpx_lt_u32_e32 0x387fffff, v2
	s_xor_b32 s9, exec_lo, s9
; %bb.1087:
	v_bfe_u32 v1, v0, 21, 1
	s_delay_alu instid0(VALU_DEP_1) | instskip(NEXT) | instid1(VALU_DEP_1)
	v_add3_u32 v1, v0, v1, 0x80fffff
	v_lshrrev_b32_e32 v1, 21, v1
; %bb.1088:
	s_and_not1_saveexec_b32 s9, s9
; %bb.1089:
	v_add_f32_e64 v1, 0x43000000, |v0|
; %bb.1090:
	s_or_b32 exec_lo, exec_lo, s9
                                        ; implicit-def: $vgpr2
.LBB19_1091:
	s_and_not1_saveexec_b32 s8, s8
; %bb.1092:
	v_mov_b32_e32 v1, 0x7f
	v_cmp_lt_u32_e32 vcc_lo, 0x7f800000, v2
	s_delay_alu instid0(VALU_DEP_2)
	v_cndmask_b32_e32 v1, 0x7c, v1, vcc_lo
; %bb.1093:
	s_or_b32 exec_lo, exec_lo, s8
	v_lshrrev_b32_e32 v2, 24, v0
	s_delay_alu instid0(VALU_DEP_1)
	v_and_or_b32 v1, 0x80, v2, v1
	global_store_b8 v[4:5], v1, off
.LBB19_1094:
	s_mov_b32 s8, 0
.LBB19_1095:
	s_delay_alu instid0(SALU_CYCLE_1)
	s_and_not1_b32 vcc_lo, exec_lo, s8
	s_mov_b32 s9, 0
	s_cbranch_vccnz .LBB19_1103
; %bb.1096:
	s_cmp_gt_i32 s4, 14
	s_mov_b32 s8, -1
	s_cbranch_scc0 .LBB19_1100
; %bb.1097:
	s_cmp_eq_u32 s4, 15
	s_mov_b32 s0, -1
	s_cbranch_scc0 .LBB19_1099
; %bb.1098:
	s_wait_xcnt 0x0
	v_bfe_u32 v1, v0, 16, 1
	v_cmp_o_f32_e32 vcc_lo, v0, v0
	s_mov_b32 s0, 0
	s_delay_alu instid0(VALU_DEP_2) | instskip(NEXT) | instid1(VALU_DEP_1)
	v_add3_u32 v1, v0, v1, 0x7fff
	v_lshrrev_b32_e32 v1, 16, v1
	s_delay_alu instid0(VALU_DEP_1)
	v_cndmask_b32_e32 v1, 0x7fc0, v1, vcc_lo
	global_store_b16 v[4:5], v1, off
.LBB19_1099:
	s_mov_b32 s8, 0
.LBB19_1100:
	s_delay_alu instid0(SALU_CYCLE_1)
	s_and_b32 vcc_lo, exec_lo, s8
	s_cbranch_vccz .LBB19_1103
; %bb.1101:
	s_cmp_lg_u32 s4, 11
	s_mov_b32 s9, -1
	s_cselect_b32 s4, -1, 0
	s_and_not1_b32 s0, s0, exec_lo
	s_and_b32 s4, s4, exec_lo
	s_delay_alu instid0(SALU_CYCLE_1)
	s_or_b32 s0, s0, s4
	s_branch .LBB19_1103
.LBB19_1102:
	s_mov_b32 s9, 0
.LBB19_1103:
	s_and_not1_b32 s4, s39, exec_lo
	s_and_b32 s0, s0, exec_lo
	s_and_b32 s8, s5, exec_lo
	;; [unrolled: 1-line block ×3, first 2 shown]
	s_or_b32 s39, s4, s0
	s_wait_xcnt 0x0
	s_or_b32 exec_lo, exec_lo, s6
	s_and_saveexec_b32 s0, s39
	s_cbranch_execz .LBB19_1032
.LBB19_1104:
	s_or_b32 s1, s1, exec_lo
	s_and_not1_b32 s9, s9, exec_lo
	s_trap 2
	s_or_b32 exec_lo, exec_lo, s0
	s_and_saveexec_b32 s0, s9
	s_delay_alu instid0(SALU_CYCLE_1)
	s_xor_b32 s0, exec_lo, s0
	s_cbranch_execnz .LBB19_1033
.LBB19_1105:
	s_or_b32 exec_lo, exec_lo, s0
	s_and_saveexec_b32 s0, s8
	s_delay_alu instid0(SALU_CYCLE_1)
	s_xor_b32 s0, exec_lo, s0
	s_cbranch_execz .LBB19_1143
.LBB19_1106:
	s_sext_i32_i16 s5, s7
	s_mov_b32 s4, -1
	s_cmp_lt_i32 s5, 5
	s_cbranch_scc1 .LBB19_1127
; %bb.1107:
	s_cmp_lt_i32 s5, 8
	s_cbranch_scc1 .LBB19_1117
; %bb.1108:
	;; [unrolled: 3-line block ×3, first 2 shown]
	s_cmp_gt_i32 s5, 9
	s_cbranch_scc0 .LBB19_1111
; %bb.1110:
	v_cvt_f64_f32_e32 v[6:7], v0
	v_mov_b32_e32 v8, 0
	s_mov_b32 s4, 0
	s_delay_alu instid0(VALU_DEP_1)
	v_mov_b32_e32 v9, v8
	global_store_b128 v[4:5], v[6:9], off
.LBB19_1111:
	s_and_not1_b32 vcc_lo, exec_lo, s4
	s_cbranch_vccnz .LBB19_1113
; %bb.1112:
	s_wait_loadcnt 0x0
	v_mov_b32_e32 v1, 0
	global_store_b64 v[4:5], v[0:1], off
.LBB19_1113:
	s_mov_b32 s4, 0
.LBB19_1114:
	s_delay_alu instid0(SALU_CYCLE_1)
	s_and_not1_b32 vcc_lo, exec_lo, s4
	s_cbranch_vccnz .LBB19_1116
; %bb.1115:
	s_wait_loadcnt 0x0
	v_cvt_f16_f32_e32 v1, v0
	s_delay_alu instid0(VALU_DEP_1)
	v_and_b32_e32 v1, 0xffff, v1
	global_store_b32 v[4:5], v1, off
.LBB19_1116:
	s_mov_b32 s4, 0
.LBB19_1117:
	s_delay_alu instid0(SALU_CYCLE_1)
	s_and_not1_b32 vcc_lo, exec_lo, s4
	s_cbranch_vccnz .LBB19_1126
; %bb.1118:
	s_sext_i32_i16 s5, s7
	s_mov_b32 s4, -1
	s_cmp_lt_i32 s5, 6
	s_cbranch_scc1 .LBB19_1124
; %bb.1119:
	s_cmp_gt_i32 s5, 6
	s_cbranch_scc0 .LBB19_1121
; %bb.1120:
	v_cvt_f64_f32_e32 v[2:3], v0
	s_mov_b32 s4, 0
	global_store_b64 v[4:5], v[2:3], off
.LBB19_1121:
	s_and_not1_b32 vcc_lo, exec_lo, s4
	s_cbranch_vccnz .LBB19_1123
; %bb.1122:
	global_store_b32 v[4:5], v0, off
.LBB19_1123:
	s_mov_b32 s4, 0
.LBB19_1124:
	s_delay_alu instid0(SALU_CYCLE_1)
	s_and_not1_b32 vcc_lo, exec_lo, s4
	s_cbranch_vccnz .LBB19_1126
; %bb.1125:
	s_wait_loadcnt 0x0
	v_cvt_f16_f32_e32 v1, v0
	global_store_b16 v[4:5], v1, off
.LBB19_1126:
	s_mov_b32 s4, 0
.LBB19_1127:
	s_delay_alu instid0(SALU_CYCLE_1)
	s_and_not1_b32 vcc_lo, exec_lo, s4
	s_cbranch_vccnz .LBB19_1143
; %bb.1128:
	s_sext_i32_i16 s5, s7
	s_mov_b32 s4, -1
	s_cmp_lt_i32 s5, 2
	s_cbranch_scc1 .LBB19_1138
; %bb.1129:
	s_cmp_lt_i32 s5, 3
	s_cbranch_scc1 .LBB19_1135
; %bb.1130:
	s_cmp_gt_i32 s5, 3
	s_cbranch_scc0 .LBB19_1132
; %bb.1131:
	s_wait_loadcnt 0x0
	v_trunc_f32_e32 v1, v0
	s_mov_b32 s4, 0
	s_delay_alu instid0(VALU_DEP_1) | instskip(NEXT) | instid1(VALU_DEP_1)
	v_mul_f32_e64 v2, 0x2f800000, |v1|
	v_floor_f32_e32 v3, v2
	v_ashrrev_i32_e32 v2, 31, v1
	s_delay_alu instid0(VALU_DEP_2) | instskip(SKIP_1) | instid1(VALU_DEP_3)
	v_fma_f32 v6, 0xcf800000, v3, |v1|
	v_cvt_u32_f32_e32 v1, v3
	v_mov_b32_e32 v3, v2
	s_delay_alu instid0(VALU_DEP_3) | instskip(NEXT) | instid1(VALU_DEP_3)
	v_cvt_u32_f32_e32 v6, v6
	v_xor_b32_e32 v7, v1, v2
	s_delay_alu instid0(VALU_DEP_2) | instskip(NEXT) | instid1(VALU_DEP_1)
	v_xor_b32_e32 v6, v6, v2
	v_sub_nc_u64_e32 v[2:3], v[6:7], v[2:3]
	global_store_b64 v[4:5], v[2:3], off
.LBB19_1132:
	s_and_not1_b32 vcc_lo, exec_lo, s4
	s_cbranch_vccnz .LBB19_1134
; %bb.1133:
	s_wait_loadcnt 0x0
	v_cvt_i32_f32_e32 v1, v0
	global_store_b32 v[4:5], v1, off
.LBB19_1134:
	s_mov_b32 s4, 0
.LBB19_1135:
	s_delay_alu instid0(SALU_CYCLE_1)
	s_and_not1_b32 vcc_lo, exec_lo, s4
	s_cbranch_vccnz .LBB19_1137
; %bb.1136:
	s_wait_loadcnt 0x0
	v_cvt_i32_f32_e32 v1, v0
	global_store_b16 v[4:5], v1, off
.LBB19_1137:
	s_mov_b32 s4, 0
.LBB19_1138:
	s_delay_alu instid0(SALU_CYCLE_1)
	s_and_not1_b32 vcc_lo, exec_lo, s4
	s_cbranch_vccnz .LBB19_1143
; %bb.1139:
	s_sext_i32_i16 s4, s7
	s_delay_alu instid0(SALU_CYCLE_1)
	s_cmp_gt_i32 s4, 0
	s_mov_b32 s4, -1
	s_cbranch_scc0 .LBB19_1141
; %bb.1140:
	s_wait_loadcnt 0x0
	v_cvt_i32_f32_e32 v1, v0
	s_mov_b32 s4, 0
	global_store_b8 v[4:5], v1, off
.LBB19_1141:
	s_and_not1_b32 vcc_lo, exec_lo, s4
	s_cbranch_vccnz .LBB19_1143
; %bb.1142:
	s_wait_xcnt 0x0
	v_trunc_f32_e32 v0, v0
	s_wait_loadcnt 0x0
	s_delay_alu instid0(VALU_DEP_1) | instskip(NEXT) | instid1(VALU_DEP_1)
	v_mul_f32_e64 v1, 0x2f800000, |v0|
	v_floor_f32_e32 v1, v1
	s_delay_alu instid0(VALU_DEP_1) | instskip(SKIP_1) | instid1(VALU_DEP_2)
	v_fma_f32 v1, 0xcf800000, v1, |v0|
	v_ashrrev_i32_e32 v0, 31, v0
	v_cvt_u32_f32_e32 v1, v1
	s_delay_alu instid0(VALU_DEP_1) | instskip(NEXT) | instid1(VALU_DEP_1)
	v_xor_b32_e32 v1, v1, v0
	v_sub_nc_u32_e32 v0, v1, v0
	global_store_b8 v[4:5], v0, off
.LBB19_1143:
	s_wait_xcnt 0x0
	s_or_b32 exec_lo, exec_lo, s0
	s_delay_alu instid0(SALU_CYCLE_1)
	s_and_b32 s8, s1, exec_lo
                                        ; implicit-def: $vgpr9
                                        ; implicit-def: $vgpr0
.LBB19_1144:
	s_or_saveexec_b32 s9, s33
	s_mov_b32 s0, 0
                                        ; implicit-def: $vgpr2_vgpr3
                                        ; implicit-def: $sgpr6
                                        ; implicit-def: $vgpr14
	s_xor_b32 exec_lo, exec_lo, s9
	s_cbranch_execz .LBB19_1849
; %bb.1145:
	s_wait_loadcnt 0x0
	v_cndmask_b32_e64 v1, 0, 1, s31
	s_and_not1_b32 vcc_lo, exec_lo, s31
	s_cbranch_vccnz .LBB19_1151
; %bb.1146:
	s_cmp_lg_u32 s28, 0
	s_mov_b32 s10, 0
	s_cbranch_scc0 .LBB19_1152
; %bb.1147:
	s_min_u32 s1, s29, 15
	s_delay_alu instid0(SALU_CYCLE_1)
	s_add_co_i32 s1, s1, 1
	s_cmp_eq_u32 s29, 2
	s_cbranch_scc1 .LBB19_1153
; %bb.1148:
	v_dual_mov_b32 v6, 0 :: v_dual_mov_b32 v8, 0
	v_mov_b32_e32 v2, v0
	s_and_b32 s0, s1, 28
	s_add_nc_u64 s[4:5], s[2:3], 0xc4
	s_mov_b32 s11, 0
	s_mov_b64 s[6:7], s[2:3]
.LBB19_1149:                            ; =>This Inner Loop Header: Depth=1
	s_clause 0x1
	s_load_b256 s[12:19], s[6:7], 0x4
	s_load_b128 s[36:39], s[6:7], 0x24
	s_load_b256 s[20:27], s[4:5], 0x0
	s_add_co_i32 s11, s11, 4
	s_wait_xcnt 0x0
	s_add_nc_u64 s[6:7], s[6:7], 48
	s_cmp_lg_u32 s0, s11
	s_add_nc_u64 s[4:5], s[4:5], 32
	s_wait_kmcnt 0x0
	v_mul_hi_u32 v3, s13, v2
	s_delay_alu instid0(VALU_DEP_1) | instskip(NEXT) | instid1(VALU_DEP_1)
	v_add_nc_u32_e32 v3, v2, v3
	v_lshrrev_b32_e32 v3, s14, v3
	s_delay_alu instid0(VALU_DEP_1) | instskip(NEXT) | instid1(VALU_DEP_1)
	v_mul_hi_u32 v4, s16, v3
	v_add_nc_u32_e32 v4, v3, v4
	s_delay_alu instid0(VALU_DEP_1) | instskip(NEXT) | instid1(VALU_DEP_1)
	v_lshrrev_b32_e32 v4, s17, v4
	v_mul_hi_u32 v5, s19, v4
	s_delay_alu instid0(VALU_DEP_1) | instskip(SKIP_1) | instid1(VALU_DEP_1)
	v_add_nc_u32_e32 v5, v4, v5
	v_mul_lo_u32 v7, v3, s12
	v_sub_nc_u32_e32 v2, v2, v7
	v_mul_lo_u32 v7, v4, s15
	s_delay_alu instid0(VALU_DEP_4) | instskip(NEXT) | instid1(VALU_DEP_3)
	v_lshrrev_b32_e32 v5, s36, v5
	v_mad_u32 v8, v2, s21, v8
	v_mad_u32 v2, v2, s20, v6
	s_delay_alu instid0(VALU_DEP_4) | instskip(NEXT) | instid1(VALU_DEP_4)
	v_sub_nc_u32_e32 v3, v3, v7
	v_mul_hi_u32 v10, s38, v5
	v_mul_lo_u32 v6, v5, s18
	s_delay_alu instid0(VALU_DEP_3) | instskip(SKIP_1) | instid1(VALU_DEP_4)
	v_mad_u32 v8, v3, s23, v8
	v_mad_u32 v3, v3, s22, v2
	v_add_nc_u32_e32 v7, v5, v10
	s_delay_alu instid0(VALU_DEP_1) | instskip(NEXT) | instid1(VALU_DEP_1)
	v_dual_sub_nc_u32 v4, v4, v6 :: v_dual_lshrrev_b32 v2, s39, v7
	v_mad_u32 v7, v4, s25, v8
	s_delay_alu instid0(VALU_DEP_4) | instskip(NEXT) | instid1(VALU_DEP_3)
	v_mad_u32 v3, v4, s24, v3
	v_mul_lo_u32 v6, v2, s37
	s_delay_alu instid0(VALU_DEP_1) | instskip(NEXT) | instid1(VALU_DEP_1)
	v_sub_nc_u32_e32 v4, v5, v6
	v_mad_u32 v8, v4, s27, v7
	s_delay_alu instid0(VALU_DEP_4)
	v_mad_u32 v6, v4, s26, v3
	s_cbranch_scc1 .LBB19_1149
; %bb.1150:
	s_delay_alu instid0(VALU_DEP_2)
	v_mov_b32_e32 v7, v8
	s_and_b32 s6, s1, 3
	s_mov_b32 s1, 0
	s_cmp_eq_u32 s6, 0
	s_cbranch_scc0 .LBB19_1154
	s_branch .LBB19_1157
.LBB19_1151:
	s_mov_b32 s10, -1
                                        ; implicit-def: $vgpr8
                                        ; implicit-def: $vgpr6
	s_branch .LBB19_1157
.LBB19_1152:
	v_dual_mov_b32 v8, 0 :: v_dual_mov_b32 v6, 0
	s_branch .LBB19_1157
.LBB19_1153:
	v_mov_b64_e32 v[6:7], 0
	v_mov_b32_e32 v2, v0
                                        ; implicit-def: $vgpr8
	s_and_b32 s6, s1, 3
	s_mov_b32 s1, 0
	s_cmp_eq_u32 s6, 0
	s_cbranch_scc1 .LBB19_1157
.LBB19_1154:
	s_lshl_b32 s4, s0, 3
	s_mov_b32 s5, s1
	s_mul_u64 s[12:13], s[0:1], 12
	s_add_nc_u64 s[4:5], s[2:3], s[4:5]
	s_delay_alu instid0(SALU_CYCLE_1)
	s_add_nc_u64 s[0:1], s[4:5], 0xc4
	s_add_nc_u64 s[4:5], s[2:3], s[12:13]
.LBB19_1155:                            ; =>This Inner Loop Header: Depth=1
	s_load_b96 s[12:14], s[4:5], 0x4
	s_add_co_i32 s6, s6, -1
	s_wait_xcnt 0x0
	s_add_nc_u64 s[4:5], s[4:5], 12
	s_cmp_lg_u32 s6, 0
	s_wait_kmcnt 0x0
	v_mul_hi_u32 v3, s13, v2
	s_delay_alu instid0(VALU_DEP_1) | instskip(NEXT) | instid1(VALU_DEP_1)
	v_add_nc_u32_e32 v3, v2, v3
	v_lshrrev_b32_e32 v3, s14, v3
	s_load_b64 s[14:15], s[0:1], 0x0
	s_wait_xcnt 0x0
	s_add_nc_u64 s[0:1], s[0:1], 8
	s_delay_alu instid0(VALU_DEP_1) | instskip(NEXT) | instid1(VALU_DEP_1)
	v_mul_lo_u32 v4, v3, s12
	v_sub_nc_u32_e32 v2, v2, v4
	s_wait_kmcnt 0x0
	s_delay_alu instid0(VALU_DEP_1)
	v_mad_u32 v7, v2, s15, v7
	v_mad_u32 v6, v2, s14, v6
	v_mov_b32_e32 v2, v3
	s_cbranch_scc1 .LBB19_1155
; %bb.1156:
	s_delay_alu instid0(VALU_DEP_3)
	v_mov_b32_e32 v8, v7
.LBB19_1157:
	s_and_not1_b32 vcc_lo, exec_lo, s10
	s_cbranch_vccnz .LBB19_1160
; %bb.1158:
	s_clause 0x1
	s_load_b96 s[4:6], s[2:3], 0x4
	s_load_b64 s[0:1], s[2:3], 0xc4
	s_cmp_lt_u32 s28, 2
	s_wait_kmcnt 0x0
	v_mul_hi_u32 v2, s5, v0
	s_delay_alu instid0(VALU_DEP_1) | instskip(NEXT) | instid1(VALU_DEP_1)
	v_add_nc_u32_e32 v2, v0, v2
	v_lshrrev_b32_e32 v2, s6, v2
	s_delay_alu instid0(VALU_DEP_1) | instskip(NEXT) | instid1(VALU_DEP_1)
	v_mul_lo_u32 v3, v2, s4
	v_sub_nc_u32_e32 v3, v0, v3
	s_delay_alu instid0(VALU_DEP_1)
	v_mul_lo_u32 v8, v3, s1
	v_mul_lo_u32 v6, v3, s0
	s_cbranch_scc1 .LBB19_1160
; %bb.1159:
	s_clause 0x1
	s_load_b96 s[4:6], s[2:3], 0x10
	s_load_b64 s[0:1], s[2:3], 0xcc
	s_wait_kmcnt 0x0
	v_mul_hi_u32 v3, s5, v2
	s_delay_alu instid0(VALU_DEP_1) | instskip(NEXT) | instid1(VALU_DEP_1)
	v_add_nc_u32_e32 v3, v2, v3
	v_lshrrev_b32_e32 v3, s6, v3
	s_delay_alu instid0(VALU_DEP_1) | instskip(NEXT) | instid1(VALU_DEP_1)
	v_mul_lo_u32 v3, v3, s4
	v_sub_nc_u32_e32 v2, v2, v3
	s_delay_alu instid0(VALU_DEP_1)
	v_mad_u32 v6, v2, s0, v6
	v_mad_u32 v8, v2, s1, v8
.LBB19_1160:
	v_cmp_ne_u32_e32 vcc_lo, 1, v1
	v_add_nc_u32_e32 v2, 0x80, v0
	s_cbranch_vccnz .LBB19_1166
; %bb.1161:
	s_cmp_lg_u32 s28, 0
	s_mov_b32 s10, 0
	s_cbranch_scc0 .LBB19_1167
; %bb.1162:
	s_min_u32 s1, s29, 15
	s_delay_alu instid0(SALU_CYCLE_1)
	s_add_co_i32 s1, s1, 1
	s_cmp_eq_u32 s29, 2
	s_cbranch_scc1 .LBB19_1168
; %bb.1163:
	v_dual_mov_b32 v4, 0 :: v_dual_mov_b32 v10, 0
	v_mov_b32_e32 v3, v2
	s_and_b32 s0, s1, 28
	s_add_nc_u64 s[4:5], s[2:3], 0xc4
	s_mov_b32 s11, 0
	s_mov_b64 s[6:7], s[2:3]
.LBB19_1164:                            ; =>This Inner Loop Header: Depth=1
	s_clause 0x1
	s_load_b256 s[12:19], s[6:7], 0x4
	s_load_b128 s[36:39], s[6:7], 0x24
	s_load_b256 s[20:27], s[4:5], 0x0
	s_add_co_i32 s11, s11, 4
	s_wait_xcnt 0x0
	s_add_nc_u64 s[6:7], s[6:7], 48
	s_cmp_lg_u32 s0, s11
	s_add_nc_u64 s[4:5], s[4:5], 32
	s_wait_kmcnt 0x0
	v_mul_hi_u32 v5, s13, v3
	s_delay_alu instid0(VALU_DEP_1) | instskip(NEXT) | instid1(VALU_DEP_1)
	v_add_nc_u32_e32 v5, v3, v5
	v_lshrrev_b32_e32 v5, s14, v5
	s_delay_alu instid0(VALU_DEP_1) | instskip(NEXT) | instid1(VALU_DEP_1)
	v_mul_hi_u32 v7, s16, v5
	v_add_nc_u32_e32 v7, v5, v7
	s_delay_alu instid0(VALU_DEP_1) | instskip(NEXT) | instid1(VALU_DEP_1)
	v_lshrrev_b32_e32 v7, s17, v7
	v_mul_hi_u32 v11, s19, v7
	s_delay_alu instid0(VALU_DEP_1) | instskip(SKIP_1) | instid1(VALU_DEP_1)
	v_add_nc_u32_e32 v11, v7, v11
	v_mul_lo_u32 v12, v5, s12
	v_sub_nc_u32_e32 v3, v3, v12
	v_mul_lo_u32 v12, v7, s15
	s_delay_alu instid0(VALU_DEP_4) | instskip(NEXT) | instid1(VALU_DEP_3)
	v_lshrrev_b32_e32 v11, s36, v11
	v_mad_u32 v10, v3, s21, v10
	v_mad_u32 v3, v3, s20, v4
	s_delay_alu instid0(VALU_DEP_4) | instskip(NEXT) | instid1(VALU_DEP_4)
	v_sub_nc_u32_e32 v4, v5, v12
	v_mul_hi_u32 v13, s38, v11
	v_mul_lo_u32 v5, v11, s18
	s_delay_alu instid0(VALU_DEP_3) | instskip(SKIP_1) | instid1(VALU_DEP_4)
	v_mad_u32 v10, v4, s23, v10
	v_mad_u32 v4, v4, s22, v3
	v_add_nc_u32_e32 v12, v11, v13
	s_delay_alu instid0(VALU_DEP_1) | instskip(NEXT) | instid1(VALU_DEP_1)
	v_dual_sub_nc_u32 v5, v7, v5 :: v_dual_lshrrev_b32 v3, s39, v12
	v_mad_u32 v10, v5, s25, v10
	s_delay_alu instid0(VALU_DEP_4) | instskip(NEXT) | instid1(VALU_DEP_3)
	v_mad_u32 v4, v5, s24, v4
	v_mul_lo_u32 v7, v3, s37
	s_delay_alu instid0(VALU_DEP_1) | instskip(NEXT) | instid1(VALU_DEP_1)
	v_sub_nc_u32_e32 v5, v11, v7
	v_mad_u32 v10, v5, s27, v10
	s_delay_alu instid0(VALU_DEP_4)
	v_mad_u32 v4, v5, s26, v4
	s_cbranch_scc1 .LBB19_1164
; %bb.1165:
	s_delay_alu instid0(VALU_DEP_2)
	v_mov_b32_e32 v5, v10
	s_and_b32 s6, s1, 3
	s_mov_b32 s1, 0
	s_cmp_eq_u32 s6, 0
	s_cbranch_scc0 .LBB19_1169
	s_branch .LBB19_1172
.LBB19_1166:
	s_mov_b32 s10, -1
                                        ; implicit-def: $vgpr10
                                        ; implicit-def: $vgpr4
	s_branch .LBB19_1172
.LBB19_1167:
	v_dual_mov_b32 v10, 0 :: v_dual_mov_b32 v4, 0
	s_branch .LBB19_1172
.LBB19_1168:
	v_mov_b64_e32 v[4:5], 0
	v_mov_b32_e32 v3, v2
	s_mov_b32 s0, 0
                                        ; implicit-def: $vgpr10
	s_and_b32 s6, s1, 3
	s_mov_b32 s1, 0
	s_cmp_eq_u32 s6, 0
	s_cbranch_scc1 .LBB19_1172
.LBB19_1169:
	s_lshl_b32 s4, s0, 3
	s_mov_b32 s5, s1
	s_mul_u64 s[12:13], s[0:1], 12
	s_add_nc_u64 s[4:5], s[2:3], s[4:5]
	s_delay_alu instid0(SALU_CYCLE_1)
	s_add_nc_u64 s[0:1], s[4:5], 0xc4
	s_add_nc_u64 s[4:5], s[2:3], s[12:13]
.LBB19_1170:                            ; =>This Inner Loop Header: Depth=1
	s_load_b96 s[12:14], s[4:5], 0x4
	s_add_co_i32 s6, s6, -1
	s_wait_xcnt 0x0
	s_add_nc_u64 s[4:5], s[4:5], 12
	s_cmp_lg_u32 s6, 0
	s_wait_kmcnt 0x0
	v_mul_hi_u32 v7, s13, v3
	s_delay_alu instid0(VALU_DEP_1) | instskip(NEXT) | instid1(VALU_DEP_1)
	v_add_nc_u32_e32 v7, v3, v7
	v_lshrrev_b32_e32 v7, s14, v7
	s_load_b64 s[14:15], s[0:1], 0x0
	s_wait_xcnt 0x0
	s_add_nc_u64 s[0:1], s[0:1], 8
	s_delay_alu instid0(VALU_DEP_1) | instskip(NEXT) | instid1(VALU_DEP_1)
	v_mul_lo_u32 v10, v7, s12
	v_sub_nc_u32_e32 v3, v3, v10
	s_wait_kmcnt 0x0
	s_delay_alu instid0(VALU_DEP_1)
	v_mad_u32 v5, v3, s15, v5
	v_mad_u32 v4, v3, s14, v4
	v_mov_b32_e32 v3, v7
	s_cbranch_scc1 .LBB19_1170
; %bb.1171:
	s_delay_alu instid0(VALU_DEP_3)
	v_mov_b32_e32 v10, v5
.LBB19_1172:
	s_and_not1_b32 vcc_lo, exec_lo, s10
	s_cbranch_vccnz .LBB19_1175
; %bb.1173:
	s_clause 0x1
	s_load_b96 s[4:6], s[2:3], 0x4
	s_load_b64 s[0:1], s[2:3], 0xc4
	s_cmp_lt_u32 s28, 2
	s_wait_kmcnt 0x0
	v_mul_hi_u32 v3, s5, v2
	s_delay_alu instid0(VALU_DEP_1) | instskip(NEXT) | instid1(VALU_DEP_1)
	v_add_nc_u32_e32 v3, v2, v3
	v_lshrrev_b32_e32 v3, s6, v3
	s_delay_alu instid0(VALU_DEP_1) | instskip(NEXT) | instid1(VALU_DEP_1)
	v_mul_lo_u32 v4, v3, s4
	v_sub_nc_u32_e32 v2, v2, v4
	s_delay_alu instid0(VALU_DEP_1)
	v_mul_lo_u32 v10, v2, s1
	v_mul_lo_u32 v4, v2, s0
	s_cbranch_scc1 .LBB19_1175
; %bb.1174:
	s_clause 0x1
	s_load_b96 s[4:6], s[2:3], 0x10
	s_load_b64 s[0:1], s[2:3], 0xcc
	s_wait_kmcnt 0x0
	v_mul_hi_u32 v2, s5, v3
	s_delay_alu instid0(VALU_DEP_1) | instskip(NEXT) | instid1(VALU_DEP_1)
	v_add_nc_u32_e32 v2, v3, v2
	v_lshrrev_b32_e32 v2, s6, v2
	s_delay_alu instid0(VALU_DEP_1) | instskip(NEXT) | instid1(VALU_DEP_1)
	v_mul_lo_u32 v2, v2, s4
	v_sub_nc_u32_e32 v2, v3, v2
	s_delay_alu instid0(VALU_DEP_1)
	v_mad_u32 v4, v2, s0, v4
	v_mad_u32 v10, v2, s1, v10
.LBB19_1175:
	v_cmp_ne_u32_e32 vcc_lo, 1, v1
	v_add_nc_u32_e32 v0, 0x100, v0
	s_cbranch_vccnz .LBB19_1181
; %bb.1176:
	s_cmp_lg_u32 s28, 0
	s_mov_b32 s10, 0
	s_cbranch_scc0 .LBB19_1182
; %bb.1177:
	s_min_u32 s1, s29, 15
	s_delay_alu instid0(SALU_CYCLE_1)
	s_add_co_i32 s1, s1, 1
	s_cmp_eq_u32 s29, 2
	s_cbranch_scc1 .LBB19_1183
; %bb.1178:
	v_dual_mov_b32 v2, 0 :: v_dual_mov_b32 v12, 0
	v_mov_b32_e32 v5, v0
	s_and_b32 s0, s1, 28
	s_add_nc_u64 s[4:5], s[2:3], 0xc4
	s_mov_b32 s11, 0
	s_mov_b64 s[6:7], s[2:3]
.LBB19_1179:                            ; =>This Inner Loop Header: Depth=1
	s_clause 0x1
	s_load_b256 s[12:19], s[6:7], 0x4
	s_load_b128 s[36:39], s[6:7], 0x24
	s_load_b256 s[20:27], s[4:5], 0x0
	s_add_co_i32 s11, s11, 4
	s_wait_xcnt 0x0
	s_add_nc_u64 s[6:7], s[6:7], 48
	s_cmp_lg_u32 s0, s11
	s_add_nc_u64 s[4:5], s[4:5], 32
	s_wait_kmcnt 0x0
	v_mul_hi_u32 v3, s13, v5
	s_delay_alu instid0(VALU_DEP_1) | instskip(NEXT) | instid1(VALU_DEP_1)
	v_add_nc_u32_e32 v3, v5, v3
	v_lshrrev_b32_e32 v3, s14, v3
	s_delay_alu instid0(VALU_DEP_1) | instskip(SKIP_1) | instid1(VALU_DEP_1)
	v_mul_hi_u32 v7, s16, v3
	v_mul_lo_u32 v13, v3, s12
	v_dual_add_nc_u32 v7, v3, v7 :: v_dual_sub_nc_u32 v5, v5, v13
	s_delay_alu instid0(VALU_DEP_1) | instskip(NEXT) | instid1(VALU_DEP_2)
	v_lshrrev_b32_e32 v7, s17, v7
	v_mad_u32 v12, v5, s21, v12
	v_mad_u32 v2, v5, s20, v2
	s_delay_alu instid0(VALU_DEP_3) | instskip(NEXT) | instid1(VALU_DEP_1)
	v_mul_hi_u32 v11, s19, v7
	v_add_nc_u32_e32 v11, v7, v11
	s_delay_alu instid0(VALU_DEP_1) | instskip(NEXT) | instid1(VALU_DEP_1)
	v_lshrrev_b32_e32 v11, s36, v11
	v_mul_hi_u32 v14, s38, v11
	s_delay_alu instid0(VALU_DEP_1) | instskip(NEXT) | instid1(VALU_DEP_1)
	v_add_nc_u32_e32 v5, v11, v14
	v_lshrrev_b32_e32 v5, s39, v5
	v_mul_lo_u32 v13, v7, s15
	s_delay_alu instid0(VALU_DEP_1) | instskip(SKIP_1) | instid1(VALU_DEP_2)
	v_sub_nc_u32_e32 v3, v3, v13
	v_mul_lo_u32 v13, v11, s18
	v_mad_u32 v12, v3, s23, v12
	v_mad_u32 v2, v3, s22, v2
	s_delay_alu instid0(VALU_DEP_3) | instskip(SKIP_1) | instid1(VALU_DEP_2)
	v_sub_nc_u32_e32 v3, v7, v13
	v_mul_lo_u32 v7, v5, s37
	v_mad_u32 v12, v3, s25, v12
	s_delay_alu instid0(VALU_DEP_4) | instskip(NEXT) | instid1(VALU_DEP_3)
	v_mad_u32 v2, v3, s24, v2
	v_sub_nc_u32_e32 v3, v11, v7
	s_delay_alu instid0(VALU_DEP_1) | instskip(NEXT) | instid1(VALU_DEP_3)
	v_mad_u32 v12, v3, s27, v12
	v_mad_u32 v2, v3, s26, v2
	s_cbranch_scc1 .LBB19_1179
; %bb.1180:
	s_delay_alu instid0(VALU_DEP_2)
	v_mov_b32_e32 v3, v12
	s_and_b32 s6, s1, 3
	s_mov_b32 s1, 0
	s_cmp_eq_u32 s6, 0
	s_cbranch_scc0 .LBB19_1184
	s_branch .LBB19_1187
.LBB19_1181:
	s_mov_b32 s10, -1
                                        ; implicit-def: $vgpr12
                                        ; implicit-def: $vgpr2
	s_branch .LBB19_1187
.LBB19_1182:
	v_dual_mov_b32 v12, 0 :: v_dual_mov_b32 v2, 0
	s_branch .LBB19_1187
.LBB19_1183:
	v_mov_b64_e32 v[2:3], 0
	v_mov_b32_e32 v5, v0
	s_mov_b32 s0, 0
                                        ; implicit-def: $vgpr12
	s_and_b32 s6, s1, 3
	s_mov_b32 s1, 0
	s_cmp_eq_u32 s6, 0
	s_cbranch_scc1 .LBB19_1187
.LBB19_1184:
	s_lshl_b32 s4, s0, 3
	s_mov_b32 s5, s1
	s_mul_u64 s[12:13], s[0:1], 12
	s_add_nc_u64 s[4:5], s[2:3], s[4:5]
	s_delay_alu instid0(SALU_CYCLE_1)
	s_add_nc_u64 s[0:1], s[4:5], 0xc4
	s_add_nc_u64 s[4:5], s[2:3], s[12:13]
.LBB19_1185:                            ; =>This Inner Loop Header: Depth=1
	s_load_b96 s[12:14], s[4:5], 0x4
	s_add_co_i32 s6, s6, -1
	s_wait_xcnt 0x0
	s_add_nc_u64 s[4:5], s[4:5], 12
	s_cmp_lg_u32 s6, 0
	s_wait_kmcnt 0x0
	v_mul_hi_u32 v7, s13, v5
	s_delay_alu instid0(VALU_DEP_1) | instskip(NEXT) | instid1(VALU_DEP_1)
	v_add_nc_u32_e32 v7, v5, v7
	v_lshrrev_b32_e32 v7, s14, v7
	s_load_b64 s[14:15], s[0:1], 0x0
	s_wait_xcnt 0x0
	s_add_nc_u64 s[0:1], s[0:1], 8
	s_delay_alu instid0(VALU_DEP_1) | instskip(NEXT) | instid1(VALU_DEP_1)
	v_mul_lo_u32 v11, v7, s12
	v_sub_nc_u32_e32 v5, v5, v11
	s_wait_kmcnt 0x0
	s_delay_alu instid0(VALU_DEP_1)
	v_mad_u32 v3, v5, s15, v3
	v_mad_u32 v2, v5, s14, v2
	v_mov_b32_e32 v5, v7
	s_cbranch_scc1 .LBB19_1185
; %bb.1186:
	s_delay_alu instid0(VALU_DEP_3)
	v_mov_b32_e32 v12, v3
.LBB19_1187:
	s_and_not1_b32 vcc_lo, exec_lo, s10
	s_cbranch_vccnz .LBB19_1190
; %bb.1188:
	s_clause 0x1
	s_load_b96 s[4:6], s[2:3], 0x4
	s_load_b64 s[0:1], s[2:3], 0xc4
	s_cmp_lt_u32 s28, 2
	s_wait_kmcnt 0x0
	v_mul_hi_u32 v2, s5, v0
	s_delay_alu instid0(VALU_DEP_1) | instskip(NEXT) | instid1(VALU_DEP_1)
	v_add_nc_u32_e32 v2, v0, v2
	v_lshrrev_b32_e32 v3, s6, v2
	s_delay_alu instid0(VALU_DEP_1) | instskip(NEXT) | instid1(VALU_DEP_1)
	v_mul_lo_u32 v2, v3, s4
	v_sub_nc_u32_e32 v0, v0, v2
	s_delay_alu instid0(VALU_DEP_1)
	v_mul_lo_u32 v12, v0, s1
	v_mul_lo_u32 v2, v0, s0
	s_cbranch_scc1 .LBB19_1190
; %bb.1189:
	s_clause 0x1
	s_load_b96 s[4:6], s[2:3], 0x10
	s_load_b64 s[0:1], s[2:3], 0xcc
	s_wait_kmcnt 0x0
	v_mul_hi_u32 v0, s5, v3
	s_delay_alu instid0(VALU_DEP_1) | instskip(NEXT) | instid1(VALU_DEP_1)
	v_add_nc_u32_e32 v0, v3, v0
	v_lshrrev_b32_e32 v0, s6, v0
	s_delay_alu instid0(VALU_DEP_1) | instskip(NEXT) | instid1(VALU_DEP_1)
	v_mul_lo_u32 v0, v0, s4
	v_sub_nc_u32_e32 v0, v3, v0
	s_delay_alu instid0(VALU_DEP_1)
	v_mad_u32 v2, v0, s0, v2
	v_mad_u32 v12, v0, s1, v12
.LBB19_1190:
	v_cmp_ne_u32_e32 vcc_lo, 1, v1
	s_cbranch_vccnz .LBB19_1196
; %bb.1191:
	s_cmp_lg_u32 s28, 0
	s_mov_b32 s10, 0
	s_cbranch_scc0 .LBB19_1197
; %bb.1192:
	s_min_u32 s1, s29, 15
	s_delay_alu instid0(SALU_CYCLE_1)
	s_add_co_i32 s1, s1, 1
	s_cmp_eq_u32 s29, 2
	s_cbranch_scc1 .LBB19_1198
; %bb.1193:
	v_dual_mov_b32 v0, 0 :: v_dual_mov_b32 v14, 0
	v_mov_b32_e32 v3, v9
	s_and_b32 s0, s1, 28
	s_add_nc_u64 s[4:5], s[2:3], 0xc4
	s_mov_b32 s11, 0
	s_mov_b64 s[6:7], s[2:3]
.LBB19_1194:                            ; =>This Inner Loop Header: Depth=1
	s_clause 0x1
	s_load_b256 s[12:19], s[6:7], 0x4
	s_load_b128 s[36:39], s[6:7], 0x24
	s_load_b256 s[20:27], s[4:5], 0x0
	s_add_co_i32 s11, s11, 4
	s_wait_xcnt 0x0
	s_add_nc_u64 s[6:7], s[6:7], 48
	s_cmp_lg_u32 s0, s11
	s_add_nc_u64 s[4:5], s[4:5], 32
	s_wait_kmcnt 0x0
	v_mul_hi_u32 v1, s13, v3
	s_delay_alu instid0(VALU_DEP_1) | instskip(NEXT) | instid1(VALU_DEP_1)
	v_add_nc_u32_e32 v1, v3, v1
	v_lshrrev_b32_e32 v1, s14, v1
	s_delay_alu instid0(VALU_DEP_1) | instskip(NEXT) | instid1(VALU_DEP_1)
	v_mul_lo_u32 v11, v1, s12
	v_sub_nc_u32_e32 v3, v3, v11
	v_mul_hi_u32 v5, s16, v1
	s_delay_alu instid0(VALU_DEP_2) | instskip(SKIP_1) | instid1(VALU_DEP_3)
	v_mad_u32 v14, v3, s21, v14
	v_mad_u32 v0, v3, s20, v0
	v_add_nc_u32_e32 v5, v1, v5
	s_delay_alu instid0(VALU_DEP_1) | instskip(NEXT) | instid1(VALU_DEP_1)
	v_lshrrev_b32_e32 v5, s17, v5
	v_mul_lo_u32 v11, v5, s15
	s_delay_alu instid0(VALU_DEP_1) | instskip(SKIP_1) | instid1(VALU_DEP_2)
	v_sub_nc_u32_e32 v1, v1, v11
	v_mul_hi_u32 v7, s19, v5
	v_mad_u32 v0, v1, s22, v0
	s_delay_alu instid0(VALU_DEP_2) | instskip(NEXT) | instid1(VALU_DEP_1)
	v_add_nc_u32_e32 v7, v5, v7
	v_lshrrev_b32_e32 v7, s36, v7
	s_delay_alu instid0(VALU_DEP_1) | instskip(SKIP_1) | instid1(VALU_DEP_2)
	v_mul_hi_u32 v13, s38, v7
	v_mul_lo_u32 v11, v7, s18
	v_add_nc_u32_e32 v3, v7, v13
	v_mad_u32 v13, v1, s23, v14
	s_delay_alu instid0(VALU_DEP_3) | instskip(NEXT) | instid1(VALU_DEP_3)
	v_sub_nc_u32_e32 v1, v5, v11
	v_lshrrev_b32_e32 v3, s39, v3
	s_delay_alu instid0(VALU_DEP_2) | instskip(NEXT) | instid1(VALU_DEP_2)
	v_mad_u32 v0, v1, s24, v0
	v_mul_lo_u32 v5, v3, s37
	v_mad_u32 v11, v1, s25, v13
	s_delay_alu instid0(VALU_DEP_2) | instskip(NEXT) | instid1(VALU_DEP_1)
	v_sub_nc_u32_e32 v1, v7, v5
	v_mad_u32 v14, v1, s27, v11
	v_mad_u32 v0, v1, s26, v0
	s_cbranch_scc1 .LBB19_1194
; %bb.1195:
	s_delay_alu instid0(VALU_DEP_2)
	v_mov_b32_e32 v1, v14
	s_and_b32 s6, s1, 3
	s_mov_b32 s1, 0
	s_cmp_eq_u32 s6, 0
	s_cbranch_scc0 .LBB19_1199
	s_branch .LBB19_1202
.LBB19_1196:
	s_mov_b32 s10, -1
                                        ; implicit-def: $vgpr14
                                        ; implicit-def: $vgpr0
	s_branch .LBB19_1202
.LBB19_1197:
	v_dual_mov_b32 v14, 0 :: v_dual_mov_b32 v0, 0
	s_branch .LBB19_1202
.LBB19_1198:
	v_mov_b64_e32 v[0:1], 0
	v_mov_b32_e32 v3, v9
	s_mov_b32 s0, 0
                                        ; implicit-def: $vgpr14
	s_and_b32 s6, s1, 3
	s_mov_b32 s1, 0
	s_cmp_eq_u32 s6, 0
	s_cbranch_scc1 .LBB19_1202
.LBB19_1199:
	s_lshl_b32 s4, s0, 3
	s_mov_b32 s5, s1
	s_mul_u64 s[12:13], s[0:1], 12
	s_add_nc_u64 s[4:5], s[2:3], s[4:5]
	s_delay_alu instid0(SALU_CYCLE_1)
	s_add_nc_u64 s[0:1], s[4:5], 0xc4
	s_add_nc_u64 s[4:5], s[2:3], s[12:13]
.LBB19_1200:                            ; =>This Inner Loop Header: Depth=1
	s_load_b96 s[12:14], s[4:5], 0x4
	s_add_co_i32 s6, s6, -1
	s_wait_xcnt 0x0
	s_add_nc_u64 s[4:5], s[4:5], 12
	s_cmp_lg_u32 s6, 0
	s_wait_kmcnt 0x0
	v_mul_hi_u32 v5, s13, v3
	s_delay_alu instid0(VALU_DEP_1) | instskip(NEXT) | instid1(VALU_DEP_1)
	v_add_nc_u32_e32 v5, v3, v5
	v_lshrrev_b32_e32 v5, s14, v5
	s_load_b64 s[14:15], s[0:1], 0x0
	s_wait_xcnt 0x0
	s_add_nc_u64 s[0:1], s[0:1], 8
	s_delay_alu instid0(VALU_DEP_1) | instskip(NEXT) | instid1(VALU_DEP_1)
	v_mul_lo_u32 v7, v5, s12
	v_sub_nc_u32_e32 v3, v3, v7
	s_wait_kmcnt 0x0
	s_delay_alu instid0(VALU_DEP_1)
	v_mad_u32 v1, v3, s15, v1
	v_mad_u32 v0, v3, s14, v0
	v_mov_b32_e32 v3, v5
	s_cbranch_scc1 .LBB19_1200
; %bb.1201:
	s_delay_alu instid0(VALU_DEP_3)
	v_mov_b32_e32 v14, v1
.LBB19_1202:
	s_and_not1_b32 vcc_lo, exec_lo, s10
	s_cbranch_vccnz .LBB19_1205
; %bb.1203:
	s_clause 0x1
	s_load_b96 s[4:6], s[2:3], 0x4
	s_load_b64 s[0:1], s[2:3], 0xc4
	s_cmp_lt_u32 s28, 2
	s_wait_kmcnt 0x0
	v_mul_hi_u32 v0, s5, v9
	s_delay_alu instid0(VALU_DEP_1) | instskip(NEXT) | instid1(VALU_DEP_1)
	v_add_nc_u32_e32 v0, v9, v0
	v_lshrrev_b32_e32 v1, s6, v0
	s_delay_alu instid0(VALU_DEP_1) | instskip(NEXT) | instid1(VALU_DEP_1)
	v_mul_lo_u32 v0, v1, s4
	v_sub_nc_u32_e32 v0, v9, v0
	s_delay_alu instid0(VALU_DEP_1)
	v_mul_lo_u32 v14, v0, s1
	v_mul_lo_u32 v0, v0, s0
	s_cbranch_scc1 .LBB19_1205
; %bb.1204:
	s_clause 0x1
	s_load_b96 s[4:6], s[2:3], 0x10
	s_load_b64 s[0:1], s[2:3], 0xcc
	s_wait_kmcnt 0x0
	v_mul_hi_u32 v3, s5, v1
	s_delay_alu instid0(VALU_DEP_1) | instskip(NEXT) | instid1(VALU_DEP_1)
	v_add_nc_u32_e32 v3, v1, v3
	v_lshrrev_b32_e32 v3, s6, v3
	s_delay_alu instid0(VALU_DEP_1) | instskip(NEXT) | instid1(VALU_DEP_1)
	v_mul_lo_u32 v3, v3, s4
	v_sub_nc_u32_e32 v1, v1, v3
	s_delay_alu instid0(VALU_DEP_1)
	v_mad_u32 v0, v1, s0, v0
	v_mad_u32 v14, v1, s1, v14
.LBB19_1205:
	v_mov_b32_e32 v9, 0
	s_load_b128 s[4:7], s[2:3], 0x148
	global_load_u8 v1, v9, s[2:3] offset:346
	s_wait_kmcnt 0x0
	v_add_nc_u64_e32 v[8:9], s[6:7], v[8:9]
	s_wait_loadcnt 0x0
	v_and_b32_e32 v3, 0xffff, v1
	v_readfirstlane_b32 s10, v1
	s_delay_alu instid0(VALU_DEP_2)
	v_cmp_gt_i32_e32 vcc_lo, 11, v3
	s_cbranch_vccnz .LBB19_1212
; %bb.1206:
	s_and_b32 s0, 0xffff, s10
	s_mov_b32 s11, 0
	s_cmp_gt_i32 s0, 25
	s_cbranch_scc0 .LBB19_1214
; %bb.1207:
	s_cmp_gt_i32 s0, 28
	s_cbranch_scc0 .LBB19_1215
; %bb.1208:
	;; [unrolled: 3-line block ×4, first 2 shown]
	s_cmp_eq_u32 s0, 46
	s_mov_b32 s13, 0
	s_cbranch_scc0 .LBB19_1220
; %bb.1211:
	global_load_b32 v1, v[8:9], off
	s_mov_b32 s1, 0
	s_mov_b32 s12, -1
	s_wait_loadcnt 0x0
	v_lshlrev_b32_e32 v1, 16, v1
	s_branch .LBB19_1222
.LBB19_1212:
	s_mov_b32 s12, 0
	s_mov_b32 s1, s8
                                        ; implicit-def: $vgpr1
	s_cbranch_execnz .LBB19_1285
.LBB19_1213:
	s_and_not1_b32 vcc_lo, exec_lo, s12
	s_cbranch_vccz .LBB19_1330
	s_branch .LBB19_1847
.LBB19_1214:
	s_mov_b32 s12, 0
	s_mov_b32 s1, 0
                                        ; implicit-def: $vgpr1
	s_cbranch_execnz .LBB19_1250
	s_branch .LBB19_1281
.LBB19_1215:
	s_mov_b32 s13, -1
	s_mov_b32 s12, 0
	s_mov_b32 s1, 0
                                        ; implicit-def: $vgpr1
	s_branch .LBB19_1231
.LBB19_1216:
	s_mov_b32 s12, 0
	s_mov_b32 s1, 0
                                        ; implicit-def: $vgpr1
	s_cbranch_execnz .LBB19_1227
	s_branch .LBB19_1230
.LBB19_1217:
	s_mov_b32 s13, -1
	s_mov_b32 s12, 0
	s_mov_b32 s1, 0
	s_branch .LBB19_1221
.LBB19_1218:
	s_and_not1_saveexec_b32 s9, s9
	s_cbranch_execz .LBB19_1057
.LBB19_1219:
	v_add_f32_e64 v1, 0x46000000, |v0|
	s_and_not1_b32 s8, s8, exec_lo
	s_delay_alu instid0(VALU_DEP_1) | instskip(NEXT) | instid1(VALU_DEP_1)
	v_and_b32_e32 v1, 0xff, v1
	v_cmp_ne_u32_e32 vcc_lo, 0, v1
	s_and_b32 s10, vcc_lo, exec_lo
	s_delay_alu instid0(SALU_CYCLE_1)
	s_or_b32 s8, s8, s10
	s_or_b32 exec_lo, exec_lo, s9
	v_mov_b32_e32 v2, 0
	s_and_saveexec_b32 s9, s8
	s_cbranch_execnz .LBB19_1058
	s_branch .LBB19_1059
.LBB19_1220:
	s_mov_b32 s1, -1
	s_mov_b32 s12, 0
.LBB19_1221:
                                        ; implicit-def: $vgpr1
.LBB19_1222:
	s_and_b32 vcc_lo, exec_lo, s13
	s_cbranch_vccz .LBB19_1225
; %bb.1223:
	s_cmp_eq_u32 s0, 44
	s_cbranch_scc0 .LBB19_1226
; %bb.1224:
	global_load_u8 v1, v[8:9], off
	s_mov_b32 s1, 0
	s_mov_b32 s12, -1
	s_wait_loadcnt 0x0
	v_lshlrev_b32_e32 v3, 23, v1
	v_cmp_ne_u32_e32 vcc_lo, 0xff, v1
	s_delay_alu instid0(VALU_DEP_2) | instskip(SKIP_1) | instid1(VALU_DEP_2)
	v_cndmask_b32_e32 v3, 0x7f800001, v3, vcc_lo
	v_cmp_ne_u32_e32 vcc_lo, 0, v1
	v_cndmask_b32_e32 v1, 0x400000, v3, vcc_lo
.LBB19_1225:
	s_branch .LBB19_1230
.LBB19_1226:
	s_mov_b32 s1, -1
                                        ; implicit-def: $vgpr1
	s_branch .LBB19_1230
.LBB19_1227:
	s_cmp_eq_u32 s0, 29
	s_cbranch_scc0 .LBB19_1229
; %bb.1228:
	global_load_b64 v[16:17], v[8:9], off
	s_mov_b32 s1, 0
	s_mov_b32 s12, -1
	s_mov_b32 s13, 0
	s_wait_loadcnt 0x0
	v_clz_i32_u32_e32 v1, v17
	s_delay_alu instid0(VALU_DEP_1) | instskip(NEXT) | instid1(VALU_DEP_1)
	v_min_u32_e32 v1, 32, v1
	v_lshlrev_b64_e32 v[16:17], v1, v[16:17]
	v_sub_nc_u32_e32 v1, 32, v1
	s_delay_alu instid0(VALU_DEP_2) | instskip(NEXT) | instid1(VALU_DEP_1)
	v_min_u32_e32 v3, 1, v16
	v_or_b32_e32 v3, v17, v3
	s_delay_alu instid0(VALU_DEP_1) | instskip(NEXT) | instid1(VALU_DEP_1)
	v_cvt_f32_u32_e32 v3, v3
	v_ldexp_f32 v1, v3, v1
	s_branch .LBB19_1231
.LBB19_1229:
	s_mov_b32 s1, -1
                                        ; implicit-def: $vgpr1
.LBB19_1230:
	s_mov_b32 s13, 0
.LBB19_1231:
	s_delay_alu instid0(SALU_CYCLE_1)
	s_and_b32 vcc_lo, exec_lo, s13
	s_cbranch_vccz .LBB19_1249
; %bb.1232:
	s_cmp_lt_i32 s0, 27
	s_cbranch_scc1 .LBB19_1235
; %bb.1233:
	s_cmp_gt_i32 s0, 27
	s_cbranch_scc0 .LBB19_1236
; %bb.1234:
	global_load_b32 v1, v[8:9], off
	s_mov_b32 s12, 0
	s_wait_loadcnt 0x0
	v_cvt_f32_u32_e32 v1, v1
	s_branch .LBB19_1237
.LBB19_1235:
	s_mov_b32 s12, -1
                                        ; implicit-def: $vgpr1
	s_branch .LBB19_1240
.LBB19_1236:
	s_mov_b32 s12, -1
                                        ; implicit-def: $vgpr1
.LBB19_1237:
	s_delay_alu instid0(SALU_CYCLE_1)
	s_and_not1_b32 vcc_lo, exec_lo, s12
	s_cbranch_vccnz .LBB19_1239
; %bb.1238:
	global_load_u16 v1, v[8:9], off
	s_wait_loadcnt 0x0
	v_cvt_f32_u32_e32 v1, v1
.LBB19_1239:
	s_mov_b32 s12, 0
.LBB19_1240:
	s_delay_alu instid0(SALU_CYCLE_1)
	s_and_not1_b32 vcc_lo, exec_lo, s12
	s_cbranch_vccnz .LBB19_1248
; %bb.1241:
	global_load_u8 v3, v[8:9], off
	s_mov_b32 s12, 0
	s_mov_b32 s13, exec_lo
	s_wait_loadcnt 0x0
	v_cmpx_lt_i16_e32 0x7f, v3
	s_xor_b32 s13, exec_lo, s13
	s_cbranch_execz .LBB19_1261
; %bb.1242:
	s_mov_b32 s12, -1
	s_mov_b32 s14, exec_lo
	v_cmpx_eq_u16_e32 0x80, v3
; %bb.1243:
	s_xor_b32 s12, exec_lo, -1
; %bb.1244:
	s_or_b32 exec_lo, exec_lo, s14
	s_delay_alu instid0(SALU_CYCLE_1)
	s_and_b32 s12, s12, exec_lo
	s_or_saveexec_b32 s13, s13
	v_mov_b32_e32 v1, 0x7f800001
	s_xor_b32 exec_lo, exec_lo, s13
	s_cbranch_execnz .LBB19_1262
.LBB19_1245:
	s_or_b32 exec_lo, exec_lo, s13
	s_and_saveexec_b32 s13, s12
	s_cbranch_execz .LBB19_1247
.LBB19_1246:
	v_and_b32_e32 v1, 0xffff, v3
	s_delay_alu instid0(VALU_DEP_1) | instskip(SKIP_1) | instid1(VALU_DEP_2)
	v_and_b32_e32 v5, 7, v1
	v_bfe_u32 v13, v1, 3, 4
	v_clz_i32_u32_e32 v7, v5
	s_delay_alu instid0(VALU_DEP_2) | instskip(NEXT) | instid1(VALU_DEP_2)
	v_cmp_eq_u32_e32 vcc_lo, 0, v13
	v_min_u32_e32 v7, 32, v7
	s_delay_alu instid0(VALU_DEP_1) | instskip(NEXT) | instid1(VALU_DEP_1)
	v_subrev_nc_u32_e32 v11, 28, v7
	v_dual_lshlrev_b32 v1, v11, v1 :: v_dual_sub_nc_u32 v7, 29, v7
	s_delay_alu instid0(VALU_DEP_1) | instskip(NEXT) | instid1(VALU_DEP_1)
	v_dual_lshlrev_b32 v3, 24, v3 :: v_dual_bitop2_b32 v1, 7, v1 bitop3:0x40
	v_cndmask_b32_e32 v1, v5, v1, vcc_lo
	s_delay_alu instid0(VALU_DEP_3) | instskip(NEXT) | instid1(VALU_DEP_3)
	v_cndmask_b32_e32 v7, v13, v7, vcc_lo
	v_and_b32_e32 v3, 0x80000000, v3
	s_delay_alu instid0(VALU_DEP_3) | instskip(NEXT) | instid1(VALU_DEP_3)
	v_lshlrev_b32_e32 v1, 20, v1
	v_lshl_add_u32 v5, v7, 23, 0x3b800000
	s_delay_alu instid0(VALU_DEP_1)
	v_or3_b32 v1, v3, v5, v1
.LBB19_1247:
	s_or_b32 exec_lo, exec_lo, s13
.LBB19_1248:
	s_mov_b32 s12, -1
.LBB19_1249:
	s_branch .LBB19_1281
.LBB19_1250:
	s_cmp_gt_i32 s0, 22
	s_cbranch_scc0 .LBB19_1260
; %bb.1251:
	s_cmp_lt_i32 s0, 24
	s_cbranch_scc1 .LBB19_1263
; %bb.1252:
	s_cmp_gt_i32 s0, 24
	s_cbranch_scc0 .LBB19_1264
; %bb.1253:
	global_load_u8 v3, v[8:9], off
	s_mov_b32 s12, exec_lo
	s_wait_loadcnt 0x0
	v_cmpx_lt_i16_e32 0x7f, v3
	s_xor_b32 s12, exec_lo, s12
	s_cbranch_execz .LBB19_1275
; %bb.1254:
	s_mov_b32 s11, -1
	s_mov_b32 s13, exec_lo
	v_cmpx_eq_u16_e32 0x80, v3
; %bb.1255:
	s_xor_b32 s11, exec_lo, -1
; %bb.1256:
	s_or_b32 exec_lo, exec_lo, s13
	s_delay_alu instid0(SALU_CYCLE_1)
	s_and_b32 s11, s11, exec_lo
	s_or_saveexec_b32 s12, s12
	v_mov_b32_e32 v1, 0x7f800001
	s_xor_b32 exec_lo, exec_lo, s12
	s_cbranch_execnz .LBB19_1276
.LBB19_1257:
	s_or_b32 exec_lo, exec_lo, s12
	s_and_saveexec_b32 s12, s11
	s_cbranch_execz .LBB19_1259
.LBB19_1258:
	v_and_b32_e32 v1, 0xffff, v3
	s_delay_alu instid0(VALU_DEP_1) | instskip(SKIP_1) | instid1(VALU_DEP_2)
	v_and_b32_e32 v5, 3, v1
	v_bfe_u32 v13, v1, 2, 5
	v_clz_i32_u32_e32 v7, v5
	s_delay_alu instid0(VALU_DEP_2) | instskip(NEXT) | instid1(VALU_DEP_2)
	v_cmp_eq_u32_e32 vcc_lo, 0, v13
	v_min_u32_e32 v7, 32, v7
	s_delay_alu instid0(VALU_DEP_1) | instskip(NEXT) | instid1(VALU_DEP_1)
	v_subrev_nc_u32_e32 v11, 29, v7
	v_dual_lshlrev_b32 v1, v11, v1 :: v_dual_sub_nc_u32 v7, 30, v7
	s_delay_alu instid0(VALU_DEP_1) | instskip(NEXT) | instid1(VALU_DEP_1)
	v_dual_lshlrev_b32 v3, 24, v3 :: v_dual_bitop2_b32 v1, 3, v1 bitop3:0x40
	v_cndmask_b32_e32 v1, v5, v1, vcc_lo
	s_delay_alu instid0(VALU_DEP_3) | instskip(NEXT) | instid1(VALU_DEP_3)
	v_cndmask_b32_e32 v7, v13, v7, vcc_lo
	v_and_b32_e32 v3, 0x80000000, v3
	s_delay_alu instid0(VALU_DEP_3) | instskip(NEXT) | instid1(VALU_DEP_3)
	v_lshlrev_b32_e32 v1, 21, v1
	v_lshl_add_u32 v5, v7, 23, 0x37800000
	s_delay_alu instid0(VALU_DEP_1)
	v_or3_b32 v1, v3, v5, v1
.LBB19_1259:
	s_or_b32 exec_lo, exec_lo, s12
	s_mov_b32 s11, 0
	s_branch .LBB19_1265
.LBB19_1260:
                                        ; implicit-def: $vgpr1
	s_mov_b32 s11, 0
	s_branch .LBB19_1271
.LBB19_1261:
	s_or_saveexec_b32 s13, s13
	v_mov_b32_e32 v1, 0x7f800001
	s_xor_b32 exec_lo, exec_lo, s13
	s_cbranch_execz .LBB19_1245
.LBB19_1262:
	v_cmp_ne_u16_e32 vcc_lo, 0, v3
	v_mov_b32_e32 v1, 0
	s_and_not1_b32 s12, s12, exec_lo
	s_and_b32 s14, vcc_lo, exec_lo
	s_delay_alu instid0(SALU_CYCLE_1)
	s_or_b32 s12, s12, s14
	s_or_b32 exec_lo, exec_lo, s13
	s_and_saveexec_b32 s13, s12
	s_cbranch_execnz .LBB19_1246
	s_branch .LBB19_1247
.LBB19_1263:
	s_mov_b32 s11, -1
                                        ; implicit-def: $vgpr1
	s_branch .LBB19_1268
.LBB19_1264:
	s_mov_b32 s11, -1
                                        ; implicit-def: $vgpr1
.LBB19_1265:
	s_delay_alu instid0(SALU_CYCLE_1)
	s_and_b32 vcc_lo, exec_lo, s11
	s_cbranch_vccz .LBB19_1267
; %bb.1266:
	global_load_u8 v1, v[8:9], off
	s_wait_loadcnt 0x0
	v_lshlrev_b32_e32 v1, 24, v1
	s_delay_alu instid0(VALU_DEP_1) | instskip(NEXT) | instid1(VALU_DEP_1)
	v_and_b32_e32 v3, 0x7f000000, v1
	v_clz_i32_u32_e32 v5, v3
	v_add_nc_u32_e32 v11, 0x1000000, v3
	v_cmp_ne_u32_e32 vcc_lo, 0, v3
	s_delay_alu instid0(VALU_DEP_3) | instskip(NEXT) | instid1(VALU_DEP_1)
	v_min_u32_e32 v5, 32, v5
	v_sub_nc_u32_e64 v5, v5, 4 clamp
	s_delay_alu instid0(VALU_DEP_1) | instskip(NEXT) | instid1(VALU_DEP_1)
	v_dual_lshlrev_b32 v7, v5, v3 :: v_dual_lshlrev_b32 v5, 23, v5
	v_lshrrev_b32_e32 v7, 4, v7
	s_delay_alu instid0(VALU_DEP_1) | instskip(NEXT) | instid1(VALU_DEP_1)
	v_dual_sub_nc_u32 v5, v7, v5 :: v_dual_ashrrev_i32 v7, 8, v11
	v_add_nc_u32_e32 v5, 0x3c000000, v5
	s_delay_alu instid0(VALU_DEP_1) | instskip(NEXT) | instid1(VALU_DEP_1)
	v_and_or_b32 v5, 0x7f800000, v7, v5
	v_cndmask_b32_e32 v3, 0, v5, vcc_lo
	s_delay_alu instid0(VALU_DEP_1)
	v_and_or_b32 v1, 0x80000000, v1, v3
.LBB19_1267:
	s_mov_b32 s11, 0
.LBB19_1268:
	s_delay_alu instid0(SALU_CYCLE_1)
	s_and_not1_b32 vcc_lo, exec_lo, s11
	s_cbranch_vccnz .LBB19_1270
; %bb.1269:
	global_load_u8 v1, v[8:9], off
	s_wait_loadcnt 0x0
	v_lshlrev_b32_e32 v3, 25, v1
	v_lshlrev_b16 v1, 8, v1
	s_delay_alu instid0(VALU_DEP_1) | instskip(SKIP_1) | instid1(VALU_DEP_2)
	v_and_or_b32 v7, 0x7f00, v1, 0.5
	v_bfe_i32 v1, v1, 0, 16
	v_add_f32_e32 v7, -0.5, v7
	v_lshrrev_b32_e32 v5, 4, v3
	v_cmp_gt_u32_e32 vcc_lo, 0x8000000, v3
	s_delay_alu instid0(VALU_DEP_2) | instskip(NEXT) | instid1(VALU_DEP_1)
	v_or_b32_e32 v5, 0x70000000, v5
	v_mul_f32_e32 v5, 0x7800000, v5
	s_delay_alu instid0(VALU_DEP_1) | instskip(NEXT) | instid1(VALU_DEP_1)
	v_cndmask_b32_e32 v3, v5, v7, vcc_lo
	v_and_or_b32 v1, 0x80000000, v1, v3
.LBB19_1270:
	s_mov_b32 s12, -1
	s_mov_b32 s11, 0
	s_cbranch_execnz .LBB19_1281
.LBB19_1271:
	s_cmp_gt_i32 s0, 14
	s_cbranch_scc0 .LBB19_1274
; %bb.1272:
	s_cmp_eq_u32 s0, 15
	s_cbranch_scc0 .LBB19_1277
; %bb.1273:
	global_load_u16 v1, v[8:9], off
	s_mov_b32 s1, 0
	s_mov_b32 s12, -1
	s_wait_loadcnt 0x0
	v_lshlrev_b32_e32 v1, 16, v1
	s_branch .LBB19_1279
.LBB19_1274:
	s_mov_b32 s11, -1
	s_branch .LBB19_1278
.LBB19_1275:
	s_or_saveexec_b32 s12, s12
	v_mov_b32_e32 v1, 0x7f800001
	s_xor_b32 exec_lo, exec_lo, s12
	s_cbranch_execz .LBB19_1257
.LBB19_1276:
	v_cmp_ne_u16_e32 vcc_lo, 0, v3
	v_mov_b32_e32 v1, 0
	s_and_not1_b32 s11, s11, exec_lo
	s_and_b32 s13, vcc_lo, exec_lo
	s_delay_alu instid0(SALU_CYCLE_1)
	s_or_b32 s11, s11, s13
	s_or_b32 exec_lo, exec_lo, s12
	s_and_saveexec_b32 s12, s11
	s_cbranch_execnz .LBB19_1258
	s_branch .LBB19_1259
.LBB19_1277:
	s_mov_b32 s1, -1
.LBB19_1278:
                                        ; implicit-def: $vgpr1
.LBB19_1279:
	s_and_b32 vcc_lo, exec_lo, s11
	s_mov_b32 s11, 0
	s_cbranch_vccz .LBB19_1281
; %bb.1280:
	s_cmp_lg_u32 s0, 11
	s_mov_b32 s11, -1
	s_cselect_b32 s1, -1, 0
.LBB19_1281:
	s_delay_alu instid0(SALU_CYCLE_1)
	s_and_b32 vcc_lo, exec_lo, s1
	s_mov_b32 s1, s8
	s_cbranch_vccnz .LBB19_1354
; %bb.1282:
	s_and_not1_b32 vcc_lo, exec_lo, s11
	s_cbranch_vccnz .LBB19_1284
.LBB19_1283:
	global_load_u8 v1, v[8:9], off
	s_mov_b32 s12, -1
	s_wait_loadcnt 0x0
	v_cmp_ne_u16_e32 vcc_lo, 0, v1
	v_cndmask_b32_e64 v1, 0, 1.0, vcc_lo
.LBB19_1284:
	s_branch .LBB19_1213
.LBB19_1285:
	s_and_b32 s0, 0xffff, s10
	s_delay_alu instid0(SALU_CYCLE_1)
	s_cmp_lt_i32 s0, 5
	s_cbranch_scc1 .LBB19_1290
; %bb.1286:
	s_cmp_lt_i32 s0, 8
	s_cbranch_scc1 .LBB19_1291
; %bb.1287:
	;; [unrolled: 3-line block ×3, first 2 shown]
	s_cmp_gt_i32 s0, 9
	s_cbranch_scc0 .LBB19_1293
; %bb.1289:
	global_load_b64 v[16:17], v[8:9], off
	s_mov_b32 s11, 0
	s_wait_loadcnt 0x0
	v_cvt_f32_f64_e32 v1, v[16:17]
	s_branch .LBB19_1294
.LBB19_1290:
                                        ; implicit-def: $vgpr1
	s_branch .LBB19_1311
.LBB19_1291:
                                        ; implicit-def: $vgpr1
	s_branch .LBB19_1300
.LBB19_1292:
	s_mov_b32 s11, -1
                                        ; implicit-def: $vgpr1
	s_branch .LBB19_1297
.LBB19_1293:
	s_mov_b32 s11, -1
                                        ; implicit-def: $vgpr1
.LBB19_1294:
	s_delay_alu instid0(SALU_CYCLE_1)
	s_and_not1_b32 vcc_lo, exec_lo, s11
	s_cbranch_vccnz .LBB19_1296
; %bb.1295:
	global_load_b32 v1, v[8:9], off
.LBB19_1296:
	s_mov_b32 s11, 0
.LBB19_1297:
	s_delay_alu instid0(SALU_CYCLE_1)
	s_and_not1_b32 vcc_lo, exec_lo, s11
	s_cbranch_vccnz .LBB19_1299
; %bb.1298:
	s_wait_loadcnt 0x0
	global_load_b32 v1, v[8:9], off
	s_wait_loadcnt 0x0
	v_cvt_f32_f16_e32 v1, v1
.LBB19_1299:
	s_cbranch_execnz .LBB19_1310
.LBB19_1300:
	s_cmp_lt_i32 s0, 6
	s_cbranch_scc1 .LBB19_1303
; %bb.1301:
	s_cmp_gt_i32 s0, 6
	s_cbranch_scc0 .LBB19_1304
; %bb.1302:
	global_load_b64 v[16:17], v[8:9], off
	s_mov_b32 s11, 0
	s_wait_loadcnt 0x0
	v_cvt_f32_f64_e32 v1, v[16:17]
	s_branch .LBB19_1305
.LBB19_1303:
	s_mov_b32 s11, -1
                                        ; implicit-def: $vgpr1
	s_branch .LBB19_1308
.LBB19_1304:
	s_mov_b32 s11, -1
                                        ; implicit-def: $vgpr1
.LBB19_1305:
	s_delay_alu instid0(SALU_CYCLE_1)
	s_and_not1_b32 vcc_lo, exec_lo, s11
	s_cbranch_vccnz .LBB19_1307
; %bb.1306:
	s_wait_loadcnt 0x0
	global_load_b32 v1, v[8:9], off
.LBB19_1307:
	s_mov_b32 s11, 0
.LBB19_1308:
	s_delay_alu instid0(SALU_CYCLE_1)
	s_and_not1_b32 vcc_lo, exec_lo, s11
	s_cbranch_vccnz .LBB19_1310
; %bb.1309:
	s_wait_loadcnt 0x0
	global_load_u16 v1, v[8:9], off
	s_wait_loadcnt 0x0
	v_cvt_f32_f16_e32 v1, v1
.LBB19_1310:
	s_cbranch_execnz .LBB19_1329
.LBB19_1311:
	s_cmp_lt_i32 s0, 2
	s_cbranch_scc1 .LBB19_1315
; %bb.1312:
	s_cmp_lt_i32 s0, 3
	s_cbranch_scc1 .LBB19_1316
; %bb.1313:
	s_cmp_gt_i32 s0, 3
	s_cbranch_scc0 .LBB19_1317
; %bb.1314:
	global_load_b64 v[16:17], v[8:9], off
	s_mov_b32 s11, 0
	s_wait_loadcnt 0x0
	v_xor_b32_e32 v1, v16, v17
	v_cls_i32_e32 v3, v17
	s_delay_alu instid0(VALU_DEP_2) | instskip(NEXT) | instid1(VALU_DEP_1)
	v_ashrrev_i32_e32 v1, 31, v1
	v_add_nc_u32_e32 v1, 32, v1
	s_delay_alu instid0(VALU_DEP_1) | instskip(NEXT) | instid1(VALU_DEP_1)
	v_add_min_u32_e64 v1, v3, -1, v1
	v_lshlrev_b64_e32 v[16:17], v1, v[16:17]
	v_sub_nc_u32_e32 v1, 32, v1
	s_delay_alu instid0(VALU_DEP_2) | instskip(NEXT) | instid1(VALU_DEP_1)
	v_min_u32_e32 v3, 1, v16
	v_or_b32_e32 v3, v17, v3
	s_delay_alu instid0(VALU_DEP_1) | instskip(NEXT) | instid1(VALU_DEP_1)
	v_cvt_f32_i32_e32 v3, v3
	v_ldexp_f32 v1, v3, v1
	s_branch .LBB19_1318
.LBB19_1315:
                                        ; implicit-def: $vgpr1
	s_branch .LBB19_1324
.LBB19_1316:
	s_mov_b32 s11, -1
                                        ; implicit-def: $vgpr1
	s_branch .LBB19_1321
.LBB19_1317:
	s_mov_b32 s11, -1
                                        ; implicit-def: $vgpr1
.LBB19_1318:
	s_delay_alu instid0(SALU_CYCLE_1)
	s_and_not1_b32 vcc_lo, exec_lo, s11
	s_cbranch_vccnz .LBB19_1320
; %bb.1319:
	s_wait_loadcnt 0x0
	global_load_b32 v1, v[8:9], off
	s_wait_loadcnt 0x0
	v_cvt_f32_i32_e32 v1, v1
.LBB19_1320:
	s_mov_b32 s11, 0
.LBB19_1321:
	s_delay_alu instid0(SALU_CYCLE_1)
	s_and_not1_b32 vcc_lo, exec_lo, s11
	s_cbranch_vccnz .LBB19_1323
; %bb.1322:
	s_wait_loadcnt 0x0
	global_load_i16 v1, v[8:9], off
	s_wait_loadcnt 0x0
	v_cvt_f32_i32_e32 v1, v1
.LBB19_1323:
	s_cbranch_execnz .LBB19_1329
.LBB19_1324:
	s_cmp_gt_i32 s0, 0
	s_mov_b32 s0, 0
	s_cbranch_scc0 .LBB19_1326
; %bb.1325:
	s_wait_loadcnt 0x0
	global_load_i8 v1, v[8:9], off
	s_wait_loadcnt 0x0
	v_cvt_f32_i32_e32 v1, v1
	s_branch .LBB19_1327
.LBB19_1326:
	s_mov_b32 s0, -1
                                        ; implicit-def: $vgpr1
.LBB19_1327:
	s_delay_alu instid0(SALU_CYCLE_1)
	s_and_not1_b32 vcc_lo, exec_lo, s0
	s_cbranch_vccnz .LBB19_1329
; %bb.1328:
	s_wait_loadcnt 0x0
	global_load_u8 v1, v[8:9], off
	s_wait_loadcnt 0x0
	v_cvt_f32_ubyte0_e32 v1, v1
.LBB19_1329:
.LBB19_1330:
	s_wait_loadcnt 0x0
	s_delay_alu instid0(VALU_DEP_1)
	v_mul_f32_e64 v3, 0x3fb8aa3b, |v1|
	s_mov_b32 s11, exec_lo
                                        ; implicit-def: $vgpr8
	s_wait_xcnt 0x0
	v_cmpx_ge_f32_e64 0x41000000, |v1|
	s_xor_b32 s11, exec_lo, s11
	s_cbranch_execz .LBB19_1336
; %bb.1331:
	v_fma_f32 v5, |v1|, 0.5, -2.0
	s_mov_b32 s0, 0x224cf950
	v_rndne_f32_e32 v9, v3
	v_fma_f32 v11, 0x3fb8aa3b, |v1|, -v3
	v_cmp_ngt_f32_e64 vcc_lo, 0xc2ce8ed0, |v1|
	v_fmaak_f32 v7, s0, v5, 0xa3c2be86
	v_cmp_nlt_f32_e64 s0, 0x42b17218, |v1|
	v_sub_f32_e32 v3, v3, v9
	v_fma_f32 v11, 0x32a5705f, |v1|, v11
	s_delay_alu instid0(VALU_DEP_4) | instskip(NEXT) | instid1(VALU_DEP_1)
	v_fmaak_f32 v8, v5, v7, 0xa24cf950
	v_dual_add_f32 v3, v3, v11 :: v_dual_add_f32 v8, 0x25331f1f, v8
	s_delay_alu instid0(VALU_DEP_1) | instskip(NEXT) | instid1(VALU_DEP_1)
	v_exp_f32_e32 v3, v3
	v_fma_f32 v7, v5, v8, -v7
	s_delay_alu instid0(VALU_DEP_1) | instskip(NEXT) | instid1(VALU_DEP_1)
	v_add_f32_e32 v7, 0xa69f5554, v7
	v_fma_f32 v8, v5, v7, -v8
	s_delay_alu instid0(VALU_DEP_1) | instskip(NEXT) | instid1(VALU_DEP_1)
	v_add_f32_e32 v8, 0x2808ebf8, v8
	;; [unrolled: 3-line block ×25, first 2 shown]
	v_fma_f32 v5, v5, v7, -v8
	v_cvt_i32_f32_e32 v7, v9
	s_delay_alu instid0(VALU_DEP_2) | instskip(NEXT) | instid1(VALU_DEP_2)
	v_add_f32_e32 v5, 0x3e81531c, v5
	v_ldexp_f32 v3, v3, v7
	s_delay_alu instid0(VALU_DEP_1) | instskip(SKIP_1) | instid1(VALU_DEP_2)
	v_dual_sub_f32 v5, v5, v8 :: v_dual_cndmask_b32 v7, 0, v3, vcc_lo
	v_cmp_ngt_f32_e32 vcc_lo, 0, v1
                                        ; implicit-def: $vgpr8
	v_mul_f32_e32 v5, 0.5, v5
	s_delay_alu instid0(VALU_DEP_1) | instskip(NEXT) | instid1(VALU_DEP_4)
	v_mul_f32_e64 v3, |v1|, v5
	v_cndmask_b32_e64 v1, 0x7f800000, v7, s0
	s_and_saveexec_b32 s0, vcc_lo
	s_delay_alu instid0(SALU_CYCLE_1)
	s_xor_b32 s0, exec_lo, s0
; %bb.1332:
	s_delay_alu instid0(VALU_DEP_1)
	v_mul_f32_e32 v8, v1, v3
                                        ; implicit-def: $vgpr1
                                        ; implicit-def: $vgpr3
; %bb.1333:
	s_and_not1_saveexec_b32 s0, s0
; %bb.1334:
	v_mul_f32_e64 v8, v3, -v1
; %bb.1335:
	s_or_b32 exec_lo, exec_lo, s0
                                        ; implicit-def: $vgpr1
                                        ; implicit-def: $vgpr3
.LBB19_1336:
	s_and_not1_saveexec_b32 s11, s11
	s_cbranch_execz .LBB19_1342
; %bb.1337:
	v_and_b32_e32 v5, 0x7fffffff, v1
	s_mov_b32 s0, 0x230aab6e
	s_delay_alu instid0(VALU_DEP_1) | instskip(SKIP_1) | instid1(VALU_DEP_2)
	v_div_scale_f32 v7, null, v5, v5, 0x42000000
	v_div_scale_f32 v5, vcc_lo, 0x42000000, v5, 0x42000000
	v_rcp_f32_e32 v8, v7
	v_nop
	s_delay_alu instid0(TRANS32_DEP_1) | instskip(NEXT) | instid1(VALU_DEP_1)
	v_fma_f32 v9, -v7, v8, 1.0
	v_fmac_f32_e32 v8, v9, v8
	s_delay_alu instid0(VALU_DEP_1) | instskip(NEXT) | instid1(VALU_DEP_1)
	v_mul_f32_e32 v9, v5, v8
	v_fma_f32 v11, -v7, v9, v5
	s_delay_alu instid0(VALU_DEP_1) | instskip(SKIP_1) | instid1(VALU_DEP_2)
	v_fmac_f32_e32 v9, v11, v8
	v_fma_f32 v11, 0x3fb8aa3b, |v1|, -v3
	v_fma_f32 v5, -v7, v9, v5
	s_delay_alu instid0(VALU_DEP_2) | instskip(NEXT) | instid1(VALU_DEP_2)
	v_fma_f32 v11, 0x32a5705f, |v1|, v11
	v_div_fmas_f32 v5, v5, v8, v9
	v_rndne_f32_e32 v9, v3
	v_cmp_ngt_f32_e64 vcc_lo, 0xc2ce8ed0, |v1|
	s_delay_alu instid0(VALU_DEP_3) | instskip(NEXT) | instid1(VALU_DEP_3)
	v_div_fixup_f32 v5, v5, |v1|, 0x42000000
	v_sub_f32_e32 v3, v3, v9
	v_cvt_i32_f32_e32 v9, v9
	s_delay_alu instid0(VALU_DEP_2) | instskip(NEXT) | instid1(VALU_DEP_1)
	v_dual_add_f32 v5, -2.0, v5 :: v_dual_add_f32 v3, v3, v11
	v_fmaak_f32 v7, s0, v5, 0x22a2dc57
	v_cmp_nlt_f32_e64 s0, 0x42b17218, |v1|
	s_delay_alu instid0(VALU_DEP_3) | instskip(NEXT) | instid1(VALU_DEP_2)
	v_exp_f32_e32 v3, v3
	v_fmaak_f32 v8, v5, v7, 0xa30aab6e
	s_delay_alu instid0(TRANS32_DEP_1) | instskip(NEXT) | instid1(VALU_DEP_1)
	v_ldexp_f32 v3, v3, v9
	v_dual_add_f32 v8, 0xa456751e, v8 :: v_dual_cndmask_b32 v3, 0, v3
	s_delay_alu instid0(VALU_DEP_1) | instskip(NEXT) | instid1(VALU_DEP_2)
	v_fma_f32 v7, v5, v8, -v7
	v_cndmask_b32_e64 v3, 0x7f800000, v3, s0
	s_delay_alu instid0(VALU_DEP_2) | instskip(SKIP_1) | instid1(VALU_DEP_1)
	v_add_f32_e32 v7, 0xa4140365, v7
	s_mov_b32 s0, exec_lo
	v_fma_f32 v8, v5, v7, -v8
	s_delay_alu instid0(VALU_DEP_1) | instskip(NEXT) | instid1(VALU_DEP_1)
	v_add_f32_e32 v8, 0x25aac8b0, v8
	v_fma_f32 v7, v5, v8, -v7
	s_delay_alu instid0(VALU_DEP_1) | instskip(NEXT) | instid1(VALU_DEP_1)
	v_add_f32_e32 v7, 0x25beb473, v7
	;; [unrolled: 3-line block ×21, first 2 shown]
	v_sub_f32_e32 v5, v5, v8
                                        ; implicit-def: $vgpr8
	v_cmpx_ngt_f32_e32 0, v1
	s_xor_b32 s12, exec_lo, s0
	s_cbranch_execz .LBB19_1339
; %bb.1338:
	v_mul_f32_e64 v7, 0x4f800000, |v1|
	v_cmp_gt_f32_e64 vcc_lo, 0xf800000, |v1|
	v_mul_f32_e32 v5, 0.5, v5
	s_delay_alu instid0(VALU_DEP_2) | instskip(NEXT) | instid1(VALU_DEP_2)
	v_cndmask_b32_e64 v1, |v1|, v7, vcc_lo
	v_mul_f32_e32 v3, v3, v5
	s_delay_alu instid0(VALU_DEP_2) | instskip(SKIP_1) | instid1(TRANS32_DEP_1)
	v_sqrt_f32_e32 v7, v1
	v_nop
	v_dual_add_nc_u32 v8, -1, v7 :: v_dual_add_nc_u32 v9, 1, v7
	s_delay_alu instid0(VALU_DEP_1) | instskip(NEXT) | instid1(VALU_DEP_1)
	v_dual_fma_f32 v11, -v8, v7, v1 :: v_dual_fma_f32 v13, -v9, v7, v1
	v_cmp_ge_f32_e64 s0, 0, v11
	s_delay_alu instid0(VALU_DEP_1) | instskip(NEXT) | instid1(VALU_DEP_3)
	v_cndmask_b32_e64 v7, v7, v8, s0
	v_cmp_lt_f32_e64 s0, 0, v13
	s_delay_alu instid0(VALU_DEP_1) | instskip(NEXT) | instid1(VALU_DEP_1)
	v_cndmask_b32_e64 v7, v7, v9, s0
	v_mul_f32_e32 v8, 0x37800000, v7
	s_delay_alu instid0(VALU_DEP_1) | instskip(SKIP_1) | instid1(VALU_DEP_2)
	v_cndmask_b32_e32 v7, v7, v8, vcc_lo
	v_cmp_class_f32_e64 vcc_lo, v1, 0x260
	v_cndmask_b32_e32 v1, v7, v1, vcc_lo
	s_delay_alu instid0(VALU_DEP_1) | instskip(NEXT) | instid1(VALU_DEP_1)
	v_div_scale_f32 v5, null, v1, v1, v3
	v_rcp_f32_e32 v7, v5
	v_nop
	s_delay_alu instid0(TRANS32_DEP_1) | instskip(NEXT) | instid1(VALU_DEP_1)
	v_fma_f32 v8, -v5, v7, 1.0
	v_fmac_f32_e32 v7, v8, v7
	v_div_scale_f32 v8, vcc_lo, v3, v1, v3
	s_delay_alu instid0(VALU_DEP_1) | instskip(NEXT) | instid1(VALU_DEP_1)
	v_mul_f32_e32 v9, v8, v7
	v_fma_f32 v11, -v5, v9, v8
	s_delay_alu instid0(VALU_DEP_1) | instskip(NEXT) | instid1(VALU_DEP_1)
	v_fmac_f32_e32 v9, v11, v7
	v_fma_f32 v5, -v5, v9, v8
	s_delay_alu instid0(VALU_DEP_1) | instskip(NEXT) | instid1(VALU_DEP_1)
	v_div_fmas_f32 v5, v5, v7, v9
	v_div_fixup_f32 v8, v5, v1, v3
                                        ; implicit-def: $vgpr1
                                        ; implicit-def: $vgpr5
                                        ; implicit-def: $vgpr3
.LBB19_1339:
	s_and_not1_saveexec_b32 s12, s12
	s_cbranch_execz .LBB19_1341
; %bb.1340:
	v_mul_f32_e64 v7, 0x4f800000, |v1|
	v_cmp_gt_f32_e64 vcc_lo, 0xf800000, |v1|
	v_mul_f32_e32 v5, -0.5, v5
	s_delay_alu instid0(VALU_DEP_2) | instskip(NEXT) | instid1(VALU_DEP_2)
	v_cndmask_b32_e64 v1, |v1|, v7, vcc_lo
	v_mul_f32_e32 v3, v3, v5
	s_delay_alu instid0(VALU_DEP_2) | instskip(SKIP_1) | instid1(TRANS32_DEP_1)
	v_sqrt_f32_e32 v7, v1
	v_nop
	v_dual_add_nc_u32 v8, -1, v7 :: v_dual_add_nc_u32 v9, 1, v7
	s_delay_alu instid0(VALU_DEP_1) | instskip(NEXT) | instid1(VALU_DEP_1)
	v_dual_fma_f32 v11, -v8, v7, v1 :: v_dual_fma_f32 v13, -v9, v7, v1
	v_cmp_ge_f32_e64 s0, 0, v11
	s_delay_alu instid0(VALU_DEP_1) | instskip(NEXT) | instid1(VALU_DEP_3)
	v_cndmask_b32_e64 v7, v7, v8, s0
	v_cmp_lt_f32_e64 s0, 0, v13
	s_delay_alu instid0(VALU_DEP_1) | instskip(NEXT) | instid1(VALU_DEP_1)
	v_cndmask_b32_e64 v7, v7, v9, s0
	v_mul_f32_e32 v8, 0x37800000, v7
	s_delay_alu instid0(VALU_DEP_1) | instskip(SKIP_1) | instid1(VALU_DEP_2)
	v_cndmask_b32_e32 v7, v7, v8, vcc_lo
	v_cmp_class_f32_e64 vcc_lo, v1, 0x260
	v_cndmask_b32_e32 v1, v7, v1, vcc_lo
	s_delay_alu instid0(VALU_DEP_1) | instskip(NEXT) | instid1(VALU_DEP_1)
	v_div_scale_f32 v5, null, v1, v1, v3
	v_rcp_f32_e32 v7, v5
	v_nop
	s_delay_alu instid0(TRANS32_DEP_1) | instskip(NEXT) | instid1(VALU_DEP_1)
	v_fma_f32 v8, -v5, v7, 1.0
	v_fmac_f32_e32 v7, v8, v7
	v_div_scale_f32 v8, vcc_lo, v3, v1, v3
	s_delay_alu instid0(VALU_DEP_1) | instskip(NEXT) | instid1(VALU_DEP_1)
	v_mul_f32_e32 v9, v8, v7
	v_fma_f32 v11, -v5, v9, v8
	s_delay_alu instid0(VALU_DEP_1) | instskip(NEXT) | instid1(VALU_DEP_1)
	v_fmac_f32_e32 v9, v11, v7
	v_fma_f32 v5, -v5, v9, v8
	s_delay_alu instid0(VALU_DEP_1) | instskip(NEXT) | instid1(VALU_DEP_1)
	v_div_fmas_f32 v5, v5, v7, v9
	v_div_fixup_f32 v8, v5, v1, v3
.LBB19_1341:
	s_or_b32 exec_lo, exec_lo, s12
.LBB19_1342:
	s_delay_alu instid0(SALU_CYCLE_1) | instskip(SKIP_2) | instid1(SALU_CYCLE_1)
	s_or_b32 exec_lo, exec_lo, s11
	v_mov_b32_e32 v11, 0
	s_and_b32 s10, 0xffff, s10
	s_cmp_lt_i32 s10, 11
	s_delay_alu instid0(VALU_DEP_1)
	v_add_nc_u64_e32 v[10:11], s[6:7], v[10:11]
	s_cbranch_scc1 .LBB19_1349
; %bb.1343:
	s_cmp_gt_i32 s10, 25
	s_mov_b32 s11, 0
	s_cbranch_scc0 .LBB19_1351
; %bb.1344:
	s_cmp_gt_i32 s10, 28
	s_cbranch_scc0 .LBB19_1352
; %bb.1345:
	s_cmp_gt_i32 s10, 43
	;; [unrolled: 3-line block ×3, first 2 shown]
	s_cbranch_scc0 .LBB19_1355
; %bb.1347:
	s_cmp_eq_u32 s10, 46
	s_mov_b32 s13, 0
	s_cbranch_scc0 .LBB19_1358
; %bb.1348:
	global_load_b32 v1, v[10:11], off
	s_mov_b32 s0, 0
	s_mov_b32 s12, -1
	s_wait_loadcnt 0x0
	v_lshlrev_b32_e32 v1, 16, v1
	s_branch .LBB19_1360
.LBB19_1349:
	s_mov_b32 s12, 0
                                        ; implicit-def: $vgpr1
	s_cbranch_execnz .LBB19_1425
.LBB19_1350:
	s_and_not1_b32 vcc_lo, exec_lo, s12
	s_cbranch_vccnz .LBB19_1847
	s_branch .LBB19_1472
.LBB19_1351:
	s_mov_b32 s12, 0
	s_mov_b32 s0, 0
                                        ; implicit-def: $vgpr1
	s_cbranch_execnz .LBB19_1389
	s_branch .LBB19_1421
.LBB19_1352:
	s_mov_b32 s13, -1
	s_mov_b32 s12, 0
	s_mov_b32 s0, 0
                                        ; implicit-def: $vgpr1
	s_branch .LBB19_1370
.LBB19_1353:
	s_mov_b32 s13, -1
	s_mov_b32 s12, 0
	s_mov_b32 s0, 0
                                        ; implicit-def: $vgpr1
	s_branch .LBB19_1365
.LBB19_1354:
	s_or_b32 s1, s8, exec_lo
	s_trap 2
	s_cbranch_execz .LBB19_1283
	s_branch .LBB19_1284
.LBB19_1355:
	s_mov_b32 s13, -1
	s_mov_b32 s12, 0
	s_mov_b32 s0, 0
	s_branch .LBB19_1359
.LBB19_1356:
	s_and_not1_saveexec_b32 s10, s10
	s_cbranch_execz .LBB19_1069
.LBB19_1357:
	v_add_f32_e64 v1, 0x42800000, |v0|
	s_and_not1_b32 s9, s9, exec_lo
	s_delay_alu instid0(VALU_DEP_1) | instskip(NEXT) | instid1(VALU_DEP_1)
	v_and_b32_e32 v1, 0xff, v1
	v_cmp_ne_u32_e32 vcc_lo, 0, v1
	s_and_b32 s11, vcc_lo, exec_lo
	s_delay_alu instid0(SALU_CYCLE_1)
	s_or_b32 s9, s9, s11
	s_or_b32 exec_lo, exec_lo, s10
	v_mov_b32_e32 v2, 0
	s_and_saveexec_b32 s10, s9
	s_cbranch_execnz .LBB19_1070
	s_branch .LBB19_1071
.LBB19_1358:
	s_mov_b32 s0, -1
	s_mov_b32 s12, 0
.LBB19_1359:
                                        ; implicit-def: $vgpr1
.LBB19_1360:
	s_and_b32 vcc_lo, exec_lo, s13
	s_cbranch_vccz .LBB19_1364
; %bb.1361:
	s_cmp_eq_u32 s10, 44
	s_cbranch_scc0 .LBB19_1363
; %bb.1362:
	global_load_u8 v1, v[10:11], off
	s_mov_b32 s0, 0
	s_mov_b32 s12, -1
	s_wait_loadcnt 0x0
	v_lshlrev_b32_e32 v3, 23, v1
	v_cmp_ne_u32_e32 vcc_lo, 0xff, v1
	s_delay_alu instid0(VALU_DEP_2) | instskip(SKIP_1) | instid1(VALU_DEP_2)
	v_cndmask_b32_e32 v3, 0x7f800001, v3, vcc_lo
	v_cmp_ne_u32_e32 vcc_lo, 0, v1
	v_cndmask_b32_e32 v1, 0x400000, v3, vcc_lo
	s_branch .LBB19_1364
.LBB19_1363:
	s_mov_b32 s0, -1
                                        ; implicit-def: $vgpr1
.LBB19_1364:
	s_mov_b32 s13, 0
.LBB19_1365:
	s_delay_alu instid0(SALU_CYCLE_1)
	s_and_b32 vcc_lo, exec_lo, s13
	s_cbranch_vccz .LBB19_1369
; %bb.1366:
	s_cmp_eq_u32 s10, 29
	s_cbranch_scc0 .LBB19_1368
; %bb.1367:
	global_load_b64 v[16:17], v[10:11], off
	s_mov_b32 s0, 0
	s_mov_b32 s12, -1
	s_mov_b32 s13, 0
	s_wait_loadcnt 0x0
	v_clz_i32_u32_e32 v1, v17
	s_delay_alu instid0(VALU_DEP_1) | instskip(NEXT) | instid1(VALU_DEP_1)
	v_min_u32_e32 v1, 32, v1
	v_lshlrev_b64_e32 v[16:17], v1, v[16:17]
	v_sub_nc_u32_e32 v1, 32, v1
	s_delay_alu instid0(VALU_DEP_2) | instskip(NEXT) | instid1(VALU_DEP_1)
	v_min_u32_e32 v3, 1, v16
	v_or_b32_e32 v3, v17, v3
	s_delay_alu instid0(VALU_DEP_1) | instskip(NEXT) | instid1(VALU_DEP_1)
	v_cvt_f32_u32_e32 v3, v3
	v_ldexp_f32 v1, v3, v1
	s_branch .LBB19_1370
.LBB19_1368:
	s_mov_b32 s0, -1
                                        ; implicit-def: $vgpr1
.LBB19_1369:
	s_mov_b32 s13, 0
.LBB19_1370:
	s_delay_alu instid0(SALU_CYCLE_1)
	s_and_b32 vcc_lo, exec_lo, s13
	s_cbranch_vccz .LBB19_1388
; %bb.1371:
	s_cmp_lt_i32 s10, 27
	s_cbranch_scc1 .LBB19_1374
; %bb.1372:
	s_cmp_gt_i32 s10, 27
	s_cbranch_scc0 .LBB19_1375
; %bb.1373:
	global_load_b32 v1, v[10:11], off
	s_mov_b32 s12, 0
	s_wait_loadcnt 0x0
	v_cvt_f32_u32_e32 v1, v1
	s_branch .LBB19_1376
.LBB19_1374:
	s_mov_b32 s12, -1
                                        ; implicit-def: $vgpr1
	s_branch .LBB19_1379
.LBB19_1375:
	s_mov_b32 s12, -1
                                        ; implicit-def: $vgpr1
.LBB19_1376:
	s_delay_alu instid0(SALU_CYCLE_1)
	s_and_not1_b32 vcc_lo, exec_lo, s12
	s_cbranch_vccnz .LBB19_1378
; %bb.1377:
	global_load_u16 v1, v[10:11], off
	s_wait_loadcnt 0x0
	v_cvt_f32_u32_e32 v1, v1
.LBB19_1378:
	s_mov_b32 s12, 0
.LBB19_1379:
	s_delay_alu instid0(SALU_CYCLE_1)
	s_and_not1_b32 vcc_lo, exec_lo, s12
	s_cbranch_vccnz .LBB19_1387
; %bb.1380:
	global_load_u8 v3, v[10:11], off
	s_mov_b32 s12, 0
	s_mov_b32 s13, exec_lo
	s_wait_loadcnt 0x0
	v_cmpx_lt_i16_e32 0x7f, v3
	s_xor_b32 s13, exec_lo, s13
	s_cbranch_execz .LBB19_1400
; %bb.1381:
	s_mov_b32 s12, -1
	s_mov_b32 s14, exec_lo
	v_cmpx_eq_u16_e32 0x80, v3
; %bb.1382:
	s_xor_b32 s12, exec_lo, -1
; %bb.1383:
	s_or_b32 exec_lo, exec_lo, s14
	s_delay_alu instid0(SALU_CYCLE_1)
	s_and_b32 s12, s12, exec_lo
	s_or_saveexec_b32 s13, s13
	v_mov_b32_e32 v1, 0x7f800001
	s_xor_b32 exec_lo, exec_lo, s13
	s_cbranch_execnz .LBB19_1401
.LBB19_1384:
	s_or_b32 exec_lo, exec_lo, s13
	s_and_saveexec_b32 s13, s12
	s_cbranch_execz .LBB19_1386
.LBB19_1385:
	v_and_b32_e32 v1, 0xffff, v3
	s_delay_alu instid0(VALU_DEP_1) | instskip(SKIP_1) | instid1(VALU_DEP_2)
	v_and_b32_e32 v5, 7, v1
	v_bfe_u32 v13, v1, 3, 4
	v_clz_i32_u32_e32 v7, v5
	s_delay_alu instid0(VALU_DEP_2) | instskip(NEXT) | instid1(VALU_DEP_2)
	v_cmp_eq_u32_e32 vcc_lo, 0, v13
	v_min_u32_e32 v7, 32, v7
	s_delay_alu instid0(VALU_DEP_1) | instskip(NEXT) | instid1(VALU_DEP_1)
	v_subrev_nc_u32_e32 v9, 28, v7
	v_dual_lshlrev_b32 v1, v9, v1 :: v_dual_sub_nc_u32 v7, 29, v7
	s_delay_alu instid0(VALU_DEP_1) | instskip(NEXT) | instid1(VALU_DEP_1)
	v_dual_lshlrev_b32 v3, 24, v3 :: v_dual_bitop2_b32 v1, 7, v1 bitop3:0x40
	v_cndmask_b32_e32 v1, v5, v1, vcc_lo
	s_delay_alu instid0(VALU_DEP_3) | instskip(NEXT) | instid1(VALU_DEP_3)
	v_cndmask_b32_e32 v7, v13, v7, vcc_lo
	v_and_b32_e32 v3, 0x80000000, v3
	s_delay_alu instid0(VALU_DEP_3) | instskip(NEXT) | instid1(VALU_DEP_3)
	v_lshlrev_b32_e32 v1, 20, v1
	v_lshl_add_u32 v5, v7, 23, 0x3b800000
	s_delay_alu instid0(VALU_DEP_1)
	v_or3_b32 v1, v3, v5, v1
.LBB19_1386:
	s_or_b32 exec_lo, exec_lo, s13
.LBB19_1387:
	s_mov_b32 s12, -1
.LBB19_1388:
	s_branch .LBB19_1421
.LBB19_1389:
	s_cmp_gt_i32 s10, 22
	s_cbranch_scc0 .LBB19_1399
; %bb.1390:
	s_cmp_lt_i32 s10, 24
	s_cbranch_scc1 .LBB19_1402
; %bb.1391:
	s_cmp_gt_i32 s10, 24
	s_cbranch_scc0 .LBB19_1403
; %bb.1392:
	global_load_u8 v3, v[10:11], off
	s_mov_b32 s12, exec_lo
	s_wait_loadcnt 0x0
	v_cmpx_lt_i16_e32 0x7f, v3
	s_xor_b32 s12, exec_lo, s12
	s_cbranch_execz .LBB19_1415
; %bb.1393:
	s_mov_b32 s11, -1
	s_mov_b32 s13, exec_lo
	v_cmpx_eq_u16_e32 0x80, v3
; %bb.1394:
	s_xor_b32 s11, exec_lo, -1
; %bb.1395:
	s_or_b32 exec_lo, exec_lo, s13
	s_delay_alu instid0(SALU_CYCLE_1)
	s_and_b32 s11, s11, exec_lo
	s_or_saveexec_b32 s12, s12
	v_mov_b32_e32 v1, 0x7f800001
	s_xor_b32 exec_lo, exec_lo, s12
	s_cbranch_execnz .LBB19_1416
.LBB19_1396:
	s_or_b32 exec_lo, exec_lo, s12
	s_and_saveexec_b32 s12, s11
	s_cbranch_execz .LBB19_1398
.LBB19_1397:
	v_and_b32_e32 v1, 0xffff, v3
	s_delay_alu instid0(VALU_DEP_1) | instskip(SKIP_1) | instid1(VALU_DEP_2)
	v_and_b32_e32 v5, 3, v1
	v_bfe_u32 v13, v1, 2, 5
	v_clz_i32_u32_e32 v7, v5
	s_delay_alu instid0(VALU_DEP_2) | instskip(NEXT) | instid1(VALU_DEP_2)
	v_cmp_eq_u32_e32 vcc_lo, 0, v13
	v_min_u32_e32 v7, 32, v7
	s_delay_alu instid0(VALU_DEP_1) | instskip(NEXT) | instid1(VALU_DEP_1)
	v_subrev_nc_u32_e32 v9, 29, v7
	v_dual_lshlrev_b32 v1, v9, v1 :: v_dual_sub_nc_u32 v7, 30, v7
	s_delay_alu instid0(VALU_DEP_1) | instskip(NEXT) | instid1(VALU_DEP_1)
	v_dual_lshlrev_b32 v3, 24, v3 :: v_dual_bitop2_b32 v1, 3, v1 bitop3:0x40
	v_cndmask_b32_e32 v1, v5, v1, vcc_lo
	s_delay_alu instid0(VALU_DEP_3) | instskip(NEXT) | instid1(VALU_DEP_3)
	v_cndmask_b32_e32 v7, v13, v7, vcc_lo
	v_and_b32_e32 v3, 0x80000000, v3
	s_delay_alu instid0(VALU_DEP_3) | instskip(NEXT) | instid1(VALU_DEP_3)
	v_lshlrev_b32_e32 v1, 21, v1
	v_lshl_add_u32 v5, v7, 23, 0x37800000
	s_delay_alu instid0(VALU_DEP_1)
	v_or3_b32 v1, v3, v5, v1
.LBB19_1398:
	s_or_b32 exec_lo, exec_lo, s12
	s_mov_b32 s11, 0
	s_branch .LBB19_1404
.LBB19_1399:
	s_mov_b32 s11, -1
                                        ; implicit-def: $vgpr1
	s_branch .LBB19_1410
.LBB19_1400:
	s_or_saveexec_b32 s13, s13
	v_mov_b32_e32 v1, 0x7f800001
	s_xor_b32 exec_lo, exec_lo, s13
	s_cbranch_execz .LBB19_1384
.LBB19_1401:
	v_cmp_ne_u16_e32 vcc_lo, 0, v3
	v_mov_b32_e32 v1, 0
	s_and_not1_b32 s12, s12, exec_lo
	s_and_b32 s14, vcc_lo, exec_lo
	s_delay_alu instid0(SALU_CYCLE_1)
	s_or_b32 s12, s12, s14
	s_or_b32 exec_lo, exec_lo, s13
	s_and_saveexec_b32 s13, s12
	s_cbranch_execnz .LBB19_1385
	s_branch .LBB19_1386
.LBB19_1402:
	s_mov_b32 s11, -1
                                        ; implicit-def: $vgpr1
	s_branch .LBB19_1407
.LBB19_1403:
	s_mov_b32 s11, -1
                                        ; implicit-def: $vgpr1
.LBB19_1404:
	s_delay_alu instid0(SALU_CYCLE_1)
	s_and_b32 vcc_lo, exec_lo, s11
	s_cbranch_vccz .LBB19_1406
; %bb.1405:
	global_load_u8 v1, v[10:11], off
	s_wait_loadcnt 0x0
	v_lshlrev_b32_e32 v1, 24, v1
	s_delay_alu instid0(VALU_DEP_1) | instskip(NEXT) | instid1(VALU_DEP_1)
	v_and_b32_e32 v3, 0x7f000000, v1
	v_clz_i32_u32_e32 v5, v3
	v_add_nc_u32_e32 v9, 0x1000000, v3
	v_cmp_ne_u32_e32 vcc_lo, 0, v3
	s_delay_alu instid0(VALU_DEP_3) | instskip(NEXT) | instid1(VALU_DEP_1)
	v_min_u32_e32 v5, 32, v5
	v_sub_nc_u32_e64 v5, v5, 4 clamp
	s_delay_alu instid0(VALU_DEP_1) | instskip(NEXT) | instid1(VALU_DEP_1)
	v_dual_lshlrev_b32 v7, v5, v3 :: v_dual_lshlrev_b32 v5, 23, v5
	v_lshrrev_b32_e32 v7, 4, v7
	s_delay_alu instid0(VALU_DEP_1) | instskip(SKIP_1) | instid1(VALU_DEP_2)
	v_sub_nc_u32_e32 v5, v7, v5
	v_ashrrev_i32_e32 v7, 8, v9
	v_add_nc_u32_e32 v5, 0x3c000000, v5
	s_delay_alu instid0(VALU_DEP_1) | instskip(NEXT) | instid1(VALU_DEP_1)
	v_and_or_b32 v5, 0x7f800000, v7, v5
	v_cndmask_b32_e32 v3, 0, v5, vcc_lo
	s_delay_alu instid0(VALU_DEP_1)
	v_and_or_b32 v1, 0x80000000, v1, v3
.LBB19_1406:
	s_mov_b32 s11, 0
.LBB19_1407:
	s_delay_alu instid0(SALU_CYCLE_1)
	s_and_not1_b32 vcc_lo, exec_lo, s11
	s_cbranch_vccnz .LBB19_1409
; %bb.1408:
	global_load_u8 v1, v[10:11], off
	s_wait_loadcnt 0x0
	v_lshlrev_b32_e32 v3, 25, v1
	v_lshlrev_b16 v1, 8, v1
	s_delay_alu instid0(VALU_DEP_1) | instskip(SKIP_1) | instid1(VALU_DEP_2)
	v_and_or_b32 v7, 0x7f00, v1, 0.5
	v_bfe_i32 v1, v1, 0, 16
	v_add_f32_e32 v7, -0.5, v7
	v_lshrrev_b32_e32 v5, 4, v3
	v_cmp_gt_u32_e32 vcc_lo, 0x8000000, v3
	s_delay_alu instid0(VALU_DEP_2) | instskip(NEXT) | instid1(VALU_DEP_1)
	v_or_b32_e32 v5, 0x70000000, v5
	v_mul_f32_e32 v5, 0x7800000, v5
	s_delay_alu instid0(VALU_DEP_1) | instskip(NEXT) | instid1(VALU_DEP_1)
	v_cndmask_b32_e32 v3, v5, v7, vcc_lo
	v_and_or_b32 v1, 0x80000000, v1, v3
.LBB19_1409:
	s_mov_b32 s11, 0
	s_mov_b32 s12, -1
.LBB19_1410:
	s_and_not1_b32 vcc_lo, exec_lo, s11
	s_mov_b32 s11, 0
	s_cbranch_vccnz .LBB19_1421
; %bb.1411:
	s_cmp_gt_i32 s10, 14
	s_cbranch_scc0 .LBB19_1414
; %bb.1412:
	s_cmp_eq_u32 s10, 15
	s_cbranch_scc0 .LBB19_1417
; %bb.1413:
	global_load_u16 v1, v[10:11], off
	s_mov_b32 s0, 0
	s_mov_b32 s12, -1
	s_wait_loadcnt 0x0
	v_lshlrev_b32_e32 v1, 16, v1
	s_branch .LBB19_1419
.LBB19_1414:
	s_mov_b32 s11, -1
	s_branch .LBB19_1418
.LBB19_1415:
	s_or_saveexec_b32 s12, s12
	v_mov_b32_e32 v1, 0x7f800001
	s_xor_b32 exec_lo, exec_lo, s12
	s_cbranch_execz .LBB19_1396
.LBB19_1416:
	v_cmp_ne_u16_e32 vcc_lo, 0, v3
	v_mov_b32_e32 v1, 0
	s_and_not1_b32 s11, s11, exec_lo
	s_and_b32 s13, vcc_lo, exec_lo
	s_delay_alu instid0(SALU_CYCLE_1)
	s_or_b32 s11, s11, s13
	s_or_b32 exec_lo, exec_lo, s12
	s_and_saveexec_b32 s12, s11
	s_cbranch_execnz .LBB19_1397
	s_branch .LBB19_1398
.LBB19_1417:
	s_mov_b32 s0, -1
.LBB19_1418:
                                        ; implicit-def: $vgpr1
.LBB19_1419:
	s_and_b32 vcc_lo, exec_lo, s11
	s_mov_b32 s11, 0
	s_cbranch_vccz .LBB19_1421
; %bb.1420:
	s_cmp_lg_u32 s10, 11
	s_mov_b32 s11, -1
	s_cselect_b32 s0, -1, 0
.LBB19_1421:
	s_delay_alu instid0(SALU_CYCLE_1)
	s_and_b32 vcc_lo, exec_lo, s0
	s_cbranch_vccnz .LBB19_1496
; %bb.1422:
	s_and_not1_b32 vcc_lo, exec_lo, s11
	s_cbranch_vccnz .LBB19_1424
.LBB19_1423:
	global_load_u8 v1, v[10:11], off
	s_mov_b32 s12, -1
	s_wait_loadcnt 0x0
	v_cmp_ne_u16_e32 vcc_lo, 0, v1
	v_cndmask_b32_e64 v1, 0, 1.0, vcc_lo
.LBB19_1424:
	s_branch .LBB19_1350
.LBB19_1425:
	s_cmp_lt_i32 s10, 5
	s_cbranch_scc1 .LBB19_1430
; %bb.1426:
	s_cmp_lt_i32 s10, 8
	s_cbranch_scc1 .LBB19_1431
; %bb.1427:
	;; [unrolled: 3-line block ×3, first 2 shown]
	s_cmp_gt_i32 s10, 9
	s_cbranch_scc0 .LBB19_1433
; %bb.1429:
	global_load_b64 v[16:17], v[10:11], off
	s_mov_b32 s0, 0
	s_wait_loadcnt 0x0
	v_cvt_f32_f64_e32 v1, v[16:17]
	s_branch .LBB19_1434
.LBB19_1430:
                                        ; implicit-def: $vgpr1
	s_branch .LBB19_1452
.LBB19_1431:
	s_mov_b32 s0, -1
                                        ; implicit-def: $vgpr1
	s_branch .LBB19_1440
.LBB19_1432:
	s_mov_b32 s0, -1
                                        ; implicit-def: $vgpr1
	s_branch .LBB19_1437
.LBB19_1433:
	s_mov_b32 s0, -1
                                        ; implicit-def: $vgpr1
.LBB19_1434:
	s_delay_alu instid0(SALU_CYCLE_1)
	s_and_not1_b32 vcc_lo, exec_lo, s0
	s_cbranch_vccnz .LBB19_1436
; %bb.1435:
	global_load_b32 v1, v[10:11], off
.LBB19_1436:
	s_mov_b32 s0, 0
.LBB19_1437:
	s_delay_alu instid0(SALU_CYCLE_1)
	s_and_not1_b32 vcc_lo, exec_lo, s0
	s_cbranch_vccnz .LBB19_1439
; %bb.1438:
	s_wait_loadcnt 0x0
	global_load_b32 v1, v[10:11], off
	s_wait_loadcnt 0x0
	v_cvt_f32_f16_e32 v1, v1
.LBB19_1439:
	s_mov_b32 s0, 0
.LBB19_1440:
	s_delay_alu instid0(SALU_CYCLE_1)
	s_and_not1_b32 vcc_lo, exec_lo, s0
	s_cbranch_vccnz .LBB19_1451
; %bb.1441:
	s_cmp_lt_i32 s10, 6
	s_cbranch_scc1 .LBB19_1444
; %bb.1442:
	s_cmp_gt_i32 s10, 6
	s_cbranch_scc0 .LBB19_1445
; %bb.1443:
	global_load_b64 v[16:17], v[10:11], off
	s_mov_b32 s0, 0
	s_wait_loadcnt 0x0
	v_cvt_f32_f64_e32 v1, v[16:17]
	s_branch .LBB19_1446
.LBB19_1444:
	s_mov_b32 s0, -1
                                        ; implicit-def: $vgpr1
	s_branch .LBB19_1449
.LBB19_1445:
	s_mov_b32 s0, -1
                                        ; implicit-def: $vgpr1
.LBB19_1446:
	s_delay_alu instid0(SALU_CYCLE_1)
	s_and_not1_b32 vcc_lo, exec_lo, s0
	s_cbranch_vccnz .LBB19_1448
; %bb.1447:
	s_wait_loadcnt 0x0
	global_load_b32 v1, v[10:11], off
.LBB19_1448:
	s_mov_b32 s0, 0
.LBB19_1449:
	s_delay_alu instid0(SALU_CYCLE_1)
	s_and_not1_b32 vcc_lo, exec_lo, s0
	s_cbranch_vccnz .LBB19_1451
; %bb.1450:
	s_wait_loadcnt 0x0
	global_load_u16 v1, v[10:11], off
	s_wait_loadcnt 0x0
	v_cvt_f32_f16_e32 v1, v1
.LBB19_1451:
	s_cbranch_execnz .LBB19_1471
.LBB19_1452:
	s_cmp_lt_i32 s10, 2
	s_cbranch_scc1 .LBB19_1456
; %bb.1453:
	s_cmp_lt_i32 s10, 3
	s_cbranch_scc1 .LBB19_1457
; %bb.1454:
	s_cmp_gt_i32 s10, 3
	s_cbranch_scc0 .LBB19_1458
; %bb.1455:
	global_load_b64 v[16:17], v[10:11], off
	s_mov_b32 s0, 0
	s_wait_loadcnt 0x0
	v_xor_b32_e32 v1, v16, v17
	v_cls_i32_e32 v3, v17
	s_delay_alu instid0(VALU_DEP_2) | instskip(NEXT) | instid1(VALU_DEP_1)
	v_ashrrev_i32_e32 v1, 31, v1
	v_add_nc_u32_e32 v1, 32, v1
	s_delay_alu instid0(VALU_DEP_1) | instskip(NEXT) | instid1(VALU_DEP_1)
	v_add_min_u32_e64 v1, v3, -1, v1
	v_lshlrev_b64_e32 v[16:17], v1, v[16:17]
	v_sub_nc_u32_e32 v1, 32, v1
	s_delay_alu instid0(VALU_DEP_2) | instskip(NEXT) | instid1(VALU_DEP_1)
	v_min_u32_e32 v3, 1, v16
	v_or_b32_e32 v3, v17, v3
	s_delay_alu instid0(VALU_DEP_1) | instskip(NEXT) | instid1(VALU_DEP_1)
	v_cvt_f32_i32_e32 v3, v3
	v_ldexp_f32 v1, v3, v1
	s_branch .LBB19_1459
.LBB19_1456:
	s_mov_b32 s0, -1
                                        ; implicit-def: $vgpr1
	s_branch .LBB19_1465
.LBB19_1457:
	s_mov_b32 s0, -1
                                        ; implicit-def: $vgpr1
	s_branch .LBB19_1462
.LBB19_1458:
	s_mov_b32 s0, -1
                                        ; implicit-def: $vgpr1
.LBB19_1459:
	s_delay_alu instid0(SALU_CYCLE_1)
	s_and_not1_b32 vcc_lo, exec_lo, s0
	s_cbranch_vccnz .LBB19_1461
; %bb.1460:
	s_wait_loadcnt 0x0
	global_load_b32 v1, v[10:11], off
	s_wait_loadcnt 0x0
	v_cvt_f32_i32_e32 v1, v1
.LBB19_1461:
	s_mov_b32 s0, 0
.LBB19_1462:
	s_delay_alu instid0(SALU_CYCLE_1)
	s_and_not1_b32 vcc_lo, exec_lo, s0
	s_cbranch_vccnz .LBB19_1464
; %bb.1463:
	s_wait_loadcnt 0x0
	global_load_i16 v1, v[10:11], off
	s_wait_loadcnt 0x0
	v_cvt_f32_i32_e32 v1, v1
.LBB19_1464:
	s_mov_b32 s0, 0
.LBB19_1465:
	s_delay_alu instid0(SALU_CYCLE_1)
	s_and_not1_b32 vcc_lo, exec_lo, s0
	s_cbranch_vccnz .LBB19_1471
; %bb.1466:
	s_cmp_gt_i32 s10, 0
	s_mov_b32 s0, 0
	s_cbranch_scc0 .LBB19_1468
; %bb.1467:
	s_wait_loadcnt 0x0
	global_load_i8 v1, v[10:11], off
	s_wait_loadcnt 0x0
	v_cvt_f32_i32_e32 v1, v1
	s_branch .LBB19_1469
.LBB19_1468:
	s_mov_b32 s0, -1
                                        ; implicit-def: $vgpr1
.LBB19_1469:
	s_delay_alu instid0(SALU_CYCLE_1)
	s_and_not1_b32 vcc_lo, exec_lo, s0
	s_cbranch_vccnz .LBB19_1471
; %bb.1470:
	s_wait_loadcnt 0x0
	global_load_u8 v1, v[10:11], off
	s_wait_loadcnt 0x0
	v_cvt_f32_ubyte0_e32 v1, v1
.LBB19_1471:
.LBB19_1472:
	s_mov_b32 s11, exec_lo
                                        ; implicit-def: $vgpr10
	s_wait_loadcnt 0x0
	s_delay_alu instid0(VALU_DEP_1)
	v_cmpx_ge_f32_e64 0x41000000, |v1|
	s_xor_b32 s11, exec_lo, s11
	s_cbranch_execz .LBB19_1478
; %bb.1473:
	v_fma_f32 v3, |v1|, 0.5, -2.0
	s_mov_b32 s0, 0x224cf950
	v_mul_f32_e64 v9, 0x3fb8aa3b, |v1|
	v_cmp_ngt_f32_e64 vcc_lo, 0xc2ce8ed0, |v1|
	s_delay_alu instid0(VALU_DEP_3) | instskip(SKIP_1) | instid1(VALU_DEP_4)
	v_fmaak_f32 v5, s0, v3, 0xa3c2be86
	v_cmp_nlt_f32_e64 s0, 0x42b17218, |v1|
	v_rndne_f32_e32 v10, v9
	v_fma_f32 v11, 0x3fb8aa3b, |v1|, -v9
	s_delay_alu instid0(VALU_DEP_4) | instskip(NEXT) | instid1(VALU_DEP_3)
	v_fmaak_f32 v7, v3, v5, 0xa24cf950
	v_sub_f32_e32 v9, v9, v10
	s_delay_alu instid0(VALU_DEP_3) | instskip(NEXT) | instid1(VALU_DEP_3)
	v_fma_f32 v11, 0x32a5705f, |v1|, v11
	v_add_f32_e32 v7, 0x25331f1f, v7
	s_delay_alu instid0(VALU_DEP_2) | instskip(NEXT) | instid1(VALU_DEP_2)
	v_add_f32_e32 v9, v9, v11
	v_fma_f32 v5, v3, v7, -v5
	s_delay_alu instid0(VALU_DEP_1) | instskip(NEXT) | instid1(VALU_DEP_1)
	v_add_f32_e32 v5, 0xa69f5554, v5
	v_fma_f32 v7, v3, v5, -v7
	s_delay_alu instid0(VALU_DEP_1) | instskip(NEXT) | instid1(VALU_DEP_1)
	;; [unrolled: 3-line block ×25, first 2 shown]
	v_add_f32_e32 v5, 0xbe34a688, v5
	v_fma_f32 v3, v3, v5, -v7
	v_exp_f32_e32 v5, v9
	v_nop
	v_cvt_i32_f32_e32 v9, v10
                                        ; implicit-def: $vgpr10
	s_delay_alu instid0(VALU_DEP_3)
	v_add_f32_e32 v3, 0x3e81531c, v3
	s_delay_alu instid0(TRANS32_DEP_1) | instid1(VALU_DEP_2)
	v_ldexp_f32 v5, v5, v9
	s_delay_alu instid0(VALU_DEP_1) | instskip(SKIP_1) | instid1(VALU_DEP_2)
	v_dual_sub_f32 v3, v3, v7 :: v_dual_cndmask_b32 v5, 0, v5, vcc_lo
	v_cmp_ngt_f32_e32 vcc_lo, 0, v1
	v_mul_f32_e32 v3, 0.5, v3
	s_delay_alu instid0(VALU_DEP_1) | instskip(NEXT) | instid1(VALU_DEP_4)
	v_mul_f32_e64 v3, |v1|, v3
	v_cndmask_b32_e64 v1, 0x7f800000, v5, s0
	s_and_saveexec_b32 s0, vcc_lo
	s_delay_alu instid0(SALU_CYCLE_1)
	s_xor_b32 s0, exec_lo, s0
; %bb.1474:
	s_delay_alu instid0(VALU_DEP_1)
	v_mul_f32_e32 v10, v1, v3
                                        ; implicit-def: $vgpr1
                                        ; implicit-def: $vgpr3
; %bb.1475:
	s_and_not1_saveexec_b32 s0, s0
; %bb.1476:
	v_mul_f32_e64 v10, v3, -v1
; %bb.1477:
	s_or_b32 exec_lo, exec_lo, s0
                                        ; implicit-def: $vgpr1
.LBB19_1478:
	s_and_not1_saveexec_b32 s11, s11
	s_cbranch_execz .LBB19_1484
; %bb.1479:
	v_and_b32_e32 v3, 0x7fffffff, v1
	s_mov_b32 s0, 0x230aab6e
	s_delay_alu instid0(VALU_DEP_1) | instskip(SKIP_1) | instid1(VALU_DEP_2)
	v_div_scale_f32 v5, null, v3, v3, 0x42000000
	v_div_scale_f32 v3, vcc_lo, 0x42000000, v3, 0x42000000
	v_rcp_f32_e32 v7, v5
	v_nop
	s_delay_alu instid0(TRANS32_DEP_1) | instskip(NEXT) | instid1(VALU_DEP_1)
	v_fma_f32 v9, -v5, v7, 1.0
	v_fmac_f32_e32 v7, v9, v7
	s_delay_alu instid0(VALU_DEP_1) | instskip(NEXT) | instid1(VALU_DEP_1)
	v_mul_f32_e32 v9, v3, v7
	v_fma_f32 v10, -v5, v9, v3
	s_delay_alu instid0(VALU_DEP_1) | instskip(NEXT) | instid1(VALU_DEP_1)
	v_fmac_f32_e32 v9, v10, v7
	v_fma_f32 v3, -v5, v9, v3
	s_delay_alu instid0(VALU_DEP_1) | instskip(SKIP_2) | instid1(VALU_DEP_3)
	v_div_fmas_f32 v3, v3, v7, v9
	v_mul_f32_e64 v9, 0x3fb8aa3b, |v1|
	v_cmp_ngt_f32_e64 vcc_lo, 0xc2ce8ed0, |v1|
	v_div_fixup_f32 v3, v3, |v1|, 0x42000000
	s_delay_alu instid0(VALU_DEP_3) | instskip(SKIP_1) | instid1(VALU_DEP_2)
	v_rndne_f32_e32 v10, v9
	v_fma_f32 v11, 0x3fb8aa3b, |v1|, -v9
	v_sub_f32_e32 v9, v9, v10
	s_delay_alu instid0(VALU_DEP_2) | instskip(SKIP_1) | instid1(VALU_DEP_2)
	v_fma_f32 v11, 0x32a5705f, |v1|, v11
	v_cvt_i32_f32_e32 v10, v10
	v_add_f32_e32 v9, v9, v11
	s_delay_alu instid0(VALU_DEP_1) | instskip(SKIP_1) | instid1(TRANS32_DEP_1)
	v_exp_f32_e32 v9, v9
	v_nop
	v_ldexp_f32 v9, v9, v10
	v_add_f32_e32 v3, -2.0, v3
                                        ; implicit-def: $vgpr10
	s_delay_alu instid0(VALU_DEP_1) | instskip(SKIP_1) | instid1(VALU_DEP_2)
	v_fmaak_f32 v5, s0, v3, 0x22a2dc57
	v_cmp_nlt_f32_e64 s0, 0x42b17218, |v1|
	v_fmaak_f32 v7, v3, v5, 0xa30aab6e
	s_delay_alu instid0(VALU_DEP_1) | instskip(NEXT) | instid1(VALU_DEP_1)
	v_add_f32_e32 v7, 0xa456751e, v7
	v_fma_f32 v5, v3, v7, -v5
	s_delay_alu instid0(VALU_DEP_1) | instskip(NEXT) | instid1(VALU_DEP_1)
	v_add_f32_e32 v5, 0xa4140365, v5
	v_fma_f32 v7, v3, v5, -v7
	;; [unrolled: 3-line block ×22, first 2 shown]
	v_cndmask_b32_e32 v5, 0, v9, vcc_lo
	s_delay_alu instid0(VALU_DEP_2) | instskip(NEXT) | instid1(VALU_DEP_2)
	v_add_f32_e32 v9, 0x3f4750c6, v3
	v_cndmask_b32_e64 v3, 0x7f800000, v5, s0
	s_mov_b32 s0, exec_lo
	s_delay_alu instid0(VALU_DEP_2)
	v_sub_f32_e32 v5, v9, v7
	v_cmpx_ngt_f32_e32 0, v1
	s_xor_b32 s12, exec_lo, s0
	s_cbranch_execz .LBB19_1481
; %bb.1480:
	v_mul_f32_e64 v7, 0x4f800000, |v1|
	v_cmp_gt_f32_e64 vcc_lo, 0xf800000, |v1|
	v_mul_f32_e32 v5, 0.5, v5
	s_delay_alu instid0(VALU_DEP_2) | instskip(NEXT) | instid1(VALU_DEP_2)
	v_cndmask_b32_e64 v1, |v1|, v7, vcc_lo
	v_mul_f32_e32 v3, v3, v5
	s_delay_alu instid0(VALU_DEP_2) | instskip(SKIP_1) | instid1(TRANS32_DEP_1)
	v_sqrt_f32_e32 v7, v1
	v_nop
	v_dual_add_nc_u32 v9, -1, v7 :: v_dual_add_nc_u32 v10, 1, v7
	s_delay_alu instid0(VALU_DEP_1) | instskip(NEXT) | instid1(VALU_DEP_1)
	v_dual_fma_f32 v11, -v9, v7, v1 :: v_dual_fma_f32 v13, -v10, v7, v1
	v_cmp_ge_f32_e64 s0, 0, v11
	s_delay_alu instid0(VALU_DEP_1) | instskip(NEXT) | instid1(VALU_DEP_3)
	v_cndmask_b32_e64 v7, v7, v9, s0
	v_cmp_lt_f32_e64 s0, 0, v13
	s_delay_alu instid0(VALU_DEP_1) | instskip(NEXT) | instid1(VALU_DEP_1)
	v_cndmask_b32_e64 v7, v7, v10, s0
	v_mul_f32_e32 v9, 0x37800000, v7
	s_delay_alu instid0(VALU_DEP_1) | instskip(SKIP_1) | instid1(VALU_DEP_2)
	v_cndmask_b32_e32 v7, v7, v9, vcc_lo
	v_cmp_class_f32_e64 vcc_lo, v1, 0x260
	v_cndmask_b32_e32 v1, v7, v1, vcc_lo
	s_delay_alu instid0(VALU_DEP_1) | instskip(NEXT) | instid1(VALU_DEP_1)
	v_div_scale_f32 v5, null, v1, v1, v3
	v_rcp_f32_e32 v7, v5
	v_nop
	s_delay_alu instid0(TRANS32_DEP_1) | instskip(NEXT) | instid1(VALU_DEP_1)
	v_fma_f32 v9, -v5, v7, 1.0
	v_fmac_f32_e32 v7, v9, v7
	v_div_scale_f32 v9, vcc_lo, v3, v1, v3
	s_delay_alu instid0(VALU_DEP_1) | instskip(NEXT) | instid1(VALU_DEP_1)
	v_mul_f32_e32 v10, v9, v7
	v_fma_f32 v11, -v5, v10, v9
	s_delay_alu instid0(VALU_DEP_1) | instskip(NEXT) | instid1(VALU_DEP_1)
	v_fmac_f32_e32 v10, v11, v7
	v_fma_f32 v5, -v5, v10, v9
	s_delay_alu instid0(VALU_DEP_1) | instskip(NEXT) | instid1(VALU_DEP_1)
	v_div_fmas_f32 v5, v5, v7, v10
	v_div_fixup_f32 v10, v5, v1, v3
                                        ; implicit-def: $vgpr1
                                        ; implicit-def: $vgpr5
                                        ; implicit-def: $vgpr3
.LBB19_1481:
	s_and_not1_saveexec_b32 s12, s12
	s_cbranch_execz .LBB19_1483
; %bb.1482:
	v_mul_f32_e64 v7, 0x4f800000, |v1|
	v_cmp_gt_f32_e64 vcc_lo, 0xf800000, |v1|
	v_mul_f32_e32 v5, -0.5, v5
	s_delay_alu instid0(VALU_DEP_2) | instskip(NEXT) | instid1(VALU_DEP_2)
	v_cndmask_b32_e64 v1, |v1|, v7, vcc_lo
	v_mul_f32_e32 v3, v3, v5
	s_delay_alu instid0(VALU_DEP_2) | instskip(SKIP_1) | instid1(TRANS32_DEP_1)
	v_sqrt_f32_e32 v7, v1
	v_nop
	v_dual_add_nc_u32 v9, -1, v7 :: v_dual_add_nc_u32 v10, 1, v7
	s_delay_alu instid0(VALU_DEP_1) | instskip(NEXT) | instid1(VALU_DEP_1)
	v_dual_fma_f32 v11, -v9, v7, v1 :: v_dual_fma_f32 v13, -v10, v7, v1
	v_cmp_ge_f32_e64 s0, 0, v11
	s_delay_alu instid0(VALU_DEP_1) | instskip(NEXT) | instid1(VALU_DEP_3)
	v_cndmask_b32_e64 v7, v7, v9, s0
	v_cmp_lt_f32_e64 s0, 0, v13
	s_delay_alu instid0(VALU_DEP_1) | instskip(NEXT) | instid1(VALU_DEP_1)
	v_cndmask_b32_e64 v7, v7, v10, s0
	v_mul_f32_e32 v9, 0x37800000, v7
	s_delay_alu instid0(VALU_DEP_1) | instskip(SKIP_1) | instid1(VALU_DEP_2)
	v_cndmask_b32_e32 v7, v7, v9, vcc_lo
	v_cmp_class_f32_e64 vcc_lo, v1, 0x260
	v_cndmask_b32_e32 v1, v7, v1, vcc_lo
	s_delay_alu instid0(VALU_DEP_1) | instskip(NEXT) | instid1(VALU_DEP_1)
	v_div_scale_f32 v5, null, v1, v1, v3
	v_rcp_f32_e32 v7, v5
	v_nop
	s_delay_alu instid0(TRANS32_DEP_1) | instskip(NEXT) | instid1(VALU_DEP_1)
	v_fma_f32 v9, -v5, v7, 1.0
	v_fmac_f32_e32 v7, v9, v7
	v_div_scale_f32 v9, vcc_lo, v3, v1, v3
	s_delay_alu instid0(VALU_DEP_1) | instskip(NEXT) | instid1(VALU_DEP_1)
	v_mul_f32_e32 v10, v9, v7
	v_fma_f32 v11, -v5, v10, v9
	s_delay_alu instid0(VALU_DEP_1) | instskip(NEXT) | instid1(VALU_DEP_1)
	v_fmac_f32_e32 v10, v11, v7
	v_fma_f32 v5, -v5, v10, v9
	s_delay_alu instid0(VALU_DEP_1) | instskip(NEXT) | instid1(VALU_DEP_1)
	v_div_fmas_f32 v5, v5, v7, v10
	v_div_fixup_f32 v10, v5, v1, v3
.LBB19_1483:
	s_or_b32 exec_lo, exec_lo, s12
.LBB19_1484:
	s_delay_alu instid0(SALU_CYCLE_1) | instskip(SKIP_2) | instid1(VALU_DEP_1)
	s_or_b32 exec_lo, exec_lo, s11
	v_mov_b32_e32 v13, 0
	s_cmp_lt_i32 s10, 11
	v_add_nc_u64_e32 v[12:13], s[6:7], v[12:13]
	s_cbranch_scc1 .LBB19_1491
; %bb.1485:
	s_cmp_gt_i32 s10, 25
	s_mov_b32 s11, 0
	s_cbranch_scc0 .LBB19_1493
; %bb.1486:
	s_cmp_gt_i32 s10, 28
	s_cbranch_scc0 .LBB19_1494
; %bb.1487:
	s_cmp_gt_i32 s10, 43
	;; [unrolled: 3-line block ×3, first 2 shown]
	s_cbranch_scc0 .LBB19_1497
; %bb.1489:
	s_cmp_eq_u32 s10, 46
	s_mov_b32 s13, 0
	s_cbranch_scc0 .LBB19_1498
; %bb.1490:
	global_load_b32 v1, v[12:13], off
	s_mov_b32 s0, 0
	s_mov_b32 s12, -1
	s_wait_loadcnt 0x0
	v_lshlrev_b32_e32 v1, 16, v1
	s_branch .LBB19_1500
.LBB19_1491:
	s_mov_b32 s12, 0
                                        ; implicit-def: $vgpr1
	s_cbranch_execnz .LBB19_1566
.LBB19_1492:
	s_and_not1_b32 vcc_lo, exec_lo, s12
	s_cbranch_vccnz .LBB19_1847
	s_branch .LBB19_1614
.LBB19_1493:
	s_mov_b32 s13, -1
	s_mov_b32 s12, 0
	s_mov_b32 s0, 0
                                        ; implicit-def: $vgpr1
	s_branch .LBB19_1529
.LBB19_1494:
	s_mov_b32 s13, -1
	s_mov_b32 s12, 0
	s_mov_b32 s0, 0
                                        ; implicit-def: $vgpr1
	s_branch .LBB19_1510
.LBB19_1495:
	s_mov_b32 s13, -1
	s_mov_b32 s12, 0
	s_mov_b32 s0, 0
                                        ; implicit-def: $vgpr1
	s_branch .LBB19_1505
.LBB19_1496:
	s_or_b32 s1, s1, exec_lo
	s_trap 2
	s_cbranch_execz .LBB19_1423
	s_branch .LBB19_1424
.LBB19_1497:
	s_mov_b32 s13, -1
	s_mov_b32 s12, 0
	s_mov_b32 s0, 0
	s_branch .LBB19_1499
.LBB19_1498:
	s_mov_b32 s0, -1
	s_mov_b32 s12, 0
.LBB19_1499:
                                        ; implicit-def: $vgpr1
.LBB19_1500:
	s_and_b32 vcc_lo, exec_lo, s13
	s_cbranch_vccz .LBB19_1504
; %bb.1501:
	s_cmp_eq_u32 s10, 44
	s_cbranch_scc0 .LBB19_1503
; %bb.1502:
	global_load_u8 v1, v[12:13], off
	s_mov_b32 s0, 0
	s_mov_b32 s12, -1
	s_wait_loadcnt 0x0
	v_lshlrev_b32_e32 v3, 23, v1
	v_cmp_ne_u32_e32 vcc_lo, 0xff, v1
	s_delay_alu instid0(VALU_DEP_2) | instskip(SKIP_1) | instid1(VALU_DEP_2)
	v_cndmask_b32_e32 v3, 0x7f800001, v3, vcc_lo
	v_cmp_ne_u32_e32 vcc_lo, 0, v1
	v_cndmask_b32_e32 v1, 0x400000, v3, vcc_lo
	s_branch .LBB19_1504
.LBB19_1503:
	s_mov_b32 s0, -1
                                        ; implicit-def: $vgpr1
.LBB19_1504:
	s_mov_b32 s13, 0
.LBB19_1505:
	s_delay_alu instid0(SALU_CYCLE_1)
	s_and_b32 vcc_lo, exec_lo, s13
	s_cbranch_vccz .LBB19_1509
; %bb.1506:
	s_cmp_eq_u32 s10, 29
	s_cbranch_scc0 .LBB19_1508
; %bb.1507:
	global_load_b64 v[16:17], v[12:13], off
	s_mov_b32 s0, 0
	s_mov_b32 s12, -1
	s_mov_b32 s13, 0
	s_wait_loadcnt 0x0
	v_clz_i32_u32_e32 v1, v17
	s_delay_alu instid0(VALU_DEP_1) | instskip(NEXT) | instid1(VALU_DEP_1)
	v_min_u32_e32 v1, 32, v1
	v_lshlrev_b64_e32 v[16:17], v1, v[16:17]
	v_sub_nc_u32_e32 v1, 32, v1
	s_delay_alu instid0(VALU_DEP_2) | instskip(NEXT) | instid1(VALU_DEP_1)
	v_min_u32_e32 v3, 1, v16
	v_or_b32_e32 v3, v17, v3
	s_delay_alu instid0(VALU_DEP_1) | instskip(NEXT) | instid1(VALU_DEP_1)
	v_cvt_f32_u32_e32 v3, v3
	v_ldexp_f32 v1, v3, v1
	s_branch .LBB19_1510
.LBB19_1508:
	s_mov_b32 s0, -1
                                        ; implicit-def: $vgpr1
.LBB19_1509:
	s_mov_b32 s13, 0
.LBB19_1510:
	s_delay_alu instid0(SALU_CYCLE_1)
	s_and_b32 vcc_lo, exec_lo, s13
	s_cbranch_vccz .LBB19_1528
; %bb.1511:
	s_cmp_lt_i32 s10, 27
	s_cbranch_scc1 .LBB19_1514
; %bb.1512:
	s_cmp_gt_i32 s10, 27
	s_cbranch_scc0 .LBB19_1515
; %bb.1513:
	global_load_b32 v1, v[12:13], off
	s_mov_b32 s12, 0
	s_wait_loadcnt 0x0
	v_cvt_f32_u32_e32 v1, v1
	s_branch .LBB19_1516
.LBB19_1514:
	s_mov_b32 s12, -1
                                        ; implicit-def: $vgpr1
	s_branch .LBB19_1519
.LBB19_1515:
	s_mov_b32 s12, -1
                                        ; implicit-def: $vgpr1
.LBB19_1516:
	s_delay_alu instid0(SALU_CYCLE_1)
	s_and_not1_b32 vcc_lo, exec_lo, s12
	s_cbranch_vccnz .LBB19_1518
; %bb.1517:
	global_load_u16 v1, v[12:13], off
	s_wait_loadcnt 0x0
	v_cvt_f32_u32_e32 v1, v1
.LBB19_1518:
	s_mov_b32 s12, 0
.LBB19_1519:
	s_delay_alu instid0(SALU_CYCLE_1)
	s_and_not1_b32 vcc_lo, exec_lo, s12
	s_cbranch_vccnz .LBB19_1527
; %bb.1520:
	global_load_u8 v3, v[12:13], off
	s_mov_b32 s12, 0
	s_mov_b32 s13, exec_lo
	s_wait_loadcnt 0x0
	v_cmpx_lt_i16_e32 0x7f, v3
	s_xor_b32 s13, exec_lo, s13
	s_cbranch_execz .LBB19_1541
; %bb.1521:
	s_mov_b32 s12, -1
	s_mov_b32 s14, exec_lo
	v_cmpx_eq_u16_e32 0x80, v3
; %bb.1522:
	s_xor_b32 s12, exec_lo, -1
; %bb.1523:
	s_or_b32 exec_lo, exec_lo, s14
	s_delay_alu instid0(SALU_CYCLE_1)
	s_and_b32 s12, s12, exec_lo
	s_or_saveexec_b32 s13, s13
	v_mov_b32_e32 v1, 0x7f800001
	s_xor_b32 exec_lo, exec_lo, s13
	s_cbranch_execnz .LBB19_1542
.LBB19_1524:
	s_or_b32 exec_lo, exec_lo, s13
	s_and_saveexec_b32 s13, s12
	s_cbranch_execz .LBB19_1526
.LBB19_1525:
	v_and_b32_e32 v1, 0xffff, v3
	s_delay_alu instid0(VALU_DEP_1) | instskip(SKIP_1) | instid1(VALU_DEP_2)
	v_and_b32_e32 v5, 7, v1
	v_bfe_u32 v11, v1, 3, 4
	v_clz_i32_u32_e32 v7, v5
	s_delay_alu instid0(VALU_DEP_2) | instskip(NEXT) | instid1(VALU_DEP_2)
	v_cmp_eq_u32_e32 vcc_lo, 0, v11
	v_min_u32_e32 v7, 32, v7
	s_delay_alu instid0(VALU_DEP_1) | instskip(NEXT) | instid1(VALU_DEP_1)
	v_subrev_nc_u32_e32 v9, 28, v7
	v_dual_lshlrev_b32 v1, v9, v1 :: v_dual_sub_nc_u32 v7, 29, v7
	s_delay_alu instid0(VALU_DEP_1) | instskip(NEXT) | instid1(VALU_DEP_1)
	v_dual_lshlrev_b32 v3, 24, v3 :: v_dual_bitop2_b32 v1, 7, v1 bitop3:0x40
	v_dual_cndmask_b32 v1, v5, v1, vcc_lo :: v_dual_cndmask_b32 v7, v11, v7, vcc_lo
	s_delay_alu instid0(VALU_DEP_2) | instskip(NEXT) | instid1(VALU_DEP_2)
	v_and_b32_e32 v3, 0x80000000, v3
	v_lshlrev_b32_e32 v1, 20, v1
	s_delay_alu instid0(VALU_DEP_3) | instskip(NEXT) | instid1(VALU_DEP_1)
	v_lshl_add_u32 v5, v7, 23, 0x3b800000
	v_or3_b32 v1, v3, v5, v1
.LBB19_1526:
	s_or_b32 exec_lo, exec_lo, s13
.LBB19_1527:
	s_mov_b32 s12, -1
.LBB19_1528:
	s_mov_b32 s13, 0
.LBB19_1529:
	s_delay_alu instid0(SALU_CYCLE_1)
	s_and_b32 vcc_lo, exec_lo, s13
	s_cbranch_vccz .LBB19_1562
; %bb.1530:
	s_cmp_gt_i32 s10, 22
	s_cbranch_scc0 .LBB19_1540
; %bb.1531:
	s_cmp_lt_i32 s10, 24
	s_cbranch_scc1 .LBB19_1543
; %bb.1532:
	s_cmp_gt_i32 s10, 24
	s_cbranch_scc0 .LBB19_1544
; %bb.1533:
	global_load_u8 v3, v[12:13], off
	s_mov_b32 s12, exec_lo
	s_wait_loadcnt 0x0
	v_cmpx_lt_i16_e32 0x7f, v3
	s_xor_b32 s12, exec_lo, s12
	s_cbranch_execz .LBB19_1556
; %bb.1534:
	s_mov_b32 s11, -1
	s_mov_b32 s13, exec_lo
	v_cmpx_eq_u16_e32 0x80, v3
; %bb.1535:
	s_xor_b32 s11, exec_lo, -1
; %bb.1536:
	s_or_b32 exec_lo, exec_lo, s13
	s_delay_alu instid0(SALU_CYCLE_1)
	s_and_b32 s11, s11, exec_lo
	s_or_saveexec_b32 s12, s12
	v_mov_b32_e32 v1, 0x7f800001
	s_xor_b32 exec_lo, exec_lo, s12
	s_cbranch_execnz .LBB19_1557
.LBB19_1537:
	s_or_b32 exec_lo, exec_lo, s12
	s_and_saveexec_b32 s12, s11
	s_cbranch_execz .LBB19_1539
.LBB19_1538:
	v_and_b32_e32 v1, 0xffff, v3
	s_delay_alu instid0(VALU_DEP_1) | instskip(SKIP_1) | instid1(VALU_DEP_2)
	v_and_b32_e32 v5, 3, v1
	v_bfe_u32 v11, v1, 2, 5
	v_clz_i32_u32_e32 v7, v5
	s_delay_alu instid0(VALU_DEP_2) | instskip(NEXT) | instid1(VALU_DEP_2)
	v_cmp_eq_u32_e32 vcc_lo, 0, v11
	v_min_u32_e32 v7, 32, v7
	s_delay_alu instid0(VALU_DEP_1) | instskip(NEXT) | instid1(VALU_DEP_1)
	v_subrev_nc_u32_e32 v9, 29, v7
	v_dual_lshlrev_b32 v1, v9, v1 :: v_dual_sub_nc_u32 v7, 30, v7
	s_delay_alu instid0(VALU_DEP_1) | instskip(NEXT) | instid1(VALU_DEP_1)
	v_dual_lshlrev_b32 v3, 24, v3 :: v_dual_bitop2_b32 v1, 3, v1 bitop3:0x40
	v_dual_cndmask_b32 v1, v5, v1, vcc_lo :: v_dual_cndmask_b32 v7, v11, v7, vcc_lo
	s_delay_alu instid0(VALU_DEP_2) | instskip(NEXT) | instid1(VALU_DEP_2)
	v_and_b32_e32 v3, 0x80000000, v3
	v_lshlrev_b32_e32 v1, 21, v1
	s_delay_alu instid0(VALU_DEP_3) | instskip(NEXT) | instid1(VALU_DEP_1)
	v_lshl_add_u32 v5, v7, 23, 0x37800000
	v_or3_b32 v1, v3, v5, v1
.LBB19_1539:
	s_or_b32 exec_lo, exec_lo, s12
	s_mov_b32 s11, 0
	s_branch .LBB19_1545
.LBB19_1540:
	s_mov_b32 s11, -1
                                        ; implicit-def: $vgpr1
	s_branch .LBB19_1551
.LBB19_1541:
	s_or_saveexec_b32 s13, s13
	v_mov_b32_e32 v1, 0x7f800001
	s_xor_b32 exec_lo, exec_lo, s13
	s_cbranch_execz .LBB19_1524
.LBB19_1542:
	v_cmp_ne_u16_e32 vcc_lo, 0, v3
	v_mov_b32_e32 v1, 0
	s_and_not1_b32 s12, s12, exec_lo
	s_and_b32 s14, vcc_lo, exec_lo
	s_delay_alu instid0(SALU_CYCLE_1)
	s_or_b32 s12, s12, s14
	s_or_b32 exec_lo, exec_lo, s13
	s_and_saveexec_b32 s13, s12
	s_cbranch_execnz .LBB19_1525
	s_branch .LBB19_1526
.LBB19_1543:
	s_mov_b32 s11, -1
                                        ; implicit-def: $vgpr1
	s_branch .LBB19_1548
.LBB19_1544:
	s_mov_b32 s11, -1
                                        ; implicit-def: $vgpr1
.LBB19_1545:
	s_delay_alu instid0(SALU_CYCLE_1)
	s_and_b32 vcc_lo, exec_lo, s11
	s_cbranch_vccz .LBB19_1547
; %bb.1546:
	global_load_u8 v1, v[12:13], off
	s_wait_loadcnt 0x0
	v_lshlrev_b32_e32 v1, 24, v1
	s_delay_alu instid0(VALU_DEP_1) | instskip(NEXT) | instid1(VALU_DEP_1)
	v_and_b32_e32 v3, 0x7f000000, v1
	v_clz_i32_u32_e32 v5, v3
	v_add_nc_u32_e32 v9, 0x1000000, v3
	v_cmp_ne_u32_e32 vcc_lo, 0, v3
	s_delay_alu instid0(VALU_DEP_3) | instskip(NEXT) | instid1(VALU_DEP_1)
	v_min_u32_e32 v5, 32, v5
	v_sub_nc_u32_e64 v5, v5, 4 clamp
	s_delay_alu instid0(VALU_DEP_1) | instskip(NEXT) | instid1(VALU_DEP_1)
	v_dual_lshlrev_b32 v7, v5, v3 :: v_dual_lshlrev_b32 v5, 23, v5
	v_lshrrev_b32_e32 v7, 4, v7
	s_delay_alu instid0(VALU_DEP_1) | instskip(SKIP_1) | instid1(VALU_DEP_2)
	v_sub_nc_u32_e32 v5, v7, v5
	v_ashrrev_i32_e32 v7, 8, v9
	v_add_nc_u32_e32 v5, 0x3c000000, v5
	s_delay_alu instid0(VALU_DEP_1) | instskip(NEXT) | instid1(VALU_DEP_1)
	v_and_or_b32 v5, 0x7f800000, v7, v5
	v_cndmask_b32_e32 v3, 0, v5, vcc_lo
	s_delay_alu instid0(VALU_DEP_1)
	v_and_or_b32 v1, 0x80000000, v1, v3
.LBB19_1547:
	s_mov_b32 s11, 0
.LBB19_1548:
	s_delay_alu instid0(SALU_CYCLE_1)
	s_and_not1_b32 vcc_lo, exec_lo, s11
	s_cbranch_vccnz .LBB19_1550
; %bb.1549:
	global_load_u8 v1, v[12:13], off
	s_wait_loadcnt 0x0
	v_lshlrev_b32_e32 v3, 25, v1
	v_lshlrev_b16 v1, 8, v1
	s_delay_alu instid0(VALU_DEP_1) | instskip(SKIP_1) | instid1(VALU_DEP_2)
	v_and_or_b32 v7, 0x7f00, v1, 0.5
	v_bfe_i32 v1, v1, 0, 16
	v_add_f32_e32 v7, -0.5, v7
	v_lshrrev_b32_e32 v5, 4, v3
	v_cmp_gt_u32_e32 vcc_lo, 0x8000000, v3
	s_delay_alu instid0(VALU_DEP_2) | instskip(NEXT) | instid1(VALU_DEP_1)
	v_or_b32_e32 v5, 0x70000000, v5
	v_mul_f32_e32 v5, 0x7800000, v5
	s_delay_alu instid0(VALU_DEP_1) | instskip(NEXT) | instid1(VALU_DEP_1)
	v_cndmask_b32_e32 v3, v5, v7, vcc_lo
	v_and_or_b32 v1, 0x80000000, v1, v3
.LBB19_1550:
	s_mov_b32 s11, 0
	s_mov_b32 s12, -1
.LBB19_1551:
	s_and_not1_b32 vcc_lo, exec_lo, s11
	s_mov_b32 s11, 0
	s_cbranch_vccnz .LBB19_1562
; %bb.1552:
	s_cmp_gt_i32 s10, 14
	s_cbranch_scc0 .LBB19_1555
; %bb.1553:
	s_cmp_eq_u32 s10, 15
	s_cbranch_scc0 .LBB19_1558
; %bb.1554:
	global_load_u16 v1, v[12:13], off
	s_mov_b32 s0, 0
	s_mov_b32 s12, -1
	s_wait_loadcnt 0x0
	v_lshlrev_b32_e32 v1, 16, v1
	s_branch .LBB19_1560
.LBB19_1555:
	s_mov_b32 s11, -1
	s_branch .LBB19_1559
.LBB19_1556:
	s_or_saveexec_b32 s12, s12
	v_mov_b32_e32 v1, 0x7f800001
	s_xor_b32 exec_lo, exec_lo, s12
	s_cbranch_execz .LBB19_1537
.LBB19_1557:
	v_cmp_ne_u16_e32 vcc_lo, 0, v3
	v_mov_b32_e32 v1, 0
	s_and_not1_b32 s11, s11, exec_lo
	s_and_b32 s13, vcc_lo, exec_lo
	s_delay_alu instid0(SALU_CYCLE_1)
	s_or_b32 s11, s11, s13
	s_or_b32 exec_lo, exec_lo, s12
	s_and_saveexec_b32 s12, s11
	s_cbranch_execnz .LBB19_1538
	s_branch .LBB19_1539
.LBB19_1558:
	s_mov_b32 s0, -1
.LBB19_1559:
                                        ; implicit-def: $vgpr1
.LBB19_1560:
	s_and_b32 vcc_lo, exec_lo, s11
	s_mov_b32 s11, 0
	s_cbranch_vccz .LBB19_1562
; %bb.1561:
	s_cmp_lg_u32 s10, 11
	s_mov_b32 s11, -1
	s_cselect_b32 s0, -1, 0
.LBB19_1562:
	s_delay_alu instid0(SALU_CYCLE_1)
	s_and_b32 vcc_lo, exec_lo, s0
	s_cbranch_vccnz .LBB19_1637
; %bb.1563:
	s_and_not1_b32 vcc_lo, exec_lo, s11
	s_cbranch_vccnz .LBB19_1565
.LBB19_1564:
	global_load_u8 v1, v[12:13], off
	s_mov_b32 s12, -1
	s_wait_loadcnt 0x0
	v_cmp_ne_u16_e32 vcc_lo, 0, v1
	v_cndmask_b32_e64 v1, 0, 1.0, vcc_lo
.LBB19_1565:
	s_branch .LBB19_1492
.LBB19_1566:
	s_cmp_lt_i32 s10, 5
	s_cbranch_scc1 .LBB19_1571
; %bb.1567:
	s_cmp_lt_i32 s10, 8
	s_cbranch_scc1 .LBB19_1572
; %bb.1568:
	;; [unrolled: 3-line block ×3, first 2 shown]
	s_cmp_gt_i32 s10, 9
	s_cbranch_scc0 .LBB19_1574
; %bb.1570:
	global_load_b64 v[16:17], v[12:13], off
	s_mov_b32 s0, 0
	s_wait_loadcnt 0x0
	v_cvt_f32_f64_e32 v1, v[16:17]
	s_branch .LBB19_1575
.LBB19_1571:
	s_mov_b32 s0, -1
                                        ; implicit-def: $vgpr1
	s_branch .LBB19_1593
.LBB19_1572:
	s_mov_b32 s0, -1
                                        ; implicit-def: $vgpr1
	s_branch .LBB19_1581
.LBB19_1573:
	s_mov_b32 s0, -1
                                        ; implicit-def: $vgpr1
	s_branch .LBB19_1578
.LBB19_1574:
	s_mov_b32 s0, -1
                                        ; implicit-def: $vgpr1
.LBB19_1575:
	s_delay_alu instid0(SALU_CYCLE_1)
	s_and_not1_b32 vcc_lo, exec_lo, s0
	s_cbranch_vccnz .LBB19_1577
; %bb.1576:
	global_load_b32 v1, v[12:13], off
.LBB19_1577:
	s_mov_b32 s0, 0
.LBB19_1578:
	s_delay_alu instid0(SALU_CYCLE_1)
	s_and_not1_b32 vcc_lo, exec_lo, s0
	s_cbranch_vccnz .LBB19_1580
; %bb.1579:
	s_wait_loadcnt 0x0
	global_load_b32 v1, v[12:13], off
	s_wait_loadcnt 0x0
	v_cvt_f32_f16_e32 v1, v1
.LBB19_1580:
	s_mov_b32 s0, 0
.LBB19_1581:
	s_delay_alu instid0(SALU_CYCLE_1)
	s_and_not1_b32 vcc_lo, exec_lo, s0
	s_cbranch_vccnz .LBB19_1592
; %bb.1582:
	s_cmp_lt_i32 s10, 6
	s_cbranch_scc1 .LBB19_1585
; %bb.1583:
	s_cmp_gt_i32 s10, 6
	s_cbranch_scc0 .LBB19_1586
; %bb.1584:
	global_load_b64 v[16:17], v[12:13], off
	s_mov_b32 s0, 0
	s_wait_loadcnt 0x0
	v_cvt_f32_f64_e32 v1, v[16:17]
	s_branch .LBB19_1587
.LBB19_1585:
	s_mov_b32 s0, -1
                                        ; implicit-def: $vgpr1
	s_branch .LBB19_1590
.LBB19_1586:
	s_mov_b32 s0, -1
                                        ; implicit-def: $vgpr1
.LBB19_1587:
	s_delay_alu instid0(SALU_CYCLE_1)
	s_and_not1_b32 vcc_lo, exec_lo, s0
	s_cbranch_vccnz .LBB19_1589
; %bb.1588:
	s_wait_loadcnt 0x0
	global_load_b32 v1, v[12:13], off
.LBB19_1589:
	s_mov_b32 s0, 0
.LBB19_1590:
	s_delay_alu instid0(SALU_CYCLE_1)
	s_and_not1_b32 vcc_lo, exec_lo, s0
	s_cbranch_vccnz .LBB19_1592
; %bb.1591:
	s_wait_loadcnt 0x0
	global_load_u16 v1, v[12:13], off
	s_wait_loadcnt 0x0
	v_cvt_f32_f16_e32 v1, v1
.LBB19_1592:
	s_mov_b32 s0, 0
.LBB19_1593:
	s_delay_alu instid0(SALU_CYCLE_1)
	s_and_not1_b32 vcc_lo, exec_lo, s0
	s_cbranch_vccnz .LBB19_1613
; %bb.1594:
	s_cmp_lt_i32 s10, 2
	s_cbranch_scc1 .LBB19_1598
; %bb.1595:
	s_cmp_lt_i32 s10, 3
	s_cbranch_scc1 .LBB19_1599
; %bb.1596:
	s_cmp_gt_i32 s10, 3
	s_cbranch_scc0 .LBB19_1600
; %bb.1597:
	global_load_b64 v[16:17], v[12:13], off
	s_mov_b32 s0, 0
	s_wait_loadcnt 0x0
	v_xor_b32_e32 v1, v16, v17
	v_cls_i32_e32 v3, v17
	s_delay_alu instid0(VALU_DEP_2) | instskip(NEXT) | instid1(VALU_DEP_1)
	v_ashrrev_i32_e32 v1, 31, v1
	v_add_nc_u32_e32 v1, 32, v1
	s_delay_alu instid0(VALU_DEP_1) | instskip(NEXT) | instid1(VALU_DEP_1)
	v_add_min_u32_e64 v1, v3, -1, v1
	v_lshlrev_b64_e32 v[16:17], v1, v[16:17]
	v_sub_nc_u32_e32 v1, 32, v1
	s_delay_alu instid0(VALU_DEP_2) | instskip(NEXT) | instid1(VALU_DEP_1)
	v_min_u32_e32 v3, 1, v16
	v_or_b32_e32 v3, v17, v3
	s_delay_alu instid0(VALU_DEP_1) | instskip(NEXT) | instid1(VALU_DEP_1)
	v_cvt_f32_i32_e32 v3, v3
	v_ldexp_f32 v1, v3, v1
	s_branch .LBB19_1601
.LBB19_1598:
	s_mov_b32 s0, -1
                                        ; implicit-def: $vgpr1
	s_branch .LBB19_1607
.LBB19_1599:
	s_mov_b32 s0, -1
                                        ; implicit-def: $vgpr1
	s_branch .LBB19_1604
.LBB19_1600:
	s_mov_b32 s0, -1
                                        ; implicit-def: $vgpr1
.LBB19_1601:
	s_delay_alu instid0(SALU_CYCLE_1)
	s_and_not1_b32 vcc_lo, exec_lo, s0
	s_cbranch_vccnz .LBB19_1603
; %bb.1602:
	s_wait_loadcnt 0x0
	global_load_b32 v1, v[12:13], off
	s_wait_loadcnt 0x0
	v_cvt_f32_i32_e32 v1, v1
.LBB19_1603:
	s_mov_b32 s0, 0
.LBB19_1604:
	s_delay_alu instid0(SALU_CYCLE_1)
	s_and_not1_b32 vcc_lo, exec_lo, s0
	s_cbranch_vccnz .LBB19_1606
; %bb.1605:
	s_wait_loadcnt 0x0
	global_load_i16 v1, v[12:13], off
	s_wait_loadcnt 0x0
	v_cvt_f32_i32_e32 v1, v1
.LBB19_1606:
	s_mov_b32 s0, 0
.LBB19_1607:
	s_delay_alu instid0(SALU_CYCLE_1)
	s_and_not1_b32 vcc_lo, exec_lo, s0
	s_cbranch_vccnz .LBB19_1613
; %bb.1608:
	s_cmp_gt_i32 s10, 0
	s_mov_b32 s0, 0
	s_cbranch_scc0 .LBB19_1610
; %bb.1609:
	s_wait_loadcnt 0x0
	global_load_i8 v1, v[12:13], off
	s_wait_loadcnt 0x0
	v_cvt_f32_i32_e32 v1, v1
	s_branch .LBB19_1611
.LBB19_1610:
	s_mov_b32 s0, -1
                                        ; implicit-def: $vgpr1
.LBB19_1611:
	s_delay_alu instid0(SALU_CYCLE_1)
	s_and_not1_b32 vcc_lo, exec_lo, s0
	s_cbranch_vccnz .LBB19_1613
; %bb.1612:
	s_wait_loadcnt 0x0
	global_load_u8 v1, v[12:13], off
	s_wait_loadcnt 0x0
	v_cvt_f32_ubyte0_e32 v1, v1
.LBB19_1613:
.LBB19_1614:
	s_mov_b32 s11, exec_lo
                                        ; implicit-def: $vgpr12
	s_wait_loadcnt 0x0
	s_delay_alu instid0(VALU_DEP_1)
	v_cmpx_ge_f32_e64 0x41000000, |v1|
	s_xor_b32 s11, exec_lo, s11
	s_cbranch_execz .LBB19_1620
; %bb.1615:
	v_fma_f32 v3, |v1|, 0.5, -2.0
	s_mov_b32 s0, 0x224cf950
	v_mul_f32_e64 v9, 0x3fb8aa3b, |v1|
	v_cmp_ngt_f32_e64 vcc_lo, 0xc2ce8ed0, |v1|
	s_delay_alu instid0(VALU_DEP_3) | instskip(SKIP_1) | instid1(VALU_DEP_4)
	v_fmaak_f32 v5, s0, v3, 0xa3c2be86
	v_cmp_nlt_f32_e64 s0, 0x42b17218, |v1|
	v_rndne_f32_e32 v11, v9
	v_fma_f32 v12, 0x3fb8aa3b, |v1|, -v9
	s_delay_alu instid0(VALU_DEP_4) | instskip(NEXT) | instid1(VALU_DEP_3)
	v_fmaak_f32 v7, v3, v5, 0xa24cf950
	v_sub_f32_e32 v9, v9, v11
	s_delay_alu instid0(VALU_DEP_3) | instskip(NEXT) | instid1(VALU_DEP_3)
	v_fma_f32 v12, 0x32a5705f, |v1|, v12
	v_add_f32_e32 v7, 0x25331f1f, v7
	s_delay_alu instid0(VALU_DEP_2) | instskip(NEXT) | instid1(VALU_DEP_2)
	v_add_f32_e32 v9, v9, v12
                                        ; implicit-def: $vgpr12
	v_fma_f32 v5, v3, v7, -v5
	s_delay_alu instid0(VALU_DEP_1) | instskip(NEXT) | instid1(VALU_DEP_1)
	v_add_f32_e32 v5, 0xa69f5554, v5
	v_fma_f32 v7, v3, v5, -v7
	s_delay_alu instid0(VALU_DEP_1) | instskip(NEXT) | instid1(VALU_DEP_1)
	v_add_f32_e32 v7, 0x2808ebf8, v7
	;; [unrolled: 3-line block ×25, first 2 shown]
	v_fma_f32 v3, v3, v5, -v7
	v_exp_f32_e32 v5, v9
	v_nop
	v_cvt_i32_f32_e32 v9, v11
	s_delay_alu instid0(VALU_DEP_3)
	v_add_f32_e32 v3, 0x3e81531c, v3
	s_delay_alu instid0(TRANS32_DEP_1) | instid1(VALU_DEP_2)
	v_ldexp_f32 v5, v5, v9
	s_delay_alu instid0(VALU_DEP_1) | instskip(SKIP_1) | instid1(VALU_DEP_2)
	v_dual_sub_f32 v3, v3, v7 :: v_dual_cndmask_b32 v5, 0, v5, vcc_lo
	v_cmp_ngt_f32_e32 vcc_lo, 0, v1
	v_mul_f32_e32 v3, 0.5, v3
	s_delay_alu instid0(VALU_DEP_1) | instskip(NEXT) | instid1(VALU_DEP_4)
	v_mul_f32_e64 v3, |v1|, v3
	v_cndmask_b32_e64 v1, 0x7f800000, v5, s0
	s_and_saveexec_b32 s0, vcc_lo
	s_delay_alu instid0(SALU_CYCLE_1)
	s_xor_b32 s0, exec_lo, s0
; %bb.1616:
	s_delay_alu instid0(VALU_DEP_1)
	v_mul_f32_e32 v12, v1, v3
                                        ; implicit-def: $vgpr1
                                        ; implicit-def: $vgpr3
; %bb.1617:
	s_and_not1_saveexec_b32 s0, s0
; %bb.1618:
	v_mul_f32_e64 v12, v3, -v1
; %bb.1619:
	s_or_b32 exec_lo, exec_lo, s0
                                        ; implicit-def: $vgpr1
.LBB19_1620:
	s_and_not1_saveexec_b32 s11, s11
	s_cbranch_execz .LBB19_1626
; %bb.1621:
	v_and_b32_e32 v3, 0x7fffffff, v1
	s_mov_b32 s0, 0x230aab6e
	s_delay_alu instid0(VALU_DEP_1) | instskip(SKIP_1) | instid1(VALU_DEP_2)
	v_div_scale_f32 v5, null, v3, v3, 0x42000000
	v_div_scale_f32 v3, vcc_lo, 0x42000000, v3, 0x42000000
	v_rcp_f32_e32 v7, v5
	v_nop
	s_delay_alu instid0(TRANS32_DEP_1) | instskip(NEXT) | instid1(VALU_DEP_1)
	v_fma_f32 v9, -v5, v7, 1.0
	v_fmac_f32_e32 v7, v9, v7
	s_delay_alu instid0(VALU_DEP_1) | instskip(NEXT) | instid1(VALU_DEP_1)
	v_mul_f32_e32 v9, v3, v7
	v_fma_f32 v11, -v5, v9, v3
	s_delay_alu instid0(VALU_DEP_1) | instskip(NEXT) | instid1(VALU_DEP_1)
	v_fmac_f32_e32 v9, v11, v7
	v_fma_f32 v3, -v5, v9, v3
	s_delay_alu instid0(VALU_DEP_1) | instskip(SKIP_2) | instid1(VALU_DEP_3)
	v_div_fmas_f32 v3, v3, v7, v9
	v_mul_f32_e64 v9, 0x3fb8aa3b, |v1|
	v_cmp_ngt_f32_e64 vcc_lo, 0xc2ce8ed0, |v1|
	v_div_fixup_f32 v3, v3, |v1|, 0x42000000
	s_delay_alu instid0(VALU_DEP_3) | instskip(SKIP_1) | instid1(VALU_DEP_2)
	v_rndne_f32_e32 v11, v9
	v_fma_f32 v12, 0x3fb8aa3b, |v1|, -v9
	v_sub_f32_e32 v9, v9, v11
	s_delay_alu instid0(VALU_DEP_2) | instskip(SKIP_1) | instid1(VALU_DEP_2)
	v_fma_f32 v12, 0x32a5705f, |v1|, v12
	v_cvt_i32_f32_e32 v11, v11
	v_add_f32_e32 v9, v9, v12
                                        ; implicit-def: $vgpr12
	s_delay_alu instid0(VALU_DEP_1) | instskip(SKIP_1) | instid1(TRANS32_DEP_1)
	v_exp_f32_e32 v9, v9
	v_nop
	v_ldexp_f32 v9, v9, v11
	v_add_f32_e32 v3, -2.0, v3
	s_delay_alu instid0(VALU_DEP_1) | instskip(SKIP_1) | instid1(VALU_DEP_2)
	v_fmaak_f32 v5, s0, v3, 0x22a2dc57
	v_cmp_nlt_f32_e64 s0, 0x42b17218, |v1|
	v_fmaak_f32 v7, v3, v5, 0xa30aab6e
	s_delay_alu instid0(VALU_DEP_1) | instskip(NEXT) | instid1(VALU_DEP_1)
	v_add_f32_e32 v7, 0xa456751e, v7
	v_fma_f32 v5, v3, v7, -v5
	s_delay_alu instid0(VALU_DEP_1) | instskip(NEXT) | instid1(VALU_DEP_1)
	v_add_f32_e32 v5, 0xa4140365, v5
	v_fma_f32 v7, v3, v5, -v7
	;; [unrolled: 3-line block ×22, first 2 shown]
	v_cndmask_b32_e32 v5, 0, v9, vcc_lo
	s_delay_alu instid0(VALU_DEP_2) | instskip(NEXT) | instid1(VALU_DEP_2)
	v_add_f32_e32 v9, 0x3f4750c6, v3
	v_cndmask_b32_e64 v3, 0x7f800000, v5, s0
	s_mov_b32 s0, exec_lo
	s_delay_alu instid0(VALU_DEP_2)
	v_sub_f32_e32 v5, v9, v7
	v_cmpx_ngt_f32_e32 0, v1
	s_xor_b32 s12, exec_lo, s0
	s_cbranch_execz .LBB19_1623
; %bb.1622:
	v_mul_f32_e64 v7, 0x4f800000, |v1|
	v_cmp_gt_f32_e64 vcc_lo, 0xf800000, |v1|
	v_mul_f32_e32 v5, 0.5, v5
	s_delay_alu instid0(VALU_DEP_2) | instskip(NEXT) | instid1(VALU_DEP_2)
	v_cndmask_b32_e64 v1, |v1|, v7, vcc_lo
	v_mul_f32_e32 v3, v3, v5
	s_delay_alu instid0(VALU_DEP_2) | instskip(SKIP_1) | instid1(TRANS32_DEP_1)
	v_sqrt_f32_e32 v7, v1
	v_nop
	v_dual_add_nc_u32 v9, -1, v7 :: v_dual_add_nc_u32 v11, 1, v7
	s_delay_alu instid0(VALU_DEP_1) | instskip(NEXT) | instid1(VALU_DEP_1)
	v_dual_fma_f32 v12, -v9, v7, v1 :: v_dual_fma_f32 v13, -v11, v7, v1
	v_cmp_ge_f32_e64 s0, 0, v12
	s_delay_alu instid0(VALU_DEP_1) | instskip(NEXT) | instid1(VALU_DEP_3)
	v_cndmask_b32_e64 v7, v7, v9, s0
	v_cmp_lt_f32_e64 s0, 0, v13
	s_delay_alu instid0(VALU_DEP_1) | instskip(NEXT) | instid1(VALU_DEP_1)
	v_cndmask_b32_e64 v7, v7, v11, s0
	v_mul_f32_e32 v9, 0x37800000, v7
	s_delay_alu instid0(VALU_DEP_1) | instskip(SKIP_1) | instid1(VALU_DEP_2)
	v_cndmask_b32_e32 v7, v7, v9, vcc_lo
	v_cmp_class_f32_e64 vcc_lo, v1, 0x260
	v_cndmask_b32_e32 v1, v7, v1, vcc_lo
	s_delay_alu instid0(VALU_DEP_1) | instskip(NEXT) | instid1(VALU_DEP_1)
	v_div_scale_f32 v5, null, v1, v1, v3
	v_rcp_f32_e32 v7, v5
	v_nop
	s_delay_alu instid0(TRANS32_DEP_1) | instskip(NEXT) | instid1(VALU_DEP_1)
	v_fma_f32 v9, -v5, v7, 1.0
	v_fmac_f32_e32 v7, v9, v7
	v_div_scale_f32 v9, vcc_lo, v3, v1, v3
	s_delay_alu instid0(VALU_DEP_1) | instskip(NEXT) | instid1(VALU_DEP_1)
	v_mul_f32_e32 v11, v9, v7
	v_fma_f32 v12, -v5, v11, v9
	s_delay_alu instid0(VALU_DEP_1) | instskip(NEXT) | instid1(VALU_DEP_1)
	v_fmac_f32_e32 v11, v12, v7
	v_fma_f32 v5, -v5, v11, v9
	s_delay_alu instid0(VALU_DEP_1) | instskip(NEXT) | instid1(VALU_DEP_1)
	v_div_fmas_f32 v5, v5, v7, v11
	v_div_fixup_f32 v12, v5, v1, v3
                                        ; implicit-def: $vgpr1
                                        ; implicit-def: $vgpr5
                                        ; implicit-def: $vgpr3
.LBB19_1623:
	s_and_not1_saveexec_b32 s12, s12
	s_cbranch_execz .LBB19_1625
; %bb.1624:
	v_mul_f32_e64 v7, 0x4f800000, |v1|
	v_cmp_gt_f32_e64 vcc_lo, 0xf800000, |v1|
	v_mul_f32_e32 v5, -0.5, v5
	s_delay_alu instid0(VALU_DEP_2) | instskip(NEXT) | instid1(VALU_DEP_2)
	v_cndmask_b32_e64 v1, |v1|, v7, vcc_lo
	v_mul_f32_e32 v3, v3, v5
	s_delay_alu instid0(VALU_DEP_2) | instskip(SKIP_1) | instid1(TRANS32_DEP_1)
	v_sqrt_f32_e32 v7, v1
	v_nop
	v_dual_add_nc_u32 v9, -1, v7 :: v_dual_add_nc_u32 v11, 1, v7
	s_delay_alu instid0(VALU_DEP_1) | instskip(NEXT) | instid1(VALU_DEP_1)
	v_dual_fma_f32 v12, -v9, v7, v1 :: v_dual_fma_f32 v13, -v11, v7, v1
	v_cmp_ge_f32_e64 s0, 0, v12
	s_delay_alu instid0(VALU_DEP_1) | instskip(NEXT) | instid1(VALU_DEP_3)
	v_cndmask_b32_e64 v7, v7, v9, s0
	v_cmp_lt_f32_e64 s0, 0, v13
	s_delay_alu instid0(VALU_DEP_1) | instskip(NEXT) | instid1(VALU_DEP_1)
	v_cndmask_b32_e64 v7, v7, v11, s0
	v_mul_f32_e32 v9, 0x37800000, v7
	s_delay_alu instid0(VALU_DEP_1) | instskip(SKIP_1) | instid1(VALU_DEP_2)
	v_cndmask_b32_e32 v7, v7, v9, vcc_lo
	v_cmp_class_f32_e64 vcc_lo, v1, 0x260
	v_cndmask_b32_e32 v1, v7, v1, vcc_lo
	s_delay_alu instid0(VALU_DEP_1) | instskip(NEXT) | instid1(VALU_DEP_1)
	v_div_scale_f32 v5, null, v1, v1, v3
	v_rcp_f32_e32 v7, v5
	v_nop
	s_delay_alu instid0(TRANS32_DEP_1) | instskip(NEXT) | instid1(VALU_DEP_1)
	v_fma_f32 v9, -v5, v7, 1.0
	v_fmac_f32_e32 v7, v9, v7
	v_div_scale_f32 v9, vcc_lo, v3, v1, v3
	s_delay_alu instid0(VALU_DEP_1) | instskip(NEXT) | instid1(VALU_DEP_1)
	v_mul_f32_e32 v11, v9, v7
	v_fma_f32 v12, -v5, v11, v9
	s_delay_alu instid0(VALU_DEP_1) | instskip(NEXT) | instid1(VALU_DEP_1)
	v_fmac_f32_e32 v11, v12, v7
	v_fma_f32 v5, -v5, v11, v9
	s_delay_alu instid0(VALU_DEP_1) | instskip(NEXT) | instid1(VALU_DEP_1)
	v_div_fmas_f32 v5, v5, v7, v11
	v_div_fixup_f32 v12, v5, v1, v3
.LBB19_1625:
	s_or_b32 exec_lo, exec_lo, s12
.LBB19_1626:
	s_delay_alu instid0(SALU_CYCLE_1) | instskip(SKIP_2) | instid1(VALU_DEP_1)
	s_or_b32 exec_lo, exec_lo, s11
	v_mov_b32_e32 v15, 0
	s_cmp_lt_i32 s10, 11
	v_add_nc_u64_e32 v[14:15], s[6:7], v[14:15]
	s_cbranch_scc1 .LBB19_1633
; %bb.1627:
	s_cmp_gt_i32 s10, 25
	s_mov_b32 s6, 0
	s_cbranch_scc0 .LBB19_1634
; %bb.1628:
	s_cmp_gt_i32 s10, 28
	s_cbranch_scc0 .LBB19_1635
; %bb.1629:
	s_cmp_gt_i32 s10, 43
	;; [unrolled: 3-line block ×3, first 2 shown]
	s_cbranch_scc0 .LBB19_1638
; %bb.1631:
	s_cmp_eq_u32 s10, 46
	s_mov_b32 s11, 0
	s_cbranch_scc0 .LBB19_1639
; %bb.1632:
	global_load_b32 v1, v[14:15], off
	s_mov_b32 s0, 0
	s_mov_b32 s7, -1
	s_wait_loadcnt 0x0
	v_lshlrev_b32_e32 v1, 16, v1
	s_branch .LBB19_1641
.LBB19_1633:
	s_mov_b32 s0, -1
	s_mov_b32 s7, 0
                                        ; implicit-def: $vgpr1
	s_branch .LBB19_1707
.LBB19_1634:
	s_mov_b32 s11, -1
	s_mov_b32 s7, 0
	s_mov_b32 s0, 0
                                        ; implicit-def: $vgpr1
	s_branch .LBB19_1670
.LBB19_1635:
	s_mov_b32 s11, -1
	s_mov_b32 s7, 0
	s_mov_b32 s0, 0
                                        ; implicit-def: $vgpr1
	s_branch .LBB19_1651
.LBB19_1636:
	s_mov_b32 s11, -1
	s_mov_b32 s7, 0
	s_mov_b32 s0, 0
                                        ; implicit-def: $vgpr1
	s_branch .LBB19_1646
.LBB19_1637:
	s_or_b32 s1, s1, exec_lo
	s_trap 2
	s_cbranch_execz .LBB19_1564
	s_branch .LBB19_1565
.LBB19_1638:
	s_mov_b32 s11, -1
	s_mov_b32 s7, 0
	s_mov_b32 s0, 0
	s_branch .LBB19_1640
.LBB19_1639:
	s_mov_b32 s0, -1
	s_mov_b32 s7, 0
.LBB19_1640:
                                        ; implicit-def: $vgpr1
.LBB19_1641:
	s_and_b32 vcc_lo, exec_lo, s11
	s_cbranch_vccz .LBB19_1645
; %bb.1642:
	s_cmp_eq_u32 s10, 44
	s_cbranch_scc0 .LBB19_1644
; %bb.1643:
	global_load_u8 v1, v[14:15], off
	s_mov_b32 s0, 0
	s_mov_b32 s7, -1
	s_wait_loadcnt 0x0
	v_lshlrev_b32_e32 v3, 23, v1
	v_cmp_ne_u32_e32 vcc_lo, 0xff, v1
	s_delay_alu instid0(VALU_DEP_2) | instskip(SKIP_1) | instid1(VALU_DEP_2)
	v_cndmask_b32_e32 v3, 0x7f800001, v3, vcc_lo
	v_cmp_ne_u32_e32 vcc_lo, 0, v1
	v_cndmask_b32_e32 v1, 0x400000, v3, vcc_lo
	s_branch .LBB19_1645
.LBB19_1644:
	s_mov_b32 s0, -1
                                        ; implicit-def: $vgpr1
.LBB19_1645:
	s_mov_b32 s11, 0
.LBB19_1646:
	s_delay_alu instid0(SALU_CYCLE_1)
	s_and_b32 vcc_lo, exec_lo, s11
	s_cbranch_vccz .LBB19_1650
; %bb.1647:
	s_cmp_eq_u32 s10, 29
	s_cbranch_scc0 .LBB19_1649
; %bb.1648:
	global_load_b64 v[16:17], v[14:15], off
	s_mov_b32 s0, 0
	s_mov_b32 s7, -1
	s_mov_b32 s11, 0
	s_wait_loadcnt 0x0
	v_clz_i32_u32_e32 v1, v17
	s_delay_alu instid0(VALU_DEP_1) | instskip(NEXT) | instid1(VALU_DEP_1)
	v_min_u32_e32 v1, 32, v1
	v_lshlrev_b64_e32 v[16:17], v1, v[16:17]
	v_sub_nc_u32_e32 v1, 32, v1
	s_delay_alu instid0(VALU_DEP_2) | instskip(NEXT) | instid1(VALU_DEP_1)
	v_min_u32_e32 v3, 1, v16
	v_or_b32_e32 v3, v17, v3
	s_delay_alu instid0(VALU_DEP_1) | instskip(NEXT) | instid1(VALU_DEP_1)
	v_cvt_f32_u32_e32 v3, v3
	v_ldexp_f32 v1, v3, v1
	s_branch .LBB19_1651
.LBB19_1649:
	s_mov_b32 s0, -1
                                        ; implicit-def: $vgpr1
.LBB19_1650:
	s_mov_b32 s11, 0
.LBB19_1651:
	s_delay_alu instid0(SALU_CYCLE_1)
	s_and_b32 vcc_lo, exec_lo, s11
	s_cbranch_vccz .LBB19_1669
; %bb.1652:
	s_cmp_lt_i32 s10, 27
	s_cbranch_scc1 .LBB19_1655
; %bb.1653:
	s_cmp_gt_i32 s10, 27
	s_cbranch_scc0 .LBB19_1656
; %bb.1654:
	global_load_b32 v1, v[14:15], off
	s_mov_b32 s7, 0
	s_wait_loadcnt 0x0
	v_cvt_f32_u32_e32 v1, v1
	s_branch .LBB19_1657
.LBB19_1655:
	s_mov_b32 s7, -1
                                        ; implicit-def: $vgpr1
	s_branch .LBB19_1660
.LBB19_1656:
	s_mov_b32 s7, -1
                                        ; implicit-def: $vgpr1
.LBB19_1657:
	s_delay_alu instid0(SALU_CYCLE_1)
	s_and_not1_b32 vcc_lo, exec_lo, s7
	s_cbranch_vccnz .LBB19_1659
; %bb.1658:
	global_load_u16 v1, v[14:15], off
	s_wait_loadcnt 0x0
	v_cvt_f32_u32_e32 v1, v1
.LBB19_1659:
	s_mov_b32 s7, 0
.LBB19_1660:
	s_delay_alu instid0(SALU_CYCLE_1)
	s_and_not1_b32 vcc_lo, exec_lo, s7
	s_cbranch_vccnz .LBB19_1668
; %bb.1661:
	global_load_u8 v3, v[14:15], off
	s_mov_b32 s7, 0
	s_mov_b32 s11, exec_lo
	s_wait_loadcnt 0x0
	v_cmpx_lt_i16_e32 0x7f, v3
	s_xor_b32 s11, exec_lo, s11
	s_cbranch_execz .LBB19_1682
; %bb.1662:
	s_mov_b32 s7, -1
	s_mov_b32 s12, exec_lo
	v_cmpx_eq_u16_e32 0x80, v3
; %bb.1663:
	s_xor_b32 s7, exec_lo, -1
; %bb.1664:
	s_or_b32 exec_lo, exec_lo, s12
	s_delay_alu instid0(SALU_CYCLE_1)
	s_and_b32 s7, s7, exec_lo
	s_or_saveexec_b32 s11, s11
	v_mov_b32_e32 v1, 0x7f800001
	s_xor_b32 exec_lo, exec_lo, s11
	s_cbranch_execnz .LBB19_1683
.LBB19_1665:
	s_or_b32 exec_lo, exec_lo, s11
	s_and_saveexec_b32 s11, s7
	s_cbranch_execz .LBB19_1667
.LBB19_1666:
	v_and_b32_e32 v1, 0xffff, v3
	s_delay_alu instid0(VALU_DEP_1) | instskip(SKIP_1) | instid1(VALU_DEP_2)
	v_and_b32_e32 v5, 7, v1
	v_bfe_u32 v11, v1, 3, 4
	v_clz_i32_u32_e32 v7, v5
	s_delay_alu instid0(VALU_DEP_2) | instskip(NEXT) | instid1(VALU_DEP_2)
	v_cmp_eq_u32_e32 vcc_lo, 0, v11
	v_min_u32_e32 v7, 32, v7
	s_delay_alu instid0(VALU_DEP_1) | instskip(NEXT) | instid1(VALU_DEP_1)
	v_subrev_nc_u32_e32 v9, 28, v7
	v_dual_lshlrev_b32 v1, v9, v1 :: v_dual_sub_nc_u32 v7, 29, v7
	s_delay_alu instid0(VALU_DEP_1) | instskip(NEXT) | instid1(VALU_DEP_1)
	v_dual_lshlrev_b32 v3, 24, v3 :: v_dual_bitop2_b32 v1, 7, v1 bitop3:0x40
	v_dual_cndmask_b32 v1, v5, v1, vcc_lo :: v_dual_cndmask_b32 v7, v11, v7, vcc_lo
	s_delay_alu instid0(VALU_DEP_2) | instskip(NEXT) | instid1(VALU_DEP_2)
	v_and_b32_e32 v3, 0x80000000, v3
	v_lshlrev_b32_e32 v1, 20, v1
	s_delay_alu instid0(VALU_DEP_3) | instskip(NEXT) | instid1(VALU_DEP_1)
	v_lshl_add_u32 v5, v7, 23, 0x3b800000
	v_or3_b32 v1, v3, v5, v1
.LBB19_1667:
	s_or_b32 exec_lo, exec_lo, s11
.LBB19_1668:
	s_mov_b32 s7, -1
.LBB19_1669:
	s_mov_b32 s11, 0
.LBB19_1670:
	s_delay_alu instid0(SALU_CYCLE_1)
	s_and_b32 vcc_lo, exec_lo, s11
	s_cbranch_vccz .LBB19_1703
; %bb.1671:
	s_cmp_gt_i32 s10, 22
	s_cbranch_scc0 .LBB19_1681
; %bb.1672:
	s_cmp_lt_i32 s10, 24
	s_cbranch_scc1 .LBB19_1684
; %bb.1673:
	s_cmp_gt_i32 s10, 24
	s_cbranch_scc0 .LBB19_1685
; %bb.1674:
	global_load_u8 v3, v[14:15], off
	s_mov_b32 s7, exec_lo
	s_wait_loadcnt 0x0
	v_cmpx_lt_i16_e32 0x7f, v3
	s_xor_b32 s7, exec_lo, s7
	s_cbranch_execz .LBB19_1697
; %bb.1675:
	s_mov_b32 s6, -1
	s_mov_b32 s11, exec_lo
	v_cmpx_eq_u16_e32 0x80, v3
; %bb.1676:
	s_xor_b32 s6, exec_lo, -1
; %bb.1677:
	s_or_b32 exec_lo, exec_lo, s11
	s_delay_alu instid0(SALU_CYCLE_1)
	s_and_b32 s6, s6, exec_lo
	s_or_saveexec_b32 s7, s7
	v_mov_b32_e32 v1, 0x7f800001
	s_xor_b32 exec_lo, exec_lo, s7
	s_cbranch_execnz .LBB19_1698
.LBB19_1678:
	s_or_b32 exec_lo, exec_lo, s7
	s_and_saveexec_b32 s7, s6
	s_cbranch_execz .LBB19_1680
.LBB19_1679:
	v_and_b32_e32 v1, 0xffff, v3
	s_delay_alu instid0(VALU_DEP_1) | instskip(SKIP_1) | instid1(VALU_DEP_2)
	v_and_b32_e32 v5, 3, v1
	v_bfe_u32 v11, v1, 2, 5
	v_clz_i32_u32_e32 v7, v5
	s_delay_alu instid0(VALU_DEP_2) | instskip(NEXT) | instid1(VALU_DEP_2)
	v_cmp_eq_u32_e32 vcc_lo, 0, v11
	v_min_u32_e32 v7, 32, v7
	s_delay_alu instid0(VALU_DEP_1) | instskip(NEXT) | instid1(VALU_DEP_1)
	v_subrev_nc_u32_e32 v9, 29, v7
	v_dual_lshlrev_b32 v1, v9, v1 :: v_dual_sub_nc_u32 v7, 30, v7
	s_delay_alu instid0(VALU_DEP_1) | instskip(NEXT) | instid1(VALU_DEP_1)
	v_dual_lshlrev_b32 v3, 24, v3 :: v_dual_bitop2_b32 v1, 3, v1 bitop3:0x40
	v_dual_cndmask_b32 v1, v5, v1, vcc_lo :: v_dual_cndmask_b32 v7, v11, v7, vcc_lo
	s_delay_alu instid0(VALU_DEP_2) | instskip(NEXT) | instid1(VALU_DEP_2)
	v_and_b32_e32 v3, 0x80000000, v3
	v_lshlrev_b32_e32 v1, 21, v1
	s_delay_alu instid0(VALU_DEP_3) | instskip(NEXT) | instid1(VALU_DEP_1)
	v_lshl_add_u32 v5, v7, 23, 0x37800000
	v_or3_b32 v1, v3, v5, v1
.LBB19_1680:
	s_or_b32 exec_lo, exec_lo, s7
	s_mov_b32 s6, 0
	s_branch .LBB19_1686
.LBB19_1681:
	s_mov_b32 s6, -1
                                        ; implicit-def: $vgpr1
	s_branch .LBB19_1692
.LBB19_1682:
	s_or_saveexec_b32 s11, s11
	v_mov_b32_e32 v1, 0x7f800001
	s_xor_b32 exec_lo, exec_lo, s11
	s_cbranch_execz .LBB19_1665
.LBB19_1683:
	v_cmp_ne_u16_e32 vcc_lo, 0, v3
	v_mov_b32_e32 v1, 0
	s_and_not1_b32 s7, s7, exec_lo
	s_and_b32 s12, vcc_lo, exec_lo
	s_delay_alu instid0(SALU_CYCLE_1)
	s_or_b32 s7, s7, s12
	s_or_b32 exec_lo, exec_lo, s11
	s_and_saveexec_b32 s11, s7
	s_cbranch_execnz .LBB19_1666
	s_branch .LBB19_1667
.LBB19_1684:
	s_mov_b32 s6, -1
                                        ; implicit-def: $vgpr1
	s_branch .LBB19_1689
.LBB19_1685:
	s_mov_b32 s6, -1
                                        ; implicit-def: $vgpr1
.LBB19_1686:
	s_delay_alu instid0(SALU_CYCLE_1)
	s_and_b32 vcc_lo, exec_lo, s6
	s_cbranch_vccz .LBB19_1688
; %bb.1687:
	global_load_u8 v1, v[14:15], off
	s_wait_loadcnt 0x0
	v_lshlrev_b32_e32 v1, 24, v1
	s_delay_alu instid0(VALU_DEP_1) | instskip(NEXT) | instid1(VALU_DEP_1)
	v_and_b32_e32 v3, 0x7f000000, v1
	v_clz_i32_u32_e32 v5, v3
	v_add_nc_u32_e32 v9, 0x1000000, v3
	v_cmp_ne_u32_e32 vcc_lo, 0, v3
	s_delay_alu instid0(VALU_DEP_3) | instskip(NEXT) | instid1(VALU_DEP_1)
	v_min_u32_e32 v5, 32, v5
	v_sub_nc_u32_e64 v5, v5, 4 clamp
	s_delay_alu instid0(VALU_DEP_1) | instskip(NEXT) | instid1(VALU_DEP_1)
	v_dual_lshlrev_b32 v7, v5, v3 :: v_dual_lshlrev_b32 v5, 23, v5
	v_lshrrev_b32_e32 v7, 4, v7
	s_delay_alu instid0(VALU_DEP_1) | instskip(SKIP_1) | instid1(VALU_DEP_2)
	v_sub_nc_u32_e32 v5, v7, v5
	v_ashrrev_i32_e32 v7, 8, v9
	v_add_nc_u32_e32 v5, 0x3c000000, v5
	s_delay_alu instid0(VALU_DEP_1) | instskip(NEXT) | instid1(VALU_DEP_1)
	v_and_or_b32 v5, 0x7f800000, v7, v5
	v_cndmask_b32_e32 v3, 0, v5, vcc_lo
	s_delay_alu instid0(VALU_DEP_1)
	v_and_or_b32 v1, 0x80000000, v1, v3
.LBB19_1688:
	s_mov_b32 s6, 0
.LBB19_1689:
	s_delay_alu instid0(SALU_CYCLE_1)
	s_and_not1_b32 vcc_lo, exec_lo, s6
	s_cbranch_vccnz .LBB19_1691
; %bb.1690:
	global_load_u8 v1, v[14:15], off
	s_wait_loadcnt 0x0
	v_lshlrev_b32_e32 v3, 25, v1
	v_lshlrev_b16 v1, 8, v1
	s_delay_alu instid0(VALU_DEP_1) | instskip(SKIP_1) | instid1(VALU_DEP_2)
	v_and_or_b32 v7, 0x7f00, v1, 0.5
	v_bfe_i32 v1, v1, 0, 16
	v_add_f32_e32 v7, -0.5, v7
	v_lshrrev_b32_e32 v5, 4, v3
	v_cmp_gt_u32_e32 vcc_lo, 0x8000000, v3
	s_delay_alu instid0(VALU_DEP_2) | instskip(NEXT) | instid1(VALU_DEP_1)
	v_or_b32_e32 v5, 0x70000000, v5
	v_mul_f32_e32 v5, 0x7800000, v5
	s_delay_alu instid0(VALU_DEP_1) | instskip(NEXT) | instid1(VALU_DEP_1)
	v_cndmask_b32_e32 v3, v5, v7, vcc_lo
	v_and_or_b32 v1, 0x80000000, v1, v3
.LBB19_1691:
	s_mov_b32 s6, 0
	s_mov_b32 s7, -1
.LBB19_1692:
	s_and_not1_b32 vcc_lo, exec_lo, s6
	s_mov_b32 s6, 0
	s_cbranch_vccnz .LBB19_1703
; %bb.1693:
	s_cmp_gt_i32 s10, 14
	s_cbranch_scc0 .LBB19_1696
; %bb.1694:
	s_cmp_eq_u32 s10, 15
	s_cbranch_scc0 .LBB19_1699
; %bb.1695:
	global_load_u16 v1, v[14:15], off
	s_mov_b32 s0, 0
	s_mov_b32 s7, -1
	s_wait_loadcnt 0x0
	v_lshlrev_b32_e32 v1, 16, v1
	s_branch .LBB19_1701
.LBB19_1696:
	s_mov_b32 s6, -1
	s_branch .LBB19_1700
.LBB19_1697:
	s_or_saveexec_b32 s7, s7
	v_mov_b32_e32 v1, 0x7f800001
	s_xor_b32 exec_lo, exec_lo, s7
	s_cbranch_execz .LBB19_1678
.LBB19_1698:
	v_cmp_ne_u16_e32 vcc_lo, 0, v3
	v_mov_b32_e32 v1, 0
	s_and_not1_b32 s6, s6, exec_lo
	s_and_b32 s11, vcc_lo, exec_lo
	s_delay_alu instid0(SALU_CYCLE_1)
	s_or_b32 s6, s6, s11
	s_or_b32 exec_lo, exec_lo, s7
	s_and_saveexec_b32 s7, s6
	s_cbranch_execnz .LBB19_1679
	s_branch .LBB19_1680
.LBB19_1699:
	s_mov_b32 s0, -1
.LBB19_1700:
                                        ; implicit-def: $vgpr1
.LBB19_1701:
	s_and_b32 vcc_lo, exec_lo, s6
	s_mov_b32 s6, 0
	s_cbranch_vccz .LBB19_1703
; %bb.1702:
	s_cmp_lg_u32 s10, 11
	s_mov_b32 s6, -1
	s_cselect_b32 s0, -1, 0
.LBB19_1703:
	s_delay_alu instid0(SALU_CYCLE_1)
	s_and_b32 vcc_lo, exec_lo, s0
	s_cbranch_vccnz .LBB19_2249
; %bb.1704:
	s_and_not1_b32 vcc_lo, exec_lo, s6
	s_cbranch_vccnz .LBB19_1706
.LBB19_1705:
	global_load_u8 v1, v[14:15], off
	s_mov_b32 s7, -1
	s_wait_loadcnt 0x0
	v_cmp_ne_u16_e32 vcc_lo, 0, v1
	v_cndmask_b32_e64 v1, 0, 1.0, vcc_lo
.LBB19_1706:
	s_mov_b32 s0, 0
.LBB19_1707:
	s_delay_alu instid0(SALU_CYCLE_1)
	s_and_b32 vcc_lo, exec_lo, s0
	s_cbranch_vccz .LBB19_1756
; %bb.1708:
	s_cmp_lt_i32 s10, 5
	s_cbranch_scc1 .LBB19_1713
; %bb.1709:
	s_cmp_lt_i32 s10, 8
	s_cbranch_scc1 .LBB19_1714
	;; [unrolled: 3-line block ×3, first 2 shown]
; %bb.1711:
	s_cmp_gt_i32 s10, 9
	s_cbranch_scc0 .LBB19_1716
; %bb.1712:
	global_load_b64 v[16:17], v[14:15], off
	s_mov_b32 s0, 0
	s_wait_loadcnt 0x0
	v_cvt_f32_f64_e32 v1, v[16:17]
	s_branch .LBB19_1717
.LBB19_1713:
	s_mov_b32 s0, -1
                                        ; implicit-def: $vgpr1
	s_branch .LBB19_1735
.LBB19_1714:
	s_mov_b32 s0, -1
                                        ; implicit-def: $vgpr1
	s_branch .LBB19_1723
.LBB19_1715:
	s_mov_b32 s0, -1
                                        ; implicit-def: $vgpr1
	s_branch .LBB19_1720
.LBB19_1716:
	s_mov_b32 s0, -1
                                        ; implicit-def: $vgpr1
.LBB19_1717:
	s_delay_alu instid0(SALU_CYCLE_1)
	s_and_not1_b32 vcc_lo, exec_lo, s0
	s_cbranch_vccnz .LBB19_1719
; %bb.1718:
	global_load_b32 v1, v[14:15], off
.LBB19_1719:
	s_mov_b32 s0, 0
.LBB19_1720:
	s_delay_alu instid0(SALU_CYCLE_1)
	s_and_not1_b32 vcc_lo, exec_lo, s0
	s_cbranch_vccnz .LBB19_1722
; %bb.1721:
	s_wait_loadcnt 0x0
	global_load_b32 v1, v[14:15], off
	s_wait_loadcnt 0x0
	v_cvt_f32_f16_e32 v1, v1
.LBB19_1722:
	s_mov_b32 s0, 0
.LBB19_1723:
	s_delay_alu instid0(SALU_CYCLE_1)
	s_and_not1_b32 vcc_lo, exec_lo, s0
	s_cbranch_vccnz .LBB19_1734
; %bb.1724:
	s_cmp_lt_i32 s10, 6
	s_cbranch_scc1 .LBB19_1727
; %bb.1725:
	s_cmp_gt_i32 s10, 6
	s_cbranch_scc0 .LBB19_1728
; %bb.1726:
	global_load_b64 v[16:17], v[14:15], off
	s_mov_b32 s0, 0
	s_wait_loadcnt 0x0
	v_cvt_f32_f64_e32 v1, v[16:17]
	s_branch .LBB19_1729
.LBB19_1727:
	s_mov_b32 s0, -1
                                        ; implicit-def: $vgpr1
	s_branch .LBB19_1732
.LBB19_1728:
	s_mov_b32 s0, -1
                                        ; implicit-def: $vgpr1
.LBB19_1729:
	s_delay_alu instid0(SALU_CYCLE_1)
	s_and_not1_b32 vcc_lo, exec_lo, s0
	s_cbranch_vccnz .LBB19_1731
; %bb.1730:
	s_wait_loadcnt 0x0
	global_load_b32 v1, v[14:15], off
.LBB19_1731:
	s_mov_b32 s0, 0
.LBB19_1732:
	s_delay_alu instid0(SALU_CYCLE_1)
	s_and_not1_b32 vcc_lo, exec_lo, s0
	s_cbranch_vccnz .LBB19_1734
; %bb.1733:
	s_wait_loadcnt 0x0
	global_load_u16 v1, v[14:15], off
	s_wait_loadcnt 0x0
	v_cvt_f32_f16_e32 v1, v1
.LBB19_1734:
	s_mov_b32 s0, 0
.LBB19_1735:
	s_delay_alu instid0(SALU_CYCLE_1)
	s_and_not1_b32 vcc_lo, exec_lo, s0
	s_cbranch_vccnz .LBB19_1755
; %bb.1736:
	s_cmp_lt_i32 s10, 2
	s_cbranch_scc1 .LBB19_1740
; %bb.1737:
	s_cmp_lt_i32 s10, 3
	s_cbranch_scc1 .LBB19_1741
; %bb.1738:
	s_cmp_gt_i32 s10, 3
	s_cbranch_scc0 .LBB19_1742
; %bb.1739:
	global_load_b64 v[16:17], v[14:15], off
	s_mov_b32 s0, 0
	s_wait_loadcnt 0x0
	v_xor_b32_e32 v1, v16, v17
	v_cls_i32_e32 v3, v17
	s_delay_alu instid0(VALU_DEP_2) | instskip(NEXT) | instid1(VALU_DEP_1)
	v_ashrrev_i32_e32 v1, 31, v1
	v_add_nc_u32_e32 v1, 32, v1
	s_delay_alu instid0(VALU_DEP_1) | instskip(NEXT) | instid1(VALU_DEP_1)
	v_add_min_u32_e64 v1, v3, -1, v1
	v_lshlrev_b64_e32 v[16:17], v1, v[16:17]
	v_sub_nc_u32_e32 v1, 32, v1
	s_delay_alu instid0(VALU_DEP_2) | instskip(NEXT) | instid1(VALU_DEP_1)
	v_min_u32_e32 v3, 1, v16
	v_or_b32_e32 v3, v17, v3
	s_delay_alu instid0(VALU_DEP_1) | instskip(NEXT) | instid1(VALU_DEP_1)
	v_cvt_f32_i32_e32 v3, v3
	v_ldexp_f32 v1, v3, v1
	s_branch .LBB19_1743
.LBB19_1740:
	s_mov_b32 s0, -1
                                        ; implicit-def: $vgpr1
	s_branch .LBB19_1749
.LBB19_1741:
	s_mov_b32 s0, -1
                                        ; implicit-def: $vgpr1
	s_branch .LBB19_1746
.LBB19_1742:
	s_mov_b32 s0, -1
                                        ; implicit-def: $vgpr1
.LBB19_1743:
	s_delay_alu instid0(SALU_CYCLE_1)
	s_and_not1_b32 vcc_lo, exec_lo, s0
	s_cbranch_vccnz .LBB19_1745
; %bb.1744:
	s_wait_loadcnt 0x0
	global_load_b32 v1, v[14:15], off
	s_wait_loadcnt 0x0
	v_cvt_f32_i32_e32 v1, v1
.LBB19_1745:
	s_mov_b32 s0, 0
.LBB19_1746:
	s_delay_alu instid0(SALU_CYCLE_1)
	s_and_not1_b32 vcc_lo, exec_lo, s0
	s_cbranch_vccnz .LBB19_1748
; %bb.1747:
	s_wait_loadcnt 0x0
	global_load_i16 v1, v[14:15], off
	s_wait_loadcnt 0x0
	v_cvt_f32_i32_e32 v1, v1
.LBB19_1748:
	s_mov_b32 s0, 0
.LBB19_1749:
	s_delay_alu instid0(SALU_CYCLE_1)
	s_and_not1_b32 vcc_lo, exec_lo, s0
	s_cbranch_vccnz .LBB19_1755
; %bb.1750:
	s_cmp_gt_i32 s10, 0
	s_mov_b32 s0, 0
	s_cbranch_scc0 .LBB19_1752
; %bb.1751:
	s_wait_loadcnt 0x0
	global_load_i8 v1, v[14:15], off
	s_wait_loadcnt 0x0
	v_cvt_f32_i32_e32 v1, v1
	s_branch .LBB19_1753
.LBB19_1752:
	s_mov_b32 s0, -1
                                        ; implicit-def: $vgpr1
.LBB19_1753:
	s_delay_alu instid0(SALU_CYCLE_1)
	s_and_not1_b32 vcc_lo, exec_lo, s0
	s_cbranch_vccnz .LBB19_1755
; %bb.1754:
	s_wait_loadcnt 0x0
	global_load_u8 v1, v[14:15], off
	s_wait_loadcnt 0x0
	v_cvt_f32_ubyte0_e32 v1, v1
.LBB19_1755:
	s_mov_b32 s7, -1
.LBB19_1756:
	s_delay_alu instid0(SALU_CYCLE_1)
	s_and_not1_b32 vcc_lo, exec_lo, s7
	s_cbranch_vccnz .LBB19_1847
; %bb.1757:
	s_mov_b32 s6, exec_lo
                                        ; implicit-def: $vgpr14
	s_wait_loadcnt 0x0
	s_delay_alu instid0(VALU_DEP_1)
	v_cmpx_ge_f32_e64 0x41000000, |v1|
	s_xor_b32 s6, exec_lo, s6
	s_cbranch_execz .LBB19_1763
; %bb.1758:
	v_fma_f32 v3, |v1|, 0.5, -2.0
	s_mov_b32 s0, 0x224cf950
	v_mul_f32_e64 v9, 0x3fb8aa3b, |v1|
	v_cmp_ngt_f32_e64 vcc_lo, 0xc2ce8ed0, |v1|
                                        ; implicit-def: $vgpr14
	s_delay_alu instid0(VALU_DEP_3) | instskip(SKIP_1) | instid1(VALU_DEP_4)
	v_fmaak_f32 v5, s0, v3, 0xa3c2be86
	v_cmp_nlt_f32_e64 s0, 0x42b17218, |v1|
	v_rndne_f32_e32 v11, v9
	v_fma_f32 v13, 0x3fb8aa3b, |v1|, -v9
	s_delay_alu instid0(VALU_DEP_4) | instskip(NEXT) | instid1(VALU_DEP_3)
	v_fmaak_f32 v7, v3, v5, 0xa24cf950
	v_sub_f32_e32 v9, v9, v11
	s_delay_alu instid0(VALU_DEP_3) | instskip(NEXT) | instid1(VALU_DEP_3)
	v_fma_f32 v13, 0x32a5705f, |v1|, v13
	v_add_f32_e32 v7, 0x25331f1f, v7
	s_delay_alu instid0(VALU_DEP_1) | instskip(NEXT) | instid1(VALU_DEP_1)
	v_dual_add_f32 v9, v9, v13 :: v_dual_fma_f32 v5, v3, v7, -v5
	v_add_f32_e32 v5, 0xa69f5554, v5
	s_delay_alu instid0(VALU_DEP_1) | instskip(NEXT) | instid1(VALU_DEP_1)
	v_fma_f32 v7, v3, v5, -v7
	v_add_f32_e32 v7, 0x2808ebf8, v7
	s_delay_alu instid0(VALU_DEP_1) | instskip(NEXT) | instid1(VALU_DEP_1)
	v_fma_f32 v5, v3, v7, -v5
	;; [unrolled: 3-line block ×24, first 2 shown]
	v_add_f32_e32 v5, 0xbe34a688, v5
	s_delay_alu instid0(VALU_DEP_1) | instskip(SKIP_3) | instid1(VALU_DEP_3)
	v_fma_f32 v3, v3, v5, -v7
	v_exp_f32_e32 v5, v9
	v_nop
	v_cvt_i32_f32_e32 v9, v11
	v_add_f32_e32 v3, 0x3e81531c, v3
	s_delay_alu instid0(TRANS32_DEP_1) | instid1(VALU_DEP_2)
	v_ldexp_f32 v5, v5, v9
	s_delay_alu instid0(VALU_DEP_1) | instskip(SKIP_1) | instid1(VALU_DEP_2)
	v_dual_sub_f32 v3, v3, v7 :: v_dual_cndmask_b32 v5, 0, v5, vcc_lo
	v_cmp_ngt_f32_e32 vcc_lo, 0, v1
	v_mul_f32_e32 v3, 0.5, v3
	s_delay_alu instid0(VALU_DEP_1) | instskip(NEXT) | instid1(VALU_DEP_4)
	v_mul_f32_e64 v3, |v1|, v3
	v_cndmask_b32_e64 v1, 0x7f800000, v5, s0
	s_and_saveexec_b32 s0, vcc_lo
	s_delay_alu instid0(SALU_CYCLE_1)
	s_xor_b32 s0, exec_lo, s0
; %bb.1759:
	s_delay_alu instid0(VALU_DEP_1)
	v_mul_f32_e32 v14, v1, v3
                                        ; implicit-def: $vgpr1
                                        ; implicit-def: $vgpr3
; %bb.1760:
	s_and_not1_saveexec_b32 s0, s0
; %bb.1761:
	v_mul_f32_e64 v14, v3, -v1
; %bb.1762:
	s_or_b32 exec_lo, exec_lo, s0
                                        ; implicit-def: $vgpr1
.LBB19_1763:
	s_and_not1_saveexec_b32 s6, s6
	s_cbranch_execz .LBB19_1769
; %bb.1764:
	v_and_b32_e32 v3, 0x7fffffff, v1
	s_mov_b32 s0, 0x230aab6e
                                        ; implicit-def: $vgpr14
	s_delay_alu instid0(VALU_DEP_1) | instskip(SKIP_1) | instid1(VALU_DEP_2)
	v_div_scale_f32 v5, null, v3, v3, 0x42000000
	v_div_scale_f32 v3, vcc_lo, 0x42000000, v3, 0x42000000
	v_rcp_f32_e32 v7, v5
	v_nop
	s_delay_alu instid0(TRANS32_DEP_1) | instskip(NEXT) | instid1(VALU_DEP_1)
	v_fma_f32 v9, -v5, v7, 1.0
	v_fmac_f32_e32 v7, v9, v7
	s_delay_alu instid0(VALU_DEP_1) | instskip(NEXT) | instid1(VALU_DEP_1)
	v_mul_f32_e32 v9, v3, v7
	v_fma_f32 v11, -v5, v9, v3
	s_delay_alu instid0(VALU_DEP_1) | instskip(NEXT) | instid1(VALU_DEP_1)
	v_fmac_f32_e32 v9, v11, v7
	v_fma_f32 v3, -v5, v9, v3
	s_delay_alu instid0(VALU_DEP_1) | instskip(SKIP_2) | instid1(VALU_DEP_3)
	v_div_fmas_f32 v3, v3, v7, v9
	v_mul_f32_e64 v9, 0x3fb8aa3b, |v1|
	v_cmp_ngt_f32_e64 vcc_lo, 0xc2ce8ed0, |v1|
	v_div_fixup_f32 v3, v3, |v1|, 0x42000000
	s_delay_alu instid0(VALU_DEP_3) | instskip(SKIP_1) | instid1(VALU_DEP_2)
	v_rndne_f32_e32 v11, v9
	v_fma_f32 v13, 0x3fb8aa3b, |v1|, -v9
	v_sub_f32_e32 v9, v9, v11
	s_delay_alu instid0(VALU_DEP_2) | instskip(SKIP_1) | instid1(VALU_DEP_2)
	v_fma_f32 v13, 0x32a5705f, |v1|, v13
	v_cvt_i32_f32_e32 v11, v11
	v_add_f32_e32 v9, v9, v13
	s_delay_alu instid0(VALU_DEP_1) | instskip(SKIP_1) | instid1(TRANS32_DEP_1)
	v_exp_f32_e32 v9, v9
	v_nop
	v_ldexp_f32 v9, v9, v11
	v_add_f32_e32 v3, -2.0, v3
	s_delay_alu instid0(VALU_DEP_1) | instskip(SKIP_1) | instid1(VALU_DEP_2)
	v_fmaak_f32 v5, s0, v3, 0x22a2dc57
	v_cmp_nlt_f32_e64 s0, 0x42b17218, |v1|
	v_fmaak_f32 v7, v3, v5, 0xa30aab6e
	s_delay_alu instid0(VALU_DEP_1) | instskip(NEXT) | instid1(VALU_DEP_1)
	v_add_f32_e32 v7, 0xa456751e, v7
	v_fma_f32 v5, v3, v7, -v5
	s_delay_alu instid0(VALU_DEP_1) | instskip(NEXT) | instid1(VALU_DEP_1)
	v_add_f32_e32 v5, 0xa4140365, v5
	v_fma_f32 v7, v3, v5, -v7
	;; [unrolled: 3-line block ×22, first 2 shown]
	v_cndmask_b32_e32 v5, 0, v9, vcc_lo
	s_delay_alu instid0(VALU_DEP_2) | instskip(NEXT) | instid1(VALU_DEP_2)
	v_add_f32_e32 v9, 0x3f4750c6, v3
	v_cndmask_b32_e64 v3, 0x7f800000, v5, s0
	s_mov_b32 s0, exec_lo
	s_delay_alu instid0(VALU_DEP_2)
	v_sub_f32_e32 v5, v9, v7
	v_cmpx_ngt_f32_e32 0, v1
	s_xor_b32 s7, exec_lo, s0
	s_cbranch_execz .LBB19_1766
; %bb.1765:
	v_mul_f32_e64 v7, 0x4f800000, |v1|
	v_cmp_gt_f32_e64 vcc_lo, 0xf800000, |v1|
	v_mul_f32_e32 v5, 0.5, v5
	s_delay_alu instid0(VALU_DEP_2) | instskip(NEXT) | instid1(VALU_DEP_2)
	v_cndmask_b32_e64 v1, |v1|, v7, vcc_lo
	v_mul_f32_e32 v3, v3, v5
	s_delay_alu instid0(VALU_DEP_2) | instskip(SKIP_1) | instid1(TRANS32_DEP_1)
	v_sqrt_f32_e32 v7, v1
	v_nop
	v_dual_add_nc_u32 v9, -1, v7 :: v_dual_add_nc_u32 v11, 1, v7
	s_delay_alu instid0(VALU_DEP_1) | instskip(NEXT) | instid1(VALU_DEP_1)
	v_dual_fma_f32 v13, -v9, v7, v1 :: v_dual_fma_f32 v14, -v11, v7, v1
	v_cmp_ge_f32_e64 s0, 0, v13
	s_delay_alu instid0(VALU_DEP_1) | instskip(NEXT) | instid1(VALU_DEP_3)
	v_cndmask_b32_e64 v7, v7, v9, s0
	v_cmp_lt_f32_e64 s0, 0, v14
	s_delay_alu instid0(VALU_DEP_1) | instskip(NEXT) | instid1(VALU_DEP_1)
	v_cndmask_b32_e64 v7, v7, v11, s0
	v_mul_f32_e32 v9, 0x37800000, v7
	s_delay_alu instid0(VALU_DEP_1) | instskip(SKIP_1) | instid1(VALU_DEP_2)
	v_cndmask_b32_e32 v7, v7, v9, vcc_lo
	v_cmp_class_f32_e64 vcc_lo, v1, 0x260
	v_cndmask_b32_e32 v1, v7, v1, vcc_lo
	s_delay_alu instid0(VALU_DEP_1) | instskip(NEXT) | instid1(VALU_DEP_1)
	v_div_scale_f32 v5, null, v1, v1, v3
	v_rcp_f32_e32 v7, v5
	v_nop
	s_delay_alu instid0(TRANS32_DEP_1) | instskip(NEXT) | instid1(VALU_DEP_1)
	v_fma_f32 v9, -v5, v7, 1.0
	v_fmac_f32_e32 v7, v9, v7
	v_div_scale_f32 v9, vcc_lo, v3, v1, v3
	s_delay_alu instid0(VALU_DEP_1) | instskip(NEXT) | instid1(VALU_DEP_1)
	v_mul_f32_e32 v11, v9, v7
	v_fma_f32 v13, -v5, v11, v9
	s_delay_alu instid0(VALU_DEP_1) | instskip(NEXT) | instid1(VALU_DEP_1)
	v_fmac_f32_e32 v11, v13, v7
	v_fma_f32 v5, -v5, v11, v9
	s_delay_alu instid0(VALU_DEP_1) | instskip(NEXT) | instid1(VALU_DEP_1)
	v_div_fmas_f32 v5, v5, v7, v11
	v_div_fixup_f32 v14, v5, v1, v3
                                        ; implicit-def: $vgpr1
                                        ; implicit-def: $vgpr5
                                        ; implicit-def: $vgpr3
.LBB19_1766:
	s_and_not1_saveexec_b32 s7, s7
	s_cbranch_execz .LBB19_1768
; %bb.1767:
	v_mul_f32_e64 v7, 0x4f800000, |v1|
	v_cmp_gt_f32_e64 vcc_lo, 0xf800000, |v1|
	v_mul_f32_e32 v5, -0.5, v5
	s_delay_alu instid0(VALU_DEP_2) | instskip(NEXT) | instid1(VALU_DEP_2)
	v_cndmask_b32_e64 v1, |v1|, v7, vcc_lo
	v_mul_f32_e32 v3, v3, v5
	s_delay_alu instid0(VALU_DEP_2) | instskip(SKIP_1) | instid1(TRANS32_DEP_1)
	v_sqrt_f32_e32 v7, v1
	v_nop
	v_dual_add_nc_u32 v9, -1, v7 :: v_dual_add_nc_u32 v11, 1, v7
	s_delay_alu instid0(VALU_DEP_1) | instskip(NEXT) | instid1(VALU_DEP_1)
	v_dual_fma_f32 v13, -v9, v7, v1 :: v_dual_fma_f32 v14, -v11, v7, v1
	v_cmp_ge_f32_e64 s0, 0, v13
	s_delay_alu instid0(VALU_DEP_1) | instskip(NEXT) | instid1(VALU_DEP_3)
	v_cndmask_b32_e64 v7, v7, v9, s0
	v_cmp_lt_f32_e64 s0, 0, v14
	s_delay_alu instid0(VALU_DEP_1) | instskip(NEXT) | instid1(VALU_DEP_1)
	v_cndmask_b32_e64 v7, v7, v11, s0
	v_mul_f32_e32 v9, 0x37800000, v7
	s_delay_alu instid0(VALU_DEP_1) | instskip(SKIP_1) | instid1(VALU_DEP_2)
	v_cndmask_b32_e32 v7, v7, v9, vcc_lo
	v_cmp_class_f32_e64 vcc_lo, v1, 0x260
	v_cndmask_b32_e32 v1, v7, v1, vcc_lo
	s_delay_alu instid0(VALU_DEP_1) | instskip(NEXT) | instid1(VALU_DEP_1)
	v_div_scale_f32 v5, null, v1, v1, v3
	v_rcp_f32_e32 v7, v5
	v_nop
	s_delay_alu instid0(TRANS32_DEP_1) | instskip(NEXT) | instid1(VALU_DEP_1)
	v_fma_f32 v9, -v5, v7, 1.0
	v_fmac_f32_e32 v7, v9, v7
	v_div_scale_f32 v9, vcc_lo, v3, v1, v3
	s_delay_alu instid0(VALU_DEP_1) | instskip(NEXT) | instid1(VALU_DEP_1)
	v_mul_f32_e32 v11, v9, v7
	v_fma_f32 v13, -v5, v11, v9
	s_delay_alu instid0(VALU_DEP_1) | instskip(NEXT) | instid1(VALU_DEP_1)
	v_fmac_f32_e32 v11, v13, v7
	v_fma_f32 v5, -v5, v11, v9
	s_delay_alu instid0(VALU_DEP_1) | instskip(NEXT) | instid1(VALU_DEP_1)
	v_div_fmas_f32 v5, v5, v7, v11
	v_div_fixup_f32 v14, v5, v1, v3
.LBB19_1768:
	s_or_b32 exec_lo, exec_lo, s7
.LBB19_1769:
	s_delay_alu instid0(SALU_CYCLE_1)
	s_or_b32 exec_lo, exec_lo, s6
	v_mov_b32_e32 v7, 0
	global_load_u8 v1, v7, s[2:3] offset:345
	s_wait_xcnt 0x0
	v_add_nc_u64_e32 v[6:7], s[4:5], v[6:7]
	s_wait_loadcnt 0x0
	v_and_b32_e32 v3, 0xffff, v1
	v_readfirstlane_b32 s6, v1
	s_delay_alu instid0(VALU_DEP_2)
	v_cmp_gt_i32_e32 vcc_lo, 11, v3
	s_cbranch_vccnz .LBB19_1892
; %bb.1770:
	s_and_b32 s2, 0xffff, s6
	s_mov_b32 s10, -1
	s_mov_b32 s3, 0
	s_cmp_gt_i32 s2, 25
	s_mov_b32 s7, 0
	s_mov_b32 s0, 0
	s_cbranch_scc0 .LBB19_1803
; %bb.1771:
	s_cmp_gt_i32 s2, 28
	s_cbranch_scc0 .LBB19_1786
; %bb.1772:
	s_cmp_gt_i32 s2, 43
	;; [unrolled: 3-line block ×3, first 2 shown]
	s_cbranch_scc0 .LBB19_1776
; %bb.1774:
	s_mov_b32 s0, -1
	s_mov_b32 s10, 0
	s_cmp_eq_u32 s2, 46
	s_cbranch_scc0 .LBB19_1776
; %bb.1775:
	v_bfe_u32 v1, v8, 16, 1
	v_cmp_o_f32_e32 vcc_lo, v8, v8
	s_mov_b32 s0, 0
	s_mov_b32 s7, -1
	s_delay_alu instid0(VALU_DEP_2) | instskip(NEXT) | instid1(VALU_DEP_1)
	v_add3_u32 v1, v8, v1, 0x7fff
	v_lshrrev_b32_e32 v1, 16, v1
	s_delay_alu instid0(VALU_DEP_1)
	v_cndmask_b32_e32 v1, 0x7fc0, v1, vcc_lo
	global_store_b32 v[6:7], v1, off
.LBB19_1776:
	s_and_b32 vcc_lo, exec_lo, s10
	s_cbranch_vccz .LBB19_1781
; %bb.1777:
	s_cmp_eq_u32 s2, 44
	s_mov_b32 s0, -1
	s_cbranch_scc0 .LBB19_1781
; %bb.1778:
	v_bfe_u32 v3, v8, 23, 8
	s_wait_xcnt 0x0
	v_mov_b32_e32 v1, 0xff
	s_mov_b32 s7, exec_lo
	s_delay_alu instid0(VALU_DEP_2)
	v_cmpx_ne_u32_e32 0xff, v3
	s_cbranch_execz .LBB19_1780
; %bb.1779:
	v_and_b32_e32 v1, 0x400000, v8
	v_and_or_b32 v3, 0x3fffff, v8, v3
	s_delay_alu instid0(VALU_DEP_2) | instskip(NEXT) | instid1(VALU_DEP_2)
	v_cmp_ne_u32_e32 vcc_lo, 0, v1
	v_cmp_ne_u32_e64 s0, 0, v3
	v_lshrrev_b32_e32 v1, 23, v8
	s_and_b32 s0, vcc_lo, s0
	s_delay_alu instid0(SALU_CYCLE_1) | instskip(NEXT) | instid1(VALU_DEP_1)
	v_cndmask_b32_e64 v3, 0, 1, s0
	v_add_nc_u32_e32 v1, v1, v3
.LBB19_1780:
	s_or_b32 exec_lo, exec_lo, s7
	s_mov_b32 s0, 0
	s_mov_b32 s7, -1
	global_store_b8 v[6:7], v1, off
.LBB19_1781:
	s_mov_b32 s10, 0
.LBB19_1782:
	s_delay_alu instid0(SALU_CYCLE_1)
	s_and_b32 vcc_lo, exec_lo, s10
	s_cbranch_vccz .LBB19_1785
; %bb.1783:
	s_cmp_eq_u32 s2, 29
	s_mov_b32 s0, -1
	s_cbranch_scc0 .LBB19_1785
; %bb.1784:
	s_wait_xcnt 0x0
	v_trunc_f32_e32 v1, v8
	s_mov_b32 s0, 0
	s_mov_b32 s7, -1
	s_delay_alu instid0(VALU_DEP_1) | instskip(NEXT) | instid1(VALU_DEP_1)
	v_mul_f32_e32 v3, 0x2f800000, v1
	v_floor_f32_e32 v3, v3
	s_delay_alu instid0(VALU_DEP_1) | instskip(SKIP_1) | instid1(VALU_DEP_2)
	v_fmamk_f32 v1, v3, 0xcf800000, v1
	v_cvt_u32_f32_e32 v17, v3
	v_cvt_u32_f32_e32 v16, v1
	global_store_b64 v[6:7], v[16:17], off
.LBB19_1785:
	s_mov_b32 s10, 0
.LBB19_1786:
	s_delay_alu instid0(SALU_CYCLE_1)
	s_and_b32 vcc_lo, exec_lo, s10
	s_cbranch_vccz .LBB19_1802
; %bb.1787:
	s_cmp_lt_i32 s2, 27
	s_mov_b32 s7, -1
	s_cbranch_scc1 .LBB19_1793
; %bb.1788:
	s_wait_xcnt 0x0
	v_cvt_u32_f32_e32 v1, v8
	s_cmp_gt_i32 s2, 27
	s_cbranch_scc0 .LBB19_1790
; %bb.1789:
	s_mov_b32 s7, 0
	global_store_b32 v[6:7], v1, off
.LBB19_1790:
	s_and_not1_b32 vcc_lo, exec_lo, s7
	s_cbranch_vccnz .LBB19_1792
; %bb.1791:
	global_store_b16 v[6:7], v1, off
.LBB19_1792:
	s_mov_b32 s7, 0
.LBB19_1793:
	s_delay_alu instid0(SALU_CYCLE_1)
	s_and_not1_b32 vcc_lo, exec_lo, s7
	s_cbranch_vccnz .LBB19_1801
; %bb.1794:
	s_wait_xcnt 0x0
	v_and_b32_e32 v1, 0x7fffffff, v8
	v_mov_b32_e32 v3, 0x80
	s_mov_b32 s7, exec_lo
	s_delay_alu instid0(VALU_DEP_2)
	v_cmpx_gt_u32_e32 0x43800000, v1
	s_cbranch_execz .LBB19_1800
; %bb.1795:
	v_cmp_lt_u32_e32 vcc_lo, 0x3bffffff, v1
	s_mov_b32 s10, 0
                                        ; implicit-def: $vgpr1
	s_and_saveexec_b32 s11, vcc_lo
	s_delay_alu instid0(SALU_CYCLE_1)
	s_xor_b32 s11, exec_lo, s11
	s_cbranch_execz .LBB19_2250
; %bb.1796:
	v_bfe_u32 v1, v8, 20, 1
	s_mov_b32 s10, exec_lo
	s_delay_alu instid0(VALU_DEP_1) | instskip(NEXT) | instid1(VALU_DEP_1)
	v_add3_u32 v1, v8, v1, 0x487ffff
	v_lshrrev_b32_e32 v1, 20, v1
	s_and_not1_saveexec_b32 s11, s11
	s_cbranch_execnz .LBB19_2251
.LBB19_1797:
	s_or_b32 exec_lo, exec_lo, s11
	v_mov_b32_e32 v3, 0
	s_and_saveexec_b32 s11, s10
.LBB19_1798:
	v_lshrrev_b32_e32 v3, 24, v8
	s_delay_alu instid0(VALU_DEP_1)
	v_and_or_b32 v3, 0x80, v3, v1
.LBB19_1799:
	s_or_b32 exec_lo, exec_lo, s11
.LBB19_1800:
	s_delay_alu instid0(SALU_CYCLE_1)
	s_or_b32 exec_lo, exec_lo, s7
	global_store_b8 v[6:7], v3, off
.LBB19_1801:
	s_mov_b32 s7, -1
.LBB19_1802:
	s_mov_b32 s10, 0
.LBB19_1803:
	s_delay_alu instid0(SALU_CYCLE_1)
	s_and_b32 vcc_lo, exec_lo, s10
	s_cbranch_vccz .LBB19_1843
; %bb.1804:
	s_cmp_gt_i32 s2, 22
	s_mov_b32 s3, -1
	s_cbranch_scc0 .LBB19_1836
; %bb.1805:
	s_cmp_lt_i32 s2, 24
	s_cbranch_scc1 .LBB19_1825
; %bb.1806:
	s_cmp_gt_i32 s2, 24
	s_cbranch_scc0 .LBB19_1814
; %bb.1807:
	s_wait_xcnt 0x0
	v_and_b32_e32 v1, 0x7fffffff, v8
	v_mov_b32_e32 v3, 0x80
	s_mov_b32 s3, exec_lo
	s_delay_alu instid0(VALU_DEP_2)
	v_cmpx_gt_u32_e32 0x47800000, v1
	s_cbranch_execz .LBB19_1813
; %bb.1808:
	v_cmp_lt_u32_e32 vcc_lo, 0x37ffffff, v1
	s_mov_b32 s7, 0
                                        ; implicit-def: $vgpr1
	s_and_saveexec_b32 s10, vcc_lo
	s_delay_alu instid0(SALU_CYCLE_1)
	s_xor_b32 s10, exec_lo, s10
	s_cbranch_execz .LBB19_2253
; %bb.1809:
	v_bfe_u32 v1, v8, 21, 1
	s_mov_b32 s7, exec_lo
	s_delay_alu instid0(VALU_DEP_1) | instskip(NEXT) | instid1(VALU_DEP_1)
	v_add3_u32 v1, v8, v1, 0x88fffff
	v_lshrrev_b32_e32 v1, 21, v1
	s_and_not1_saveexec_b32 s10, s10
	s_cbranch_execnz .LBB19_2254
.LBB19_1810:
	s_or_b32 exec_lo, exec_lo, s10
	v_mov_b32_e32 v3, 0
	s_and_saveexec_b32 s10, s7
.LBB19_1811:
	v_lshrrev_b32_e32 v3, 24, v8
	s_delay_alu instid0(VALU_DEP_1)
	v_and_or_b32 v3, 0x80, v3, v1
.LBB19_1812:
	s_or_b32 exec_lo, exec_lo, s10
.LBB19_1813:
	s_delay_alu instid0(SALU_CYCLE_1)
	s_or_b32 exec_lo, exec_lo, s3
	s_mov_b32 s3, 0
	global_store_b8 v[6:7], v3, off
.LBB19_1814:
	s_and_b32 vcc_lo, exec_lo, s3
	s_cbranch_vccz .LBB19_1824
; %bb.1815:
	s_wait_xcnt 0x0
	v_and_b32_e32 v3, 0x7fffffff, v8
	s_mov_b32 s3, exec_lo
                                        ; implicit-def: $vgpr1
	s_delay_alu instid0(VALU_DEP_1)
	v_cmpx_gt_u32_e32 0x43f00000, v3
	s_xor_b32 s3, exec_lo, s3
	s_cbranch_execz .LBB19_1821
; %bb.1816:
	s_mov_b32 s7, exec_lo
                                        ; implicit-def: $vgpr1
	v_cmpx_lt_u32_e32 0x3c7fffff, v3
	s_xor_b32 s7, exec_lo, s7
; %bb.1817:
	v_bfe_u32 v1, v8, 20, 1
	s_delay_alu instid0(VALU_DEP_1) | instskip(NEXT) | instid1(VALU_DEP_1)
	v_add3_u32 v1, v8, v1, 0x407ffff
	v_and_b32_e32 v3, 0xff00000, v1
	v_lshrrev_b32_e32 v1, 20, v1
	s_delay_alu instid0(VALU_DEP_2) | instskip(NEXT) | instid1(VALU_DEP_2)
	v_cmp_ne_u32_e32 vcc_lo, 0x7f00000, v3
	v_cndmask_b32_e32 v1, 0x7e, v1, vcc_lo
; %bb.1818:
	s_and_not1_saveexec_b32 s7, s7
; %bb.1819:
	v_add_f32_e64 v1, 0x46800000, |v8|
; %bb.1820:
	s_or_b32 exec_lo, exec_lo, s7
                                        ; implicit-def: $vgpr3
.LBB19_1821:
	s_and_not1_saveexec_b32 s3, s3
; %bb.1822:
	v_mov_b32_e32 v1, 0x7f
	v_cmp_lt_u32_e32 vcc_lo, 0x7f800000, v3
	s_delay_alu instid0(VALU_DEP_2)
	v_cndmask_b32_e32 v1, 0x7e, v1, vcc_lo
; %bb.1823:
	s_or_b32 exec_lo, exec_lo, s3
	v_lshrrev_b32_e32 v3, 24, v8
	s_delay_alu instid0(VALU_DEP_1)
	v_and_or_b32 v1, 0x80, v3, v1
	global_store_b8 v[6:7], v1, off
.LBB19_1824:
	s_mov_b32 s3, 0
.LBB19_1825:
	s_delay_alu instid0(SALU_CYCLE_1)
	s_and_not1_b32 vcc_lo, exec_lo, s3
	s_cbranch_vccnz .LBB19_1835
; %bb.1826:
	s_wait_xcnt 0x0
	v_and_b32_e32 v3, 0x7fffffff, v8
	s_mov_b32 s3, exec_lo
                                        ; implicit-def: $vgpr1
	s_delay_alu instid0(VALU_DEP_1)
	v_cmpx_gt_u32_e32 0x47800000, v3
	s_xor_b32 s3, exec_lo, s3
	s_cbranch_execz .LBB19_1832
; %bb.1827:
	s_mov_b32 s7, exec_lo
                                        ; implicit-def: $vgpr1
	v_cmpx_lt_u32_e32 0x387fffff, v3
	s_xor_b32 s7, exec_lo, s7
; %bb.1828:
	v_bfe_u32 v1, v8, 21, 1
	s_delay_alu instid0(VALU_DEP_1) | instskip(NEXT) | instid1(VALU_DEP_1)
	v_add3_u32 v1, v8, v1, 0x80fffff
	v_lshrrev_b32_e32 v1, 21, v1
; %bb.1829:
	s_and_not1_saveexec_b32 s7, s7
; %bb.1830:
	v_add_f32_e64 v1, 0x43000000, |v8|
; %bb.1831:
	s_or_b32 exec_lo, exec_lo, s7
                                        ; implicit-def: $vgpr3
.LBB19_1832:
	s_and_not1_saveexec_b32 s3, s3
; %bb.1833:
	v_mov_b32_e32 v1, 0x7f
	v_cmp_lt_u32_e32 vcc_lo, 0x7f800000, v3
	s_delay_alu instid0(VALU_DEP_2)
	v_cndmask_b32_e32 v1, 0x7c, v1, vcc_lo
; %bb.1834:
	s_or_b32 exec_lo, exec_lo, s3
	v_lshrrev_b32_e32 v3, 24, v8
	s_delay_alu instid0(VALU_DEP_1)
	v_and_or_b32 v1, 0x80, v3, v1
	global_store_b8 v[6:7], v1, off
.LBB19_1835:
	s_mov_b32 s3, 0
	s_mov_b32 s7, -1
.LBB19_1836:
	s_and_not1_b32 vcc_lo, exec_lo, s3
	s_mov_b32 s3, 0
	s_cbranch_vccnz .LBB19_1843
; %bb.1837:
	s_cmp_gt_i32 s2, 14
	s_mov_b32 s3, -1
	s_cbranch_scc0 .LBB19_1841
; %bb.1838:
	s_cmp_eq_u32 s2, 15
	s_mov_b32 s0, -1
	s_cbranch_scc0 .LBB19_1840
; %bb.1839:
	s_wait_xcnt 0x0
	v_bfe_u32 v1, v8, 16, 1
	v_cmp_o_f32_e32 vcc_lo, v8, v8
	s_mov_b32 s0, 0
	s_mov_b32 s7, -1
	s_delay_alu instid0(VALU_DEP_2) | instskip(NEXT) | instid1(VALU_DEP_1)
	v_add3_u32 v1, v8, v1, 0x7fff
	v_lshrrev_b32_e32 v1, 16, v1
	s_delay_alu instid0(VALU_DEP_1)
	v_cndmask_b32_e32 v1, 0x7fc0, v1, vcc_lo
	global_store_b16 v[6:7], v1, off
.LBB19_1840:
	s_mov_b32 s3, 0
.LBB19_1841:
	s_delay_alu instid0(SALU_CYCLE_1)
	s_and_b32 vcc_lo, exec_lo, s3
	s_mov_b32 s3, 0
	s_cbranch_vccz .LBB19_1843
; %bb.1842:
	s_cmp_lg_u32 s2, 11
	s_mov_b32 s3, -1
	s_cselect_b32 s0, -1, 0
.LBB19_1843:
	s_delay_alu instid0(SALU_CYCLE_1)
	s_and_b32 vcc_lo, exec_lo, s0
	s_cbranch_vccnz .LBB19_2252
; %bb.1844:
	s_and_not1_b32 vcc_lo, exec_lo, s3
	s_cbranch_vccnz .LBB19_1846
.LBB19_1845:
	v_cmp_neq_f32_e32 vcc_lo, 0, v8
	s_mov_b32 s7, -1
	s_wait_xcnt 0x0
	v_cndmask_b32_e64 v1, 0, 1, vcc_lo
	global_store_b8 v[6:7], v1, off
.LBB19_1846:
	s_mov_b32 s0, 0
	s_branch .LBB19_1893
.LBB19_1847:
	s_mov_b32 s0, 0
	s_mov_b32 s3, 0
                                        ; implicit-def: $vgpr2_vgpr3
                                        ; implicit-def: $sgpr6
                                        ; implicit-def: $vgpr14
.LBB19_1848:
	s_and_not1_b32 s2, s8, exec_lo
	s_and_b32 s1, s1, exec_lo
	s_and_b32 s0, s0, exec_lo
	;; [unrolled: 1-line block ×3, first 2 shown]
	s_or_b32 s8, s2, s1
.LBB19_1849:
	s_wait_xcnt 0x0
	s_or_b32 exec_lo, exec_lo, s9
	s_and_saveexec_b32 s1, s8
	s_cbranch_execz .LBB19_1852
; %bb.1850:
	; divergent unreachable
	s_or_b32 exec_lo, exec_lo, s1
	s_and_saveexec_b32 s1, s30
	s_delay_alu instid0(SALU_CYCLE_1)
	s_xor_b32 s1, exec_lo, s1
	s_cbranch_execnz .LBB19_1853
.LBB19_1851:
	s_or_b32 exec_lo, exec_lo, s1
	s_and_saveexec_b32 s1, s0
	s_cbranch_execnz .LBB19_1854
	s_branch .LBB19_1891
.LBB19_1852:
	s_or_b32 exec_lo, exec_lo, s1
	s_and_saveexec_b32 s1, s30
	s_delay_alu instid0(SALU_CYCLE_1)
	s_xor_b32 s1, exec_lo, s1
	s_cbranch_execz .LBB19_1851
.LBB19_1853:
	v_cmp_neq_f32_e32 vcc_lo, 0, v14
	v_cndmask_b32_e64 v0, 0, 1, vcc_lo
	global_store_b8 v[2:3], v0, off
	s_wait_xcnt 0x0
	s_or_b32 exec_lo, exec_lo, s1
	s_and_saveexec_b32 s1, s0
	s_cbranch_execz .LBB19_1891
.LBB19_1854:
	s_sext_i32_i16 s1, s6
	s_mov_b32 s0, -1
	s_cmp_lt_i32 s1, 5
	s_cbranch_scc1 .LBB19_1875
; %bb.1855:
	s_cmp_lt_i32 s1, 8
	s_cbranch_scc1 .LBB19_1865
; %bb.1856:
	;; [unrolled: 3-line block ×3, first 2 shown]
	s_cmp_gt_i32 s1, 9
	s_cbranch_scc0 .LBB19_1859
; %bb.1858:
	v_cvt_f64_f32_e32 v[4:5], v14
	v_mov_b32_e32 v6, 0
	s_mov_b32 s0, 0
	s_delay_alu instid0(VALU_DEP_1)
	v_mov_b32_e32 v7, v6
	global_store_b128 v[2:3], v[4:7], off
.LBB19_1859:
	s_and_not1_b32 vcc_lo, exec_lo, s0
	s_cbranch_vccnz .LBB19_1861
; %bb.1860:
	v_mov_b32_e32 v15, 0
	global_store_b64 v[2:3], v[14:15], off
.LBB19_1861:
	s_mov_b32 s0, 0
.LBB19_1862:
	s_delay_alu instid0(SALU_CYCLE_1)
	s_and_not1_b32 vcc_lo, exec_lo, s0
	s_cbranch_vccnz .LBB19_1864
; %bb.1863:
	v_cvt_f16_f32_e32 v0, v14
	s_delay_alu instid0(VALU_DEP_1)
	v_and_b32_e32 v0, 0xffff, v0
	global_store_b32 v[2:3], v0, off
.LBB19_1864:
	s_mov_b32 s0, 0
.LBB19_1865:
	s_delay_alu instid0(SALU_CYCLE_1)
	s_and_not1_b32 vcc_lo, exec_lo, s0
	s_cbranch_vccnz .LBB19_1874
; %bb.1866:
	s_sext_i32_i16 s1, s6
	s_mov_b32 s0, -1
	s_cmp_lt_i32 s1, 6
	s_cbranch_scc1 .LBB19_1872
; %bb.1867:
	s_cmp_gt_i32 s1, 6
	s_cbranch_scc0 .LBB19_1869
; %bb.1868:
	s_wait_loadcnt 0x0
	v_cvt_f64_f32_e32 v[0:1], v14
	s_mov_b32 s0, 0
	global_store_b64 v[2:3], v[0:1], off
.LBB19_1869:
	s_and_not1_b32 vcc_lo, exec_lo, s0
	s_cbranch_vccnz .LBB19_1871
; %bb.1870:
	global_store_b32 v[2:3], v14, off
.LBB19_1871:
	s_mov_b32 s0, 0
.LBB19_1872:
	s_delay_alu instid0(SALU_CYCLE_1)
	s_and_not1_b32 vcc_lo, exec_lo, s0
	s_cbranch_vccnz .LBB19_1874
; %bb.1873:
	s_wait_xcnt 0x0
	v_cvt_f16_f32_e32 v0, v14
	global_store_b16 v[2:3], v0, off
.LBB19_1874:
	s_mov_b32 s0, 0
.LBB19_1875:
	s_delay_alu instid0(SALU_CYCLE_1)
	s_and_not1_b32 vcc_lo, exec_lo, s0
	s_cbranch_vccnz .LBB19_1891
; %bb.1876:
	s_sext_i32_i16 s1, s6
	s_mov_b32 s0, -1
	s_cmp_lt_i32 s1, 2
	s_cbranch_scc1 .LBB19_1886
; %bb.1877:
	s_cmp_lt_i32 s1, 3
	s_cbranch_scc1 .LBB19_1883
; %bb.1878:
	s_cmp_gt_i32 s1, 3
	s_cbranch_scc0 .LBB19_1880
; %bb.1879:
	s_wait_xcnt 0x0
	v_trunc_f32_e32 v0, v14
	s_mov_b32 s0, 0
	s_wait_loadcnt 0x0
	s_delay_alu instid0(VALU_DEP_1) | instskip(NEXT) | instid1(VALU_DEP_1)
	v_mul_f32_e64 v1, 0x2f800000, |v0|
	v_floor_f32_e32 v1, v1
	s_delay_alu instid0(VALU_DEP_1) | instskip(SKIP_2) | instid1(VALU_DEP_3)
	v_fma_f32 v4, 0xcf800000, v1, |v0|
	v_ashrrev_i32_e32 v0, 31, v0
	v_cvt_u32_f32_e32 v5, v1
	v_cvt_u32_f32_e32 v4, v4
	s_delay_alu instid0(VALU_DEP_2) | instskip(NEXT) | instid1(VALU_DEP_2)
	v_dual_mov_b32 v1, v0 :: v_dual_bitop2_b32 v5, v5, v0 bitop3:0x14
	v_xor_b32_e32 v4, v4, v0
	s_delay_alu instid0(VALU_DEP_1)
	v_sub_nc_u64_e32 v[0:1], v[4:5], v[0:1]
	global_store_b64 v[2:3], v[0:1], off
.LBB19_1880:
	s_and_not1_b32 vcc_lo, exec_lo, s0
	s_cbranch_vccnz .LBB19_1882
; %bb.1881:
	s_wait_xcnt 0x0
	v_cvt_i32_f32_e32 v0, v14
	global_store_b32 v[2:3], v0, off
.LBB19_1882:
	s_mov_b32 s0, 0
.LBB19_1883:
	s_delay_alu instid0(SALU_CYCLE_1)
	s_and_not1_b32 vcc_lo, exec_lo, s0
	s_cbranch_vccnz .LBB19_1885
; %bb.1884:
	s_wait_xcnt 0x0
	v_cvt_i32_f32_e32 v0, v14
	global_store_b16 v[2:3], v0, off
.LBB19_1885:
	s_mov_b32 s0, 0
.LBB19_1886:
	s_delay_alu instid0(SALU_CYCLE_1)
	s_and_not1_b32 vcc_lo, exec_lo, s0
	s_cbranch_vccnz .LBB19_1891
; %bb.1887:
	s_sext_i32_i16 s0, s6
	s_delay_alu instid0(SALU_CYCLE_1)
	s_cmp_gt_i32 s0, 0
	s_mov_b32 s0, -1
	s_cbranch_scc0 .LBB19_1889
; %bb.1888:
	s_wait_xcnt 0x0
	v_cvt_i32_f32_e32 v0, v14
	s_mov_b32 s0, 0
	global_store_b8 v[2:3], v0, off
.LBB19_1889:
	s_and_not1_b32 vcc_lo, exec_lo, s0
	s_cbranch_vccnz .LBB19_1891
; %bb.1890:
	s_wait_xcnt 0x0
	v_trunc_f32_e32 v0, v14
	s_wait_loadcnt 0x0
	s_delay_alu instid0(VALU_DEP_1) | instskip(NEXT) | instid1(VALU_DEP_1)
	v_mul_f32_e64 v1, 0x2f800000, |v0|
	v_floor_f32_e32 v1, v1
	s_delay_alu instid0(VALU_DEP_1) | instskip(SKIP_1) | instid1(VALU_DEP_2)
	v_fma_f32 v1, 0xcf800000, v1, |v0|
	v_ashrrev_i32_e32 v0, 31, v0
	v_cvt_u32_f32_e32 v1, v1
	s_delay_alu instid0(VALU_DEP_1) | instskip(NEXT) | instid1(VALU_DEP_1)
	v_xor_b32_e32 v1, v1, v0
	v_sub_nc_u32_e32 v0, v1, v0
	global_store_b8 v[2:3], v0, off
	s_endpgm
.LBB19_1891:
	s_endpgm
.LBB19_1892:
	s_mov_b32 s0, -1
	s_mov_b32 s7, 0
.LBB19_1893:
	s_and_b32 vcc_lo, exec_lo, s0
	s_cbranch_vccz .LBB19_1932
; %bb.1894:
	s_and_b32 s0, 0xffff, s6
	s_mov_b32 s2, -1
	s_cmp_lt_i32 s0, 5
	s_cbranch_scc1 .LBB19_1915
; %bb.1895:
	s_cmp_lt_i32 s0, 8
	s_cbranch_scc1 .LBB19_1905
; %bb.1896:
	;; [unrolled: 3-line block ×3, first 2 shown]
	s_cmp_gt_i32 s0, 9
	s_cbranch_scc0 .LBB19_1899
; %bb.1898:
	s_wait_xcnt 0x0
	v_cvt_f64_f32_e32 v[16:17], v8
	v_mov_b32_e32 v18, 0
	s_mov_b32 s2, 0
	s_delay_alu instid0(VALU_DEP_1)
	v_mov_b32_e32 v19, v18
	global_store_b128 v[6:7], v[16:19], off
.LBB19_1899:
	s_and_not1_b32 vcc_lo, exec_lo, s2
	s_cbranch_vccnz .LBB19_1901
; %bb.1900:
	v_mov_b32_e32 v9, 0
	global_store_b64 v[6:7], v[8:9], off
.LBB19_1901:
	s_mov_b32 s2, 0
.LBB19_1902:
	s_delay_alu instid0(SALU_CYCLE_1)
	s_and_not1_b32 vcc_lo, exec_lo, s2
	s_cbranch_vccnz .LBB19_1904
; %bb.1903:
	s_wait_xcnt 0x0
	v_cvt_f16_f32_e32 v1, v8
	s_delay_alu instid0(VALU_DEP_1)
	v_and_b32_e32 v1, 0xffff, v1
	global_store_b32 v[6:7], v1, off
.LBB19_1904:
	s_mov_b32 s2, 0
.LBB19_1905:
	s_delay_alu instid0(SALU_CYCLE_1)
	s_and_not1_b32 vcc_lo, exec_lo, s2
	s_cbranch_vccnz .LBB19_1914
; %bb.1906:
	s_cmp_lt_i32 s0, 6
	s_mov_b32 s2, -1
	s_cbranch_scc1 .LBB19_1912
; %bb.1907:
	s_cmp_gt_i32 s0, 6
	s_cbranch_scc0 .LBB19_1909
; %bb.1908:
	s_wait_xcnt 0x0
	v_cvt_f64_f32_e32 v[16:17], v8
	s_mov_b32 s2, 0
	global_store_b64 v[6:7], v[16:17], off
.LBB19_1909:
	s_and_not1_b32 vcc_lo, exec_lo, s2
	s_cbranch_vccnz .LBB19_1911
; %bb.1910:
	global_store_b32 v[6:7], v8, off
.LBB19_1911:
	s_mov_b32 s2, 0
.LBB19_1912:
	s_delay_alu instid0(SALU_CYCLE_1)
	s_and_not1_b32 vcc_lo, exec_lo, s2
	s_cbranch_vccnz .LBB19_1914
; %bb.1913:
	s_wait_xcnt 0x0
	v_cvt_f16_f32_e32 v1, v8
	global_store_b16 v[6:7], v1, off
.LBB19_1914:
	s_mov_b32 s2, 0
.LBB19_1915:
	s_delay_alu instid0(SALU_CYCLE_1)
	s_and_not1_b32 vcc_lo, exec_lo, s2
	s_cbranch_vccnz .LBB19_1931
; %bb.1916:
	s_cmp_lt_i32 s0, 2
	s_mov_b32 s2, -1
	s_cbranch_scc1 .LBB19_1926
; %bb.1917:
	s_cmp_lt_i32 s0, 3
	s_cbranch_scc1 .LBB19_1923
; %bb.1918:
	s_cmp_gt_i32 s0, 3
	s_cbranch_scc0 .LBB19_1920
; %bb.1919:
	s_wait_xcnt 0x0
	v_trunc_f32_e32 v1, v8
	s_mov_b32 s2, 0
	s_delay_alu instid0(VALU_DEP_1) | instskip(SKIP_1) | instid1(VALU_DEP_2)
	v_mul_f32_e64 v3, 0x2f800000, |v1|
	v_ashrrev_i32_e32 v16, 31, v1
	v_floor_f32_e32 v3, v3
	s_delay_alu instid0(VALU_DEP_1) | instskip(SKIP_1) | instid1(VALU_DEP_4)
	v_fma_f32 v5, 0xcf800000, v3, |v1|
	v_cvt_u32_f32_e32 v1, v3
	v_mov_b32_e32 v17, v16
	s_delay_alu instid0(VALU_DEP_3) | instskip(NEXT) | instid1(VALU_DEP_3)
	v_cvt_u32_f32_e32 v3, v5
	v_xor_b32_e32 v19, v1, v16
	s_delay_alu instid0(VALU_DEP_2) | instskip(NEXT) | instid1(VALU_DEP_1)
	v_xor_b32_e32 v18, v3, v16
	v_sub_nc_u64_e32 v[16:17], v[18:19], v[16:17]
	global_store_b64 v[6:7], v[16:17], off
.LBB19_1920:
	s_and_not1_b32 vcc_lo, exec_lo, s2
	s_cbranch_vccnz .LBB19_1922
; %bb.1921:
	s_wait_xcnt 0x0
	v_cvt_i32_f32_e32 v1, v8
	global_store_b32 v[6:7], v1, off
.LBB19_1922:
	s_mov_b32 s2, 0
.LBB19_1923:
	s_delay_alu instid0(SALU_CYCLE_1)
	s_and_not1_b32 vcc_lo, exec_lo, s2
	s_cbranch_vccnz .LBB19_1925
; %bb.1924:
	s_wait_xcnt 0x0
	v_cvt_i32_f32_e32 v1, v8
	global_store_b16 v[6:7], v1, off
.LBB19_1925:
	s_mov_b32 s2, 0
.LBB19_1926:
	s_delay_alu instid0(SALU_CYCLE_1)
	s_and_not1_b32 vcc_lo, exec_lo, s2
	s_cbranch_vccnz .LBB19_1931
; %bb.1927:
	s_cmp_gt_i32 s0, 0
	s_mov_b32 s0, -1
	s_cbranch_scc0 .LBB19_1929
; %bb.1928:
	s_wait_xcnt 0x0
	v_cvt_i32_f32_e32 v1, v8
	s_mov_b32 s0, 0
	global_store_b8 v[6:7], v1, off
.LBB19_1929:
	s_and_not1_b32 vcc_lo, exec_lo, s0
	s_cbranch_vccnz .LBB19_1931
; %bb.1930:
	s_wait_xcnt 0x0
	v_trunc_f32_e32 v1, v8
	s_delay_alu instid0(VALU_DEP_1) | instskip(NEXT) | instid1(VALU_DEP_1)
	v_mul_f32_e64 v3, 0x2f800000, |v1|
	v_floor_f32_e32 v3, v3
	s_delay_alu instid0(VALU_DEP_1) | instskip(SKIP_1) | instid1(VALU_DEP_2)
	v_fma_f32 v3, 0xcf800000, v3, |v1|
	v_ashrrev_i32_e32 v1, 31, v1
	v_cvt_u32_f32_e32 v3, v3
	s_delay_alu instid0(VALU_DEP_1) | instskip(NEXT) | instid1(VALU_DEP_1)
	v_xor_b32_e32 v3, v3, v1
	v_sub_nc_u32_e32 v1, v3, v1
	global_store_b8 v[6:7], v1, off
.LBB19_1931:
	s_mov_b32 s7, -1
.LBB19_1932:
	s_delay_alu instid0(SALU_CYCLE_1)
	s_and_not1_b32 vcc_lo, exec_lo, s7
	s_cbranch_vccnz .LBB19_2247
; %bb.1933:
	v_mov_b32_e32 v5, 0
	s_and_b32 s2, 0xffff, s6
	s_delay_alu instid0(SALU_CYCLE_1) | instskip(NEXT) | instid1(VALU_DEP_1)
	s_cmp_lt_i32 s2, 11
	v_add_nc_u64_e32 v[4:5], s[4:5], v[4:5]
	s_cbranch_scc1 .LBB19_2011
; %bb.1934:
	s_mov_b32 s10, -1
	s_mov_b32 s3, 0
	s_cmp_gt_i32 s2, 25
	s_mov_b32 s7, 0
	s_mov_b32 s0, 0
	s_cbranch_scc0 .LBB19_1967
; %bb.1935:
	s_cmp_gt_i32 s2, 28
	s_cbranch_scc0 .LBB19_1950
; %bb.1936:
	s_cmp_gt_i32 s2, 43
	;; [unrolled: 3-line block ×3, first 2 shown]
	s_cbranch_scc0 .LBB19_1940
; %bb.1938:
	s_mov_b32 s0, -1
	s_mov_b32 s10, 0
	s_cmp_eq_u32 s2, 46
	s_cbranch_scc0 .LBB19_1940
; %bb.1939:
	s_wait_xcnt 0x0
	v_bfe_u32 v1, v10, 16, 1
	v_cmp_o_f32_e32 vcc_lo, v10, v10
	s_mov_b32 s0, 0
	s_mov_b32 s7, -1
	s_delay_alu instid0(VALU_DEP_2) | instskip(NEXT) | instid1(VALU_DEP_1)
	v_add3_u32 v1, v10, v1, 0x7fff
	v_lshrrev_b32_e32 v1, 16, v1
	s_delay_alu instid0(VALU_DEP_1)
	v_cndmask_b32_e32 v1, 0x7fc0, v1, vcc_lo
	global_store_b32 v[4:5], v1, off
.LBB19_1940:
	s_and_b32 vcc_lo, exec_lo, s10
	s_cbranch_vccz .LBB19_1945
; %bb.1941:
	s_cmp_eq_u32 s2, 44
	s_mov_b32 s0, -1
	s_cbranch_scc0 .LBB19_1945
; %bb.1942:
	s_wait_xcnt 0x0
	v_bfe_u32 v3, v10, 23, 8
	v_mov_b32_e32 v1, 0xff
	s_mov_b32 s7, exec_lo
	s_delay_alu instid0(VALU_DEP_2)
	v_cmpx_ne_u32_e32 0xff, v3
	s_cbranch_execz .LBB19_1944
; %bb.1943:
	v_and_b32_e32 v1, 0x400000, v10
	v_and_or_b32 v3, 0x3fffff, v10, v3
	s_delay_alu instid0(VALU_DEP_2) | instskip(NEXT) | instid1(VALU_DEP_2)
	v_cmp_ne_u32_e32 vcc_lo, 0, v1
	v_cmp_ne_u32_e64 s0, 0, v3
	v_lshrrev_b32_e32 v1, 23, v10
	s_and_b32 s0, vcc_lo, s0
	s_delay_alu instid0(SALU_CYCLE_1) | instskip(NEXT) | instid1(VALU_DEP_1)
	v_cndmask_b32_e64 v3, 0, 1, s0
	v_add_nc_u32_e32 v1, v1, v3
.LBB19_1944:
	s_or_b32 exec_lo, exec_lo, s7
	s_mov_b32 s0, 0
	s_mov_b32 s7, -1
	global_store_b8 v[4:5], v1, off
.LBB19_1945:
	s_mov_b32 s10, 0
.LBB19_1946:
	s_delay_alu instid0(SALU_CYCLE_1)
	s_and_b32 vcc_lo, exec_lo, s10
	s_cbranch_vccz .LBB19_1949
; %bb.1947:
	s_cmp_eq_u32 s2, 29
	s_mov_b32 s0, -1
	s_cbranch_scc0 .LBB19_1949
; %bb.1948:
	s_wait_xcnt 0x0
	v_trunc_f32_e32 v1, v10
	s_mov_b32 s0, 0
	s_mov_b32 s7, -1
	s_delay_alu instid0(VALU_DEP_1) | instskip(NEXT) | instid1(VALU_DEP_1)
	v_mul_f32_e32 v3, 0x2f800000, v1
	v_floor_f32_e32 v3, v3
	s_delay_alu instid0(VALU_DEP_1) | instskip(SKIP_1) | instid1(VALU_DEP_2)
	v_fmamk_f32 v1, v3, 0xcf800000, v1
	v_cvt_u32_f32_e32 v7, v3
	v_cvt_u32_f32_e32 v6, v1
	global_store_b64 v[4:5], v[6:7], off
.LBB19_1949:
	s_mov_b32 s10, 0
.LBB19_1950:
	s_delay_alu instid0(SALU_CYCLE_1)
	s_and_b32 vcc_lo, exec_lo, s10
	s_cbranch_vccz .LBB19_1966
; %bb.1951:
	s_cmp_lt_i32 s2, 27
	s_mov_b32 s7, -1
	s_cbranch_scc1 .LBB19_1957
; %bb.1952:
	s_cmp_gt_i32 s2, 27
	s_cbranch_scc0 .LBB19_1954
; %bb.1953:
	s_wait_xcnt 0x0
	v_cvt_u32_f32_e32 v1, v10
	s_mov_b32 s7, 0
	global_store_b32 v[4:5], v1, off
.LBB19_1954:
	s_and_not1_b32 vcc_lo, exec_lo, s7
	s_cbranch_vccnz .LBB19_1956
; %bb.1955:
	s_wait_xcnt 0x0
	v_cvt_u32_f32_e32 v1, v10
	global_store_b16 v[4:5], v1, off
.LBB19_1956:
	s_mov_b32 s7, 0
.LBB19_1957:
	s_delay_alu instid0(SALU_CYCLE_1)
	s_and_not1_b32 vcc_lo, exec_lo, s7
	s_cbranch_vccnz .LBB19_1965
; %bb.1958:
	s_wait_xcnt 0x0
	v_and_b32_e32 v1, 0x7fffffff, v10
	v_mov_b32_e32 v3, 0x80
	s_mov_b32 s7, exec_lo
	s_delay_alu instid0(VALU_DEP_2)
	v_cmpx_gt_u32_e32 0x43800000, v1
	s_cbranch_execz .LBB19_1964
; %bb.1959:
	v_cmp_lt_u32_e32 vcc_lo, 0x3bffffff, v1
	s_mov_b32 s10, 0
                                        ; implicit-def: $vgpr1
	s_and_saveexec_b32 s11, vcc_lo
	s_delay_alu instid0(SALU_CYCLE_1)
	s_xor_b32 s11, exec_lo, s11
	s_cbranch_execz .LBB19_2255
; %bb.1960:
	v_bfe_u32 v1, v10, 20, 1
	s_mov_b32 s10, exec_lo
	s_delay_alu instid0(VALU_DEP_1) | instskip(NEXT) | instid1(VALU_DEP_1)
	v_add3_u32 v1, v10, v1, 0x487ffff
	v_lshrrev_b32_e32 v1, 20, v1
	s_and_not1_saveexec_b32 s11, s11
	s_cbranch_execnz .LBB19_2256
.LBB19_1961:
	s_or_b32 exec_lo, exec_lo, s11
	v_mov_b32_e32 v3, 0
	s_and_saveexec_b32 s11, s10
.LBB19_1962:
	v_lshrrev_b32_e32 v3, 24, v10
	s_delay_alu instid0(VALU_DEP_1)
	v_and_or_b32 v3, 0x80, v3, v1
.LBB19_1963:
	s_or_b32 exec_lo, exec_lo, s11
.LBB19_1964:
	s_delay_alu instid0(SALU_CYCLE_1)
	s_or_b32 exec_lo, exec_lo, s7
	global_store_b8 v[4:5], v3, off
.LBB19_1965:
	s_mov_b32 s7, -1
.LBB19_1966:
	s_mov_b32 s10, 0
.LBB19_1967:
	s_delay_alu instid0(SALU_CYCLE_1)
	s_and_b32 vcc_lo, exec_lo, s10
	s_cbranch_vccz .LBB19_2007
; %bb.1968:
	s_cmp_gt_i32 s2, 22
	s_mov_b32 s3, -1
	s_cbranch_scc0 .LBB19_2000
; %bb.1969:
	s_cmp_lt_i32 s2, 24
	s_cbranch_scc1 .LBB19_1989
; %bb.1970:
	s_cmp_gt_i32 s2, 24
	s_cbranch_scc0 .LBB19_1978
; %bb.1971:
	s_wait_xcnt 0x0
	v_and_b32_e32 v1, 0x7fffffff, v10
	v_mov_b32_e32 v3, 0x80
	s_mov_b32 s3, exec_lo
	s_delay_alu instid0(VALU_DEP_2)
	v_cmpx_gt_u32_e32 0x47800000, v1
	s_cbranch_execz .LBB19_1977
; %bb.1972:
	v_cmp_lt_u32_e32 vcc_lo, 0x37ffffff, v1
	s_mov_b32 s7, 0
                                        ; implicit-def: $vgpr1
	s_and_saveexec_b32 s10, vcc_lo
	s_delay_alu instid0(SALU_CYCLE_1)
	s_xor_b32 s10, exec_lo, s10
	s_cbranch_execz .LBB19_2258
; %bb.1973:
	v_bfe_u32 v1, v10, 21, 1
	s_mov_b32 s7, exec_lo
	s_delay_alu instid0(VALU_DEP_1) | instskip(NEXT) | instid1(VALU_DEP_1)
	v_add3_u32 v1, v10, v1, 0x88fffff
	v_lshrrev_b32_e32 v1, 21, v1
	s_and_not1_saveexec_b32 s10, s10
	s_cbranch_execnz .LBB19_2259
.LBB19_1974:
	s_or_b32 exec_lo, exec_lo, s10
	v_mov_b32_e32 v3, 0
	s_and_saveexec_b32 s10, s7
.LBB19_1975:
	v_lshrrev_b32_e32 v3, 24, v10
	s_delay_alu instid0(VALU_DEP_1)
	v_and_or_b32 v3, 0x80, v3, v1
.LBB19_1976:
	s_or_b32 exec_lo, exec_lo, s10
.LBB19_1977:
	s_delay_alu instid0(SALU_CYCLE_1)
	s_or_b32 exec_lo, exec_lo, s3
	s_mov_b32 s3, 0
	global_store_b8 v[4:5], v3, off
.LBB19_1978:
	s_and_b32 vcc_lo, exec_lo, s3
	s_cbranch_vccz .LBB19_1988
; %bb.1979:
	s_wait_xcnt 0x0
	v_and_b32_e32 v3, 0x7fffffff, v10
	s_mov_b32 s3, exec_lo
                                        ; implicit-def: $vgpr1
	s_delay_alu instid0(VALU_DEP_1)
	v_cmpx_gt_u32_e32 0x43f00000, v3
	s_xor_b32 s3, exec_lo, s3
	s_cbranch_execz .LBB19_1985
; %bb.1980:
	s_mov_b32 s7, exec_lo
                                        ; implicit-def: $vgpr1
	v_cmpx_lt_u32_e32 0x3c7fffff, v3
	s_xor_b32 s7, exec_lo, s7
; %bb.1981:
	v_bfe_u32 v1, v10, 20, 1
	s_delay_alu instid0(VALU_DEP_1) | instskip(NEXT) | instid1(VALU_DEP_1)
	v_add3_u32 v1, v10, v1, 0x407ffff
	v_and_b32_e32 v3, 0xff00000, v1
	v_lshrrev_b32_e32 v1, 20, v1
	s_delay_alu instid0(VALU_DEP_2) | instskip(NEXT) | instid1(VALU_DEP_2)
	v_cmp_ne_u32_e32 vcc_lo, 0x7f00000, v3
	v_cndmask_b32_e32 v1, 0x7e, v1, vcc_lo
; %bb.1982:
	s_and_not1_saveexec_b32 s7, s7
; %bb.1983:
	v_add_f32_e64 v1, 0x46800000, |v10|
; %bb.1984:
	s_or_b32 exec_lo, exec_lo, s7
                                        ; implicit-def: $vgpr3
.LBB19_1985:
	s_and_not1_saveexec_b32 s3, s3
; %bb.1986:
	v_mov_b32_e32 v1, 0x7f
	v_cmp_lt_u32_e32 vcc_lo, 0x7f800000, v3
	s_delay_alu instid0(VALU_DEP_2)
	v_cndmask_b32_e32 v1, 0x7e, v1, vcc_lo
; %bb.1987:
	s_or_b32 exec_lo, exec_lo, s3
	v_lshrrev_b32_e32 v3, 24, v10
	s_delay_alu instid0(VALU_DEP_1)
	v_and_or_b32 v1, 0x80, v3, v1
	global_store_b8 v[4:5], v1, off
.LBB19_1988:
	s_mov_b32 s3, 0
.LBB19_1989:
	s_delay_alu instid0(SALU_CYCLE_1)
	s_and_not1_b32 vcc_lo, exec_lo, s3
	s_cbranch_vccnz .LBB19_1999
; %bb.1990:
	s_wait_xcnt 0x0
	v_and_b32_e32 v3, 0x7fffffff, v10
	s_mov_b32 s3, exec_lo
                                        ; implicit-def: $vgpr1
	s_delay_alu instid0(VALU_DEP_1)
	v_cmpx_gt_u32_e32 0x47800000, v3
	s_xor_b32 s3, exec_lo, s3
	s_cbranch_execz .LBB19_1996
; %bb.1991:
	s_mov_b32 s7, exec_lo
                                        ; implicit-def: $vgpr1
	v_cmpx_lt_u32_e32 0x387fffff, v3
	s_xor_b32 s7, exec_lo, s7
; %bb.1992:
	v_bfe_u32 v1, v10, 21, 1
	s_delay_alu instid0(VALU_DEP_1) | instskip(NEXT) | instid1(VALU_DEP_1)
	v_add3_u32 v1, v10, v1, 0x80fffff
	v_lshrrev_b32_e32 v1, 21, v1
; %bb.1993:
	s_and_not1_saveexec_b32 s7, s7
; %bb.1994:
	v_add_f32_e64 v1, 0x43000000, |v10|
; %bb.1995:
	s_or_b32 exec_lo, exec_lo, s7
                                        ; implicit-def: $vgpr3
.LBB19_1996:
	s_and_not1_saveexec_b32 s3, s3
; %bb.1997:
	v_mov_b32_e32 v1, 0x7f
	v_cmp_lt_u32_e32 vcc_lo, 0x7f800000, v3
	s_delay_alu instid0(VALU_DEP_2)
	v_cndmask_b32_e32 v1, 0x7c, v1, vcc_lo
; %bb.1998:
	s_or_b32 exec_lo, exec_lo, s3
	v_lshrrev_b32_e32 v3, 24, v10
	s_delay_alu instid0(VALU_DEP_1)
	v_and_or_b32 v1, 0x80, v3, v1
	global_store_b8 v[4:5], v1, off
.LBB19_1999:
	s_mov_b32 s3, 0
	s_mov_b32 s7, -1
.LBB19_2000:
	s_and_not1_b32 vcc_lo, exec_lo, s3
	s_mov_b32 s3, 0
	s_cbranch_vccnz .LBB19_2007
; %bb.2001:
	s_cmp_gt_i32 s2, 14
	s_mov_b32 s3, -1
	s_cbranch_scc0 .LBB19_2005
; %bb.2002:
	s_cmp_eq_u32 s2, 15
	s_mov_b32 s0, -1
	s_cbranch_scc0 .LBB19_2004
; %bb.2003:
	s_wait_xcnt 0x0
	v_bfe_u32 v1, v10, 16, 1
	v_cmp_o_f32_e32 vcc_lo, v10, v10
	s_mov_b32 s0, 0
	s_mov_b32 s7, -1
	s_delay_alu instid0(VALU_DEP_2) | instskip(NEXT) | instid1(VALU_DEP_1)
	v_add3_u32 v1, v10, v1, 0x7fff
	v_lshrrev_b32_e32 v1, 16, v1
	s_delay_alu instid0(VALU_DEP_1)
	v_cndmask_b32_e32 v1, 0x7fc0, v1, vcc_lo
	global_store_b16 v[4:5], v1, off
.LBB19_2004:
	s_mov_b32 s3, 0
.LBB19_2005:
	s_delay_alu instid0(SALU_CYCLE_1)
	s_and_b32 vcc_lo, exec_lo, s3
	s_mov_b32 s3, 0
	s_cbranch_vccz .LBB19_2007
; %bb.2006:
	s_cmp_lg_u32 s2, 11
	s_mov_b32 s3, -1
	s_cselect_b32 s0, -1, 0
.LBB19_2007:
	s_delay_alu instid0(SALU_CYCLE_1)
	s_and_b32 vcc_lo, exec_lo, s0
	s_cbranch_vccnz .LBB19_2257
; %bb.2008:
	s_and_not1_b32 vcc_lo, exec_lo, s3
	s_cbranch_vccnz .LBB19_2010
.LBB19_2009:
	v_cmp_neq_f32_e32 vcc_lo, 0, v10
	s_mov_b32 s7, -1
	s_wait_xcnt 0x0
	v_cndmask_b32_e64 v1, 0, 1, vcc_lo
	global_store_b8 v[4:5], v1, off
.LBB19_2010:
	s_mov_b32 s0, 0
	s_branch .LBB19_2012
.LBB19_2011:
	s_mov_b32 s0, -1
	s_mov_b32 s7, 0
.LBB19_2012:
	s_and_b32 vcc_lo, exec_lo, s0
	s_cbranch_vccz .LBB19_2051
; %bb.2013:
	s_cmp_lt_i32 s2, 5
	s_mov_b32 s0, -1
	s_cbranch_scc1 .LBB19_2034
; %bb.2014:
	s_cmp_lt_i32 s2, 8
	s_cbranch_scc1 .LBB19_2024
; %bb.2015:
	s_cmp_lt_i32 s2, 9
	s_cbranch_scc1 .LBB19_2021
; %bb.2016:
	s_cmp_gt_i32 s2, 9
	s_cbranch_scc0 .LBB19_2018
; %bb.2017:
	s_wait_xcnt 0x0
	v_cvt_f64_f32_e32 v[6:7], v10
	v_mov_b32_e32 v8, 0
	s_mov_b32 s0, 0
	s_delay_alu instid0(VALU_DEP_1)
	v_mov_b32_e32 v9, v8
	global_store_b128 v[4:5], v[6:9], off
.LBB19_2018:
	s_and_not1_b32 vcc_lo, exec_lo, s0
	s_cbranch_vccnz .LBB19_2020
; %bb.2019:
	v_mov_b32_e32 v11, 0
	global_store_b64 v[4:5], v[10:11], off
.LBB19_2020:
	s_mov_b32 s0, 0
.LBB19_2021:
	s_delay_alu instid0(SALU_CYCLE_1)
	s_and_not1_b32 vcc_lo, exec_lo, s0
	s_cbranch_vccnz .LBB19_2023
; %bb.2022:
	s_wait_xcnt 0x0
	v_cvt_f16_f32_e32 v1, v10
	s_delay_alu instid0(VALU_DEP_1)
	v_and_b32_e32 v1, 0xffff, v1
	global_store_b32 v[4:5], v1, off
.LBB19_2023:
	s_mov_b32 s0, 0
.LBB19_2024:
	s_delay_alu instid0(SALU_CYCLE_1)
	s_and_not1_b32 vcc_lo, exec_lo, s0
	s_cbranch_vccnz .LBB19_2033
; %bb.2025:
	s_cmp_lt_i32 s2, 6
	s_mov_b32 s0, -1
	s_cbranch_scc1 .LBB19_2031
; %bb.2026:
	s_cmp_gt_i32 s2, 6
	s_cbranch_scc0 .LBB19_2028
; %bb.2027:
	s_wait_xcnt 0x0
	v_cvt_f64_f32_e32 v[6:7], v10
	s_mov_b32 s0, 0
	global_store_b64 v[4:5], v[6:7], off
.LBB19_2028:
	s_and_not1_b32 vcc_lo, exec_lo, s0
	s_cbranch_vccnz .LBB19_2030
; %bb.2029:
	global_store_b32 v[4:5], v10, off
.LBB19_2030:
	s_mov_b32 s0, 0
.LBB19_2031:
	s_delay_alu instid0(SALU_CYCLE_1)
	s_and_not1_b32 vcc_lo, exec_lo, s0
	s_cbranch_vccnz .LBB19_2033
; %bb.2032:
	s_wait_xcnt 0x0
	v_cvt_f16_f32_e32 v1, v10
	global_store_b16 v[4:5], v1, off
.LBB19_2033:
	s_mov_b32 s0, 0
.LBB19_2034:
	s_delay_alu instid0(SALU_CYCLE_1)
	s_and_not1_b32 vcc_lo, exec_lo, s0
	s_cbranch_vccnz .LBB19_2050
; %bb.2035:
	s_cmp_lt_i32 s2, 2
	s_mov_b32 s0, -1
	s_cbranch_scc1 .LBB19_2045
; %bb.2036:
	s_cmp_lt_i32 s2, 3
	s_cbranch_scc1 .LBB19_2042
; %bb.2037:
	s_cmp_gt_i32 s2, 3
	s_cbranch_scc0 .LBB19_2039
; %bb.2038:
	s_wait_xcnt 0x0
	v_trunc_f32_e32 v1, v10
	s_mov_b32 s0, 0
	s_delay_alu instid0(VALU_DEP_1) | instskip(SKIP_1) | instid1(VALU_DEP_2)
	v_mul_f32_e64 v3, 0x2f800000, |v1|
	v_ashrrev_i32_e32 v6, 31, v1
	v_floor_f32_e32 v3, v3
	s_delay_alu instid0(VALU_DEP_1) | instskip(SKIP_1) | instid1(VALU_DEP_2)
	v_fma_f32 v7, 0xcf800000, v3, |v1|
	v_cvt_u32_f32_e32 v1, v3
	v_cvt_u32_f32_e32 v3, v7
	s_delay_alu instid0(VALU_DEP_2) | instskip(NEXT) | instid1(VALU_DEP_2)
	v_dual_mov_b32 v7, v6 :: v_dual_bitop2_b32 v9, v1, v6 bitop3:0x14
	v_xor_b32_e32 v8, v3, v6
	s_delay_alu instid0(VALU_DEP_1)
	v_sub_nc_u64_e32 v[6:7], v[8:9], v[6:7]
	global_store_b64 v[4:5], v[6:7], off
.LBB19_2039:
	s_and_not1_b32 vcc_lo, exec_lo, s0
	s_cbranch_vccnz .LBB19_2041
; %bb.2040:
	s_wait_xcnt 0x0
	v_cvt_i32_f32_e32 v1, v10
	global_store_b32 v[4:5], v1, off
.LBB19_2041:
	s_mov_b32 s0, 0
.LBB19_2042:
	s_delay_alu instid0(SALU_CYCLE_1)
	s_and_not1_b32 vcc_lo, exec_lo, s0
	s_cbranch_vccnz .LBB19_2044
; %bb.2043:
	s_wait_xcnt 0x0
	v_cvt_i32_f32_e32 v1, v10
	global_store_b16 v[4:5], v1, off
.LBB19_2044:
	s_mov_b32 s0, 0
.LBB19_2045:
	s_delay_alu instid0(SALU_CYCLE_1)
	s_and_not1_b32 vcc_lo, exec_lo, s0
	s_cbranch_vccnz .LBB19_2050
; %bb.2046:
	s_cmp_gt_i32 s2, 0
	s_mov_b32 s0, -1
	s_cbranch_scc0 .LBB19_2048
; %bb.2047:
	s_wait_xcnt 0x0
	v_cvt_i32_f32_e32 v1, v10
	s_mov_b32 s0, 0
	global_store_b8 v[4:5], v1, off
.LBB19_2048:
	s_and_not1_b32 vcc_lo, exec_lo, s0
	s_cbranch_vccnz .LBB19_2050
; %bb.2049:
	s_wait_xcnt 0x0
	v_trunc_f32_e32 v1, v10
	s_delay_alu instid0(VALU_DEP_1) | instskip(NEXT) | instid1(VALU_DEP_1)
	v_mul_f32_e64 v3, 0x2f800000, |v1|
	v_floor_f32_e32 v3, v3
	s_delay_alu instid0(VALU_DEP_1) | instskip(SKIP_1) | instid1(VALU_DEP_2)
	v_fma_f32 v3, 0xcf800000, v3, |v1|
	v_ashrrev_i32_e32 v1, 31, v1
	v_cvt_u32_f32_e32 v3, v3
	s_delay_alu instid0(VALU_DEP_1) | instskip(NEXT) | instid1(VALU_DEP_1)
	v_xor_b32_e32 v3, v3, v1
	v_sub_nc_u32_e32 v1, v3, v1
	global_store_b8 v[4:5], v1, off
.LBB19_2050:
	s_mov_b32 s7, -1
.LBB19_2051:
	s_delay_alu instid0(SALU_CYCLE_1)
	s_and_not1_b32 vcc_lo, exec_lo, s7
	s_cbranch_vccnz .LBB19_2247
; %bb.2052:
	s_wait_xcnt 0x0
	v_mov_b32_e32 v3, 0
	s_cmp_lt_i32 s2, 11
	s_delay_alu instid0(VALU_DEP_1)
	v_add_nc_u64_e32 v[2:3], s[4:5], v[2:3]
	s_cbranch_scc1 .LBB19_2130
; %bb.2053:
	s_mov_b32 s10, -1
	s_mov_b32 s3, 0
	s_cmp_gt_i32 s2, 25
	s_mov_b32 s7, 0
	s_mov_b32 s0, 0
	s_cbranch_scc0 .LBB19_2086
; %bb.2054:
	s_cmp_gt_i32 s2, 28
	s_cbranch_scc0 .LBB19_2069
; %bb.2055:
	s_cmp_gt_i32 s2, 43
	s_cbranch_scc0 .LBB19_2065
; %bb.2056:
	s_cmp_gt_i32 s2, 45
	s_cbranch_scc0 .LBB19_2059
; %bb.2057:
	s_mov_b32 s0, -1
	s_mov_b32 s10, 0
	s_cmp_eq_u32 s2, 46
	s_cbranch_scc0 .LBB19_2059
; %bb.2058:
	v_bfe_u32 v1, v12, 16, 1
	v_cmp_o_f32_e32 vcc_lo, v12, v12
	s_mov_b32 s0, 0
	s_mov_b32 s7, -1
	s_delay_alu instid0(VALU_DEP_2) | instskip(NEXT) | instid1(VALU_DEP_1)
	v_add3_u32 v1, v12, v1, 0x7fff
	v_lshrrev_b32_e32 v1, 16, v1
	s_delay_alu instid0(VALU_DEP_1)
	v_cndmask_b32_e32 v1, 0x7fc0, v1, vcc_lo
	global_store_b32 v[2:3], v1, off
.LBB19_2059:
	s_and_b32 vcc_lo, exec_lo, s10
	s_cbranch_vccz .LBB19_2064
; %bb.2060:
	s_cmp_eq_u32 s2, 44
	s_mov_b32 s0, -1
	s_cbranch_scc0 .LBB19_2064
; %bb.2061:
	v_bfe_u32 v4, v12, 23, 8
	s_wait_xcnt 0x0
	v_mov_b32_e32 v1, 0xff
	s_mov_b32 s7, exec_lo
	s_delay_alu instid0(VALU_DEP_2)
	v_cmpx_ne_u32_e32 0xff, v4
	s_cbranch_execz .LBB19_2063
; %bb.2062:
	v_and_b32_e32 v1, 0x400000, v12
	v_and_or_b32 v4, 0x3fffff, v12, v4
	s_delay_alu instid0(VALU_DEP_2) | instskip(NEXT) | instid1(VALU_DEP_2)
	v_cmp_ne_u32_e32 vcc_lo, 0, v1
	v_cmp_ne_u32_e64 s0, 0, v4
	v_lshrrev_b32_e32 v1, 23, v12
	s_and_b32 s0, vcc_lo, s0
	s_delay_alu instid0(SALU_CYCLE_1) | instskip(NEXT) | instid1(VALU_DEP_1)
	v_cndmask_b32_e64 v4, 0, 1, s0
	v_add_nc_u32_e32 v1, v1, v4
.LBB19_2063:
	s_or_b32 exec_lo, exec_lo, s7
	s_mov_b32 s0, 0
	s_mov_b32 s7, -1
	global_store_b8 v[2:3], v1, off
.LBB19_2064:
	s_mov_b32 s10, 0
.LBB19_2065:
	s_delay_alu instid0(SALU_CYCLE_1)
	s_and_b32 vcc_lo, exec_lo, s10
	s_cbranch_vccz .LBB19_2068
; %bb.2066:
	s_cmp_eq_u32 s2, 29
	s_mov_b32 s0, -1
	s_cbranch_scc0 .LBB19_2068
; %bb.2067:
	s_wait_xcnt 0x0
	v_trunc_f32_e32 v1, v12
	s_mov_b32 s0, 0
	s_mov_b32 s7, -1
	s_delay_alu instid0(VALU_DEP_1) | instskip(NEXT) | instid1(VALU_DEP_1)
	v_mul_f32_e32 v4, 0x2f800000, v1
	v_floor_f32_e32 v4, v4
	s_delay_alu instid0(VALU_DEP_1) | instskip(SKIP_1) | instid1(VALU_DEP_2)
	v_fmamk_f32 v1, v4, 0xcf800000, v1
	v_cvt_u32_f32_e32 v5, v4
	v_cvt_u32_f32_e32 v4, v1
	global_store_b64 v[2:3], v[4:5], off
.LBB19_2068:
	s_mov_b32 s10, 0
.LBB19_2069:
	s_delay_alu instid0(SALU_CYCLE_1)
	s_and_b32 vcc_lo, exec_lo, s10
	s_cbranch_vccz .LBB19_2085
; %bb.2070:
	s_cmp_lt_i32 s2, 27
	s_mov_b32 s7, -1
	s_cbranch_scc1 .LBB19_2076
; %bb.2071:
	s_wait_xcnt 0x0
	v_cvt_u32_f32_e32 v1, v12
	s_cmp_gt_i32 s2, 27
	s_cbranch_scc0 .LBB19_2073
; %bb.2072:
	s_mov_b32 s7, 0
	global_store_b32 v[2:3], v1, off
.LBB19_2073:
	s_and_not1_b32 vcc_lo, exec_lo, s7
	s_cbranch_vccnz .LBB19_2075
; %bb.2074:
	global_store_b16 v[2:3], v1, off
.LBB19_2075:
	s_mov_b32 s7, 0
.LBB19_2076:
	s_delay_alu instid0(SALU_CYCLE_1)
	s_and_not1_b32 vcc_lo, exec_lo, s7
	s_cbranch_vccnz .LBB19_2084
; %bb.2077:
	s_wait_xcnt 0x0
	v_and_b32_e32 v1, 0x7fffffff, v12
	v_mov_b32_e32 v4, 0x80
	s_mov_b32 s7, exec_lo
	s_delay_alu instid0(VALU_DEP_2)
	v_cmpx_gt_u32_e32 0x43800000, v1
	s_cbranch_execz .LBB19_2083
; %bb.2078:
	v_cmp_lt_u32_e32 vcc_lo, 0x3bffffff, v1
	s_mov_b32 s10, 0
                                        ; implicit-def: $vgpr1
	s_and_saveexec_b32 s11, vcc_lo
	s_delay_alu instid0(SALU_CYCLE_1)
	s_xor_b32 s11, exec_lo, s11
	s_cbranch_execz .LBB19_2260
; %bb.2079:
	v_bfe_u32 v1, v12, 20, 1
	s_mov_b32 s10, exec_lo
	s_delay_alu instid0(VALU_DEP_1) | instskip(NEXT) | instid1(VALU_DEP_1)
	v_add3_u32 v1, v12, v1, 0x487ffff
	v_lshrrev_b32_e32 v1, 20, v1
	s_and_not1_saveexec_b32 s11, s11
	s_cbranch_execnz .LBB19_2261
.LBB19_2080:
	s_or_b32 exec_lo, exec_lo, s11
	v_mov_b32_e32 v4, 0
	s_and_saveexec_b32 s11, s10
.LBB19_2081:
	v_lshrrev_b32_e32 v4, 24, v12
	s_delay_alu instid0(VALU_DEP_1)
	v_and_or_b32 v4, 0x80, v4, v1
.LBB19_2082:
	s_or_b32 exec_lo, exec_lo, s11
.LBB19_2083:
	s_delay_alu instid0(SALU_CYCLE_1)
	s_or_b32 exec_lo, exec_lo, s7
	global_store_b8 v[2:3], v4, off
.LBB19_2084:
	s_mov_b32 s7, -1
.LBB19_2085:
	s_mov_b32 s10, 0
.LBB19_2086:
	s_delay_alu instid0(SALU_CYCLE_1)
	s_and_b32 vcc_lo, exec_lo, s10
	s_cbranch_vccz .LBB19_2126
; %bb.2087:
	s_cmp_gt_i32 s2, 22
	s_mov_b32 s3, -1
	s_cbranch_scc0 .LBB19_2119
; %bb.2088:
	s_cmp_lt_i32 s2, 24
	s_cbranch_scc1 .LBB19_2108
; %bb.2089:
	s_cmp_gt_i32 s2, 24
	s_cbranch_scc0 .LBB19_2097
; %bb.2090:
	s_wait_xcnt 0x0
	v_and_b32_e32 v1, 0x7fffffff, v12
	v_mov_b32_e32 v4, 0x80
	s_mov_b32 s3, exec_lo
	s_delay_alu instid0(VALU_DEP_2)
	v_cmpx_gt_u32_e32 0x47800000, v1
	s_cbranch_execz .LBB19_2096
; %bb.2091:
	v_cmp_lt_u32_e32 vcc_lo, 0x37ffffff, v1
	s_mov_b32 s7, 0
                                        ; implicit-def: $vgpr1
	s_and_saveexec_b32 s10, vcc_lo
	s_delay_alu instid0(SALU_CYCLE_1)
	s_xor_b32 s10, exec_lo, s10
	s_cbranch_execz .LBB19_2263
; %bb.2092:
	v_bfe_u32 v1, v12, 21, 1
	s_mov_b32 s7, exec_lo
	s_delay_alu instid0(VALU_DEP_1) | instskip(NEXT) | instid1(VALU_DEP_1)
	v_add3_u32 v1, v12, v1, 0x88fffff
	v_lshrrev_b32_e32 v1, 21, v1
	s_and_not1_saveexec_b32 s10, s10
	s_cbranch_execnz .LBB19_2264
.LBB19_2093:
	s_or_b32 exec_lo, exec_lo, s10
	v_mov_b32_e32 v4, 0
	s_and_saveexec_b32 s10, s7
.LBB19_2094:
	v_lshrrev_b32_e32 v4, 24, v12
	s_delay_alu instid0(VALU_DEP_1)
	v_and_or_b32 v4, 0x80, v4, v1
.LBB19_2095:
	s_or_b32 exec_lo, exec_lo, s10
.LBB19_2096:
	s_delay_alu instid0(SALU_CYCLE_1)
	s_or_b32 exec_lo, exec_lo, s3
	s_mov_b32 s3, 0
	global_store_b8 v[2:3], v4, off
.LBB19_2097:
	s_and_b32 vcc_lo, exec_lo, s3
	s_cbranch_vccz .LBB19_2107
; %bb.2098:
	s_wait_xcnt 0x0
	v_and_b32_e32 v4, 0x7fffffff, v12
	s_mov_b32 s3, exec_lo
                                        ; implicit-def: $vgpr1
	s_delay_alu instid0(VALU_DEP_1)
	v_cmpx_gt_u32_e32 0x43f00000, v4
	s_xor_b32 s3, exec_lo, s3
	s_cbranch_execz .LBB19_2104
; %bb.2099:
	s_mov_b32 s7, exec_lo
                                        ; implicit-def: $vgpr1
	v_cmpx_lt_u32_e32 0x3c7fffff, v4
	s_xor_b32 s7, exec_lo, s7
; %bb.2100:
	v_bfe_u32 v1, v12, 20, 1
	s_delay_alu instid0(VALU_DEP_1) | instskip(NEXT) | instid1(VALU_DEP_1)
	v_add3_u32 v1, v12, v1, 0x407ffff
	v_and_b32_e32 v4, 0xff00000, v1
	v_lshrrev_b32_e32 v1, 20, v1
	s_delay_alu instid0(VALU_DEP_2) | instskip(NEXT) | instid1(VALU_DEP_2)
	v_cmp_ne_u32_e32 vcc_lo, 0x7f00000, v4
	v_cndmask_b32_e32 v1, 0x7e, v1, vcc_lo
; %bb.2101:
	s_and_not1_saveexec_b32 s7, s7
; %bb.2102:
	v_add_f32_e64 v1, 0x46800000, |v12|
; %bb.2103:
	s_or_b32 exec_lo, exec_lo, s7
                                        ; implicit-def: $vgpr4
.LBB19_2104:
	s_and_not1_saveexec_b32 s3, s3
; %bb.2105:
	v_mov_b32_e32 v1, 0x7f
	v_cmp_lt_u32_e32 vcc_lo, 0x7f800000, v4
	s_delay_alu instid0(VALU_DEP_2)
	v_cndmask_b32_e32 v1, 0x7e, v1, vcc_lo
; %bb.2106:
	s_or_b32 exec_lo, exec_lo, s3
	v_lshrrev_b32_e32 v4, 24, v12
	s_delay_alu instid0(VALU_DEP_1)
	v_and_or_b32 v1, 0x80, v4, v1
	global_store_b8 v[2:3], v1, off
.LBB19_2107:
	s_mov_b32 s3, 0
.LBB19_2108:
	s_delay_alu instid0(SALU_CYCLE_1)
	s_and_not1_b32 vcc_lo, exec_lo, s3
	s_cbranch_vccnz .LBB19_2118
; %bb.2109:
	s_wait_xcnt 0x0
	v_and_b32_e32 v4, 0x7fffffff, v12
	s_mov_b32 s3, exec_lo
                                        ; implicit-def: $vgpr1
	s_delay_alu instid0(VALU_DEP_1)
	v_cmpx_gt_u32_e32 0x47800000, v4
	s_xor_b32 s3, exec_lo, s3
	s_cbranch_execz .LBB19_2115
; %bb.2110:
	s_mov_b32 s7, exec_lo
                                        ; implicit-def: $vgpr1
	v_cmpx_lt_u32_e32 0x387fffff, v4
	s_xor_b32 s7, exec_lo, s7
; %bb.2111:
	v_bfe_u32 v1, v12, 21, 1
	s_delay_alu instid0(VALU_DEP_1) | instskip(NEXT) | instid1(VALU_DEP_1)
	v_add3_u32 v1, v12, v1, 0x80fffff
	v_lshrrev_b32_e32 v1, 21, v1
; %bb.2112:
	s_and_not1_saveexec_b32 s7, s7
; %bb.2113:
	v_add_f32_e64 v1, 0x43000000, |v12|
; %bb.2114:
	s_or_b32 exec_lo, exec_lo, s7
                                        ; implicit-def: $vgpr4
.LBB19_2115:
	s_and_not1_saveexec_b32 s3, s3
; %bb.2116:
	v_mov_b32_e32 v1, 0x7f
	v_cmp_lt_u32_e32 vcc_lo, 0x7f800000, v4
	s_delay_alu instid0(VALU_DEP_2)
	v_cndmask_b32_e32 v1, 0x7c, v1, vcc_lo
; %bb.2117:
	s_or_b32 exec_lo, exec_lo, s3
	v_lshrrev_b32_e32 v4, 24, v12
	s_delay_alu instid0(VALU_DEP_1)
	v_and_or_b32 v1, 0x80, v4, v1
	global_store_b8 v[2:3], v1, off
.LBB19_2118:
	s_mov_b32 s3, 0
	s_mov_b32 s7, -1
.LBB19_2119:
	s_and_not1_b32 vcc_lo, exec_lo, s3
	s_mov_b32 s3, 0
	s_cbranch_vccnz .LBB19_2126
; %bb.2120:
	s_cmp_gt_i32 s2, 14
	s_mov_b32 s3, -1
	s_cbranch_scc0 .LBB19_2124
; %bb.2121:
	s_cmp_eq_u32 s2, 15
	s_mov_b32 s0, -1
	s_cbranch_scc0 .LBB19_2123
; %bb.2122:
	s_wait_xcnt 0x0
	v_bfe_u32 v1, v12, 16, 1
	v_cmp_o_f32_e32 vcc_lo, v12, v12
	s_mov_b32 s0, 0
	s_mov_b32 s7, -1
	s_delay_alu instid0(VALU_DEP_2) | instskip(NEXT) | instid1(VALU_DEP_1)
	v_add3_u32 v1, v12, v1, 0x7fff
	v_lshrrev_b32_e32 v1, 16, v1
	s_delay_alu instid0(VALU_DEP_1)
	v_cndmask_b32_e32 v1, 0x7fc0, v1, vcc_lo
	global_store_b16 v[2:3], v1, off
.LBB19_2123:
	s_mov_b32 s3, 0
.LBB19_2124:
	s_delay_alu instid0(SALU_CYCLE_1)
	s_and_b32 vcc_lo, exec_lo, s3
	s_mov_b32 s3, 0
	s_cbranch_vccz .LBB19_2126
; %bb.2125:
	s_cmp_lg_u32 s2, 11
	s_mov_b32 s3, -1
	s_cselect_b32 s0, -1, 0
.LBB19_2126:
	s_delay_alu instid0(SALU_CYCLE_1)
	s_and_b32 vcc_lo, exec_lo, s0
	s_cbranch_vccnz .LBB19_2262
; %bb.2127:
	s_and_not1_b32 vcc_lo, exec_lo, s3
	s_cbranch_vccnz .LBB19_2129
.LBB19_2128:
	v_cmp_neq_f32_e32 vcc_lo, 0, v12
	s_mov_b32 s7, -1
	s_wait_xcnt 0x0
	v_cndmask_b32_e64 v1, 0, 1, vcc_lo
	global_store_b8 v[2:3], v1, off
.LBB19_2129:
	s_mov_b32 s0, 0
	s_branch .LBB19_2131
.LBB19_2130:
	s_mov_b32 s0, -1
	s_mov_b32 s7, 0
.LBB19_2131:
	s_and_b32 vcc_lo, exec_lo, s0
	s_cbranch_vccz .LBB19_2170
; %bb.2132:
	s_cmp_lt_i32 s2, 5
	s_mov_b32 s0, -1
	s_cbranch_scc1 .LBB19_2153
; %bb.2133:
	s_cmp_lt_i32 s2, 8
	s_cbranch_scc1 .LBB19_2143
; %bb.2134:
	s_cmp_lt_i32 s2, 9
	s_cbranch_scc1 .LBB19_2140
; %bb.2135:
	s_cmp_gt_i32 s2, 9
	s_cbranch_scc0 .LBB19_2137
; %bb.2136:
	s_wait_xcnt 0x0
	v_cvt_f64_f32_e32 v[4:5], v12
	v_mov_b32_e32 v6, 0
	s_mov_b32 s0, 0
	s_delay_alu instid0(VALU_DEP_1)
	v_mov_b32_e32 v7, v6
	global_store_b128 v[2:3], v[4:7], off
.LBB19_2137:
	s_and_not1_b32 vcc_lo, exec_lo, s0
	s_cbranch_vccnz .LBB19_2139
; %bb.2138:
	v_mov_b32_e32 v13, 0
	global_store_b64 v[2:3], v[12:13], off
.LBB19_2139:
	s_mov_b32 s0, 0
.LBB19_2140:
	s_delay_alu instid0(SALU_CYCLE_1)
	s_and_not1_b32 vcc_lo, exec_lo, s0
	s_cbranch_vccnz .LBB19_2142
; %bb.2141:
	s_wait_xcnt 0x0
	v_cvt_f16_f32_e32 v1, v12
	s_delay_alu instid0(VALU_DEP_1)
	v_and_b32_e32 v1, 0xffff, v1
	global_store_b32 v[2:3], v1, off
.LBB19_2142:
	s_mov_b32 s0, 0
.LBB19_2143:
	s_delay_alu instid0(SALU_CYCLE_1)
	s_and_not1_b32 vcc_lo, exec_lo, s0
	s_cbranch_vccnz .LBB19_2152
; %bb.2144:
	s_cmp_lt_i32 s2, 6
	s_mov_b32 s0, -1
	s_cbranch_scc1 .LBB19_2150
; %bb.2145:
	s_cmp_gt_i32 s2, 6
	s_cbranch_scc0 .LBB19_2147
; %bb.2146:
	s_wait_xcnt 0x0
	v_cvt_f64_f32_e32 v[4:5], v12
	s_mov_b32 s0, 0
	global_store_b64 v[2:3], v[4:5], off
.LBB19_2147:
	s_and_not1_b32 vcc_lo, exec_lo, s0
	s_cbranch_vccnz .LBB19_2149
; %bb.2148:
	global_store_b32 v[2:3], v12, off
.LBB19_2149:
	s_mov_b32 s0, 0
.LBB19_2150:
	s_delay_alu instid0(SALU_CYCLE_1)
	s_and_not1_b32 vcc_lo, exec_lo, s0
	s_cbranch_vccnz .LBB19_2152
; %bb.2151:
	s_wait_xcnt 0x0
	v_cvt_f16_f32_e32 v1, v12
	global_store_b16 v[2:3], v1, off
.LBB19_2152:
	s_mov_b32 s0, 0
.LBB19_2153:
	s_delay_alu instid0(SALU_CYCLE_1)
	s_and_not1_b32 vcc_lo, exec_lo, s0
	s_cbranch_vccnz .LBB19_2169
; %bb.2154:
	s_cmp_lt_i32 s2, 2
	s_mov_b32 s0, -1
	s_cbranch_scc1 .LBB19_2164
; %bb.2155:
	s_cmp_lt_i32 s2, 3
	s_cbranch_scc1 .LBB19_2161
; %bb.2156:
	s_cmp_gt_i32 s2, 3
	s_cbranch_scc0 .LBB19_2158
; %bb.2157:
	s_wait_xcnt 0x0
	v_trunc_f32_e32 v1, v12
	s_mov_b32 s0, 0
	s_delay_alu instid0(VALU_DEP_1) | instskip(NEXT) | instid1(VALU_DEP_1)
	v_mul_f32_e64 v4, 0x2f800000, |v1|
	v_floor_f32_e32 v5, v4
	v_ashrrev_i32_e32 v4, 31, v1
	s_delay_alu instid0(VALU_DEP_2) | instskip(SKIP_1) | instid1(VALU_DEP_3)
	v_fma_f32 v6, 0xcf800000, v5, |v1|
	v_cvt_u32_f32_e32 v1, v5
	v_mov_b32_e32 v5, v4
	s_delay_alu instid0(VALU_DEP_3) | instskip(NEXT) | instid1(VALU_DEP_3)
	v_cvt_u32_f32_e32 v6, v6
	v_xor_b32_e32 v7, v1, v4
	s_delay_alu instid0(VALU_DEP_2) | instskip(NEXT) | instid1(VALU_DEP_1)
	v_xor_b32_e32 v6, v6, v4
	v_sub_nc_u64_e32 v[4:5], v[6:7], v[4:5]
	global_store_b64 v[2:3], v[4:5], off
.LBB19_2158:
	s_and_not1_b32 vcc_lo, exec_lo, s0
	s_cbranch_vccnz .LBB19_2160
; %bb.2159:
	s_wait_xcnt 0x0
	v_cvt_i32_f32_e32 v1, v12
	global_store_b32 v[2:3], v1, off
.LBB19_2160:
	s_mov_b32 s0, 0
.LBB19_2161:
	s_delay_alu instid0(SALU_CYCLE_1)
	s_and_not1_b32 vcc_lo, exec_lo, s0
	s_cbranch_vccnz .LBB19_2163
; %bb.2162:
	s_wait_xcnt 0x0
	v_cvt_i32_f32_e32 v1, v12
	global_store_b16 v[2:3], v1, off
.LBB19_2163:
	s_mov_b32 s0, 0
.LBB19_2164:
	s_delay_alu instid0(SALU_CYCLE_1)
	s_and_not1_b32 vcc_lo, exec_lo, s0
	s_cbranch_vccnz .LBB19_2169
; %bb.2165:
	s_cmp_gt_i32 s2, 0
	s_mov_b32 s0, -1
	s_cbranch_scc0 .LBB19_2167
; %bb.2166:
	s_wait_xcnt 0x0
	v_cvt_i32_f32_e32 v1, v12
	s_mov_b32 s0, 0
	global_store_b8 v[2:3], v1, off
.LBB19_2167:
	s_and_not1_b32 vcc_lo, exec_lo, s0
	s_cbranch_vccnz .LBB19_2169
; %bb.2168:
	s_wait_xcnt 0x0
	v_trunc_f32_e32 v1, v12
	s_delay_alu instid0(VALU_DEP_1) | instskip(NEXT) | instid1(VALU_DEP_1)
	v_mul_f32_e64 v4, 0x2f800000, |v1|
	v_floor_f32_e32 v4, v4
	s_delay_alu instid0(VALU_DEP_1) | instskip(SKIP_1) | instid1(VALU_DEP_2)
	v_fma_f32 v4, 0xcf800000, v4, |v1|
	v_ashrrev_i32_e32 v1, 31, v1
	v_cvt_u32_f32_e32 v4, v4
	s_delay_alu instid0(VALU_DEP_1) | instskip(NEXT) | instid1(VALU_DEP_1)
	v_xor_b32_e32 v4, v4, v1
	v_sub_nc_u32_e32 v1, v4, v1
	global_store_b8 v[2:3], v1, off
.LBB19_2169:
	s_mov_b32 s7, -1
.LBB19_2170:
	s_delay_alu instid0(SALU_CYCLE_1)
	s_and_not1_b32 vcc_lo, exec_lo, s7
	s_cbranch_vccnz .LBB19_2247
; %bb.2171:
	s_wait_xcnt 0x0
	v_mov_b32_e32 v1, 0
	s_cmp_lt_i32 s2, 11
	s_delay_alu instid0(VALU_DEP_1)
	v_add_nc_u64_e32 v[2:3], s[4:5], v[0:1]
	s_cbranch_scc1 .LBB19_2248
; %bb.2172:
	s_mov_b32 s4, -1
	s_mov_b32 s3, 0
	s_cmp_gt_i32 s2, 25
	s_mov_b32 s0, 0
	s_cbranch_scc0 .LBB19_2205
; %bb.2173:
	s_cmp_gt_i32 s2, 28
	s_cbranch_scc0 .LBB19_2189
; %bb.2174:
	s_cmp_gt_i32 s2, 43
	s_cbranch_scc0 .LBB19_2185
; %bb.2175:
	s_cmp_gt_i32 s2, 45
	s_cbranch_scc0 .LBB19_2179
; %bb.2176:
	s_cmp_eq_u32 s2, 46
	s_mov_b32 s0, -1
	s_cbranch_scc0 .LBB19_2178
; %bb.2177:
	v_bfe_u32 v0, v14, 16, 1
	v_cmp_o_f32_e32 vcc_lo, v14, v14
	s_mov_b32 s0, 0
	s_delay_alu instid0(VALU_DEP_2) | instskip(NEXT) | instid1(VALU_DEP_1)
	v_add3_u32 v0, v14, v0, 0x7fff
	v_lshrrev_b32_e32 v0, 16, v0
	s_delay_alu instid0(VALU_DEP_1)
	v_cndmask_b32_e32 v0, 0x7fc0, v0, vcc_lo
	global_store_b32 v[2:3], v0, off
.LBB19_2178:
	s_mov_b32 s4, 0
.LBB19_2179:
	s_delay_alu instid0(SALU_CYCLE_1)
	s_and_b32 vcc_lo, exec_lo, s4
	s_cbranch_vccz .LBB19_2184
; %bb.2180:
	s_cmp_eq_u32 s2, 44
	s_mov_b32 s0, -1
	s_cbranch_scc0 .LBB19_2184
; %bb.2181:
	v_bfe_u32 v1, v14, 23, 8
	s_wait_xcnt 0x0
	v_mov_b32_e32 v0, 0xff
	s_mov_b32 s4, exec_lo
	s_delay_alu instid0(VALU_DEP_2)
	v_cmpx_ne_u32_e32 0xff, v1
	s_cbranch_execz .LBB19_2183
; %bb.2182:
	v_and_b32_e32 v0, 0x400000, v14
	v_and_or_b32 v1, 0x3fffff, v14, v1
	s_delay_alu instid0(VALU_DEP_2) | instskip(NEXT) | instid1(VALU_DEP_2)
	v_cmp_ne_u32_e32 vcc_lo, 0, v0
	v_cmp_ne_u32_e64 s0, 0, v1
	v_lshrrev_b32_e32 v0, 23, v14
	s_and_b32 s0, vcc_lo, s0
	s_delay_alu instid0(SALU_CYCLE_1) | instskip(NEXT) | instid1(VALU_DEP_1)
	v_cndmask_b32_e64 v1, 0, 1, s0
	v_add_nc_u32_e32 v0, v0, v1
.LBB19_2183:
	s_or_b32 exec_lo, exec_lo, s4
	s_mov_b32 s0, 0
	global_store_b8 v[2:3], v0, off
.LBB19_2184:
	s_mov_b32 s4, 0
.LBB19_2185:
	s_delay_alu instid0(SALU_CYCLE_1)
	s_and_b32 vcc_lo, exec_lo, s4
	s_cbranch_vccz .LBB19_2188
; %bb.2186:
	s_cmp_eq_u32 s2, 29
	s_mov_b32 s0, -1
	s_cbranch_scc0 .LBB19_2188
; %bb.2187:
	s_wait_xcnt 0x0
	v_trunc_f32_e32 v0, v14
	s_mov_b32 s0, 0
	s_delay_alu instid0(VALU_DEP_1) | instskip(NEXT) | instid1(VALU_DEP_1)
	v_mul_f32_e32 v1, 0x2f800000, v0
	v_floor_f32_e32 v1, v1
	s_delay_alu instid0(VALU_DEP_1) | instskip(SKIP_1) | instid1(VALU_DEP_2)
	v_fmamk_f32 v0, v1, 0xcf800000, v0
	v_cvt_u32_f32_e32 v1, v1
	v_cvt_u32_f32_e32 v0, v0
	global_store_b64 v[2:3], v[0:1], off
.LBB19_2188:
	s_mov_b32 s4, 0
.LBB19_2189:
	s_delay_alu instid0(SALU_CYCLE_1)
	s_and_b32 vcc_lo, exec_lo, s4
	s_cbranch_vccz .LBB19_2204
; %bb.2190:
	s_cmp_lt_i32 s2, 27
	s_mov_b32 s4, -1
	s_cbranch_scc1 .LBB19_2196
; %bb.2191:
	s_cmp_gt_i32 s2, 27
	s_cbranch_scc0 .LBB19_2193
; %bb.2192:
	s_wait_xcnt 0x0
	v_cvt_u32_f32_e32 v0, v14
	s_mov_b32 s4, 0
	global_store_b32 v[2:3], v0, off
.LBB19_2193:
	s_and_not1_b32 vcc_lo, exec_lo, s4
	s_cbranch_vccnz .LBB19_2195
; %bb.2194:
	s_wait_xcnt 0x0
	v_cvt_u32_f32_e32 v0, v14
	global_store_b16 v[2:3], v0, off
.LBB19_2195:
	s_mov_b32 s4, 0
.LBB19_2196:
	s_delay_alu instid0(SALU_CYCLE_1)
	s_and_not1_b32 vcc_lo, exec_lo, s4
	s_cbranch_vccnz .LBB19_2204
; %bb.2197:
	s_wait_xcnt 0x0
	v_and_b32_e32 v0, 0x7fffffff, v14
	v_mov_b32_e32 v1, 0x80
	s_mov_b32 s4, exec_lo
	s_delay_alu instid0(VALU_DEP_2)
	v_cmpx_gt_u32_e32 0x43800000, v0
	s_cbranch_execz .LBB19_2203
; %bb.2198:
	v_cmp_lt_u32_e32 vcc_lo, 0x3bffffff, v0
	s_mov_b32 s5, 0
                                        ; implicit-def: $vgpr0
	s_and_saveexec_b32 s7, vcc_lo
	s_delay_alu instid0(SALU_CYCLE_1)
	s_xor_b32 s7, exec_lo, s7
	s_cbranch_execz .LBB19_2265
; %bb.2199:
	v_bfe_u32 v0, v14, 20, 1
	s_mov_b32 s5, exec_lo
	s_delay_alu instid0(VALU_DEP_1) | instskip(NEXT) | instid1(VALU_DEP_1)
	v_add3_u32 v0, v14, v0, 0x487ffff
	v_lshrrev_b32_e32 v0, 20, v0
	s_and_not1_saveexec_b32 s7, s7
	s_cbranch_execnz .LBB19_2266
.LBB19_2200:
	s_or_b32 exec_lo, exec_lo, s7
	v_mov_b32_e32 v1, 0
	s_and_saveexec_b32 s7, s5
.LBB19_2201:
	v_lshrrev_b32_e32 v1, 24, v14
	s_delay_alu instid0(VALU_DEP_1)
	v_and_or_b32 v1, 0x80, v1, v0
.LBB19_2202:
	s_or_b32 exec_lo, exec_lo, s7
.LBB19_2203:
	s_delay_alu instid0(SALU_CYCLE_1)
	s_or_b32 exec_lo, exec_lo, s4
	global_store_b8 v[2:3], v1, off
.LBB19_2204:
	s_mov_b32 s4, 0
.LBB19_2205:
	s_delay_alu instid0(SALU_CYCLE_1)
	s_and_b32 vcc_lo, exec_lo, s4
	s_cbranch_vccz .LBB19_2245
; %bb.2206:
	s_cmp_gt_i32 s2, 22
	s_mov_b32 s3, -1
	s_cbranch_scc0 .LBB19_2238
; %bb.2207:
	s_cmp_lt_i32 s2, 24
	s_cbranch_scc1 .LBB19_2227
; %bb.2208:
	s_cmp_gt_i32 s2, 24
	s_cbranch_scc0 .LBB19_2216
; %bb.2209:
	s_wait_xcnt 0x0
	v_and_b32_e32 v0, 0x7fffffff, v14
	v_mov_b32_e32 v1, 0x80
	s_mov_b32 s3, exec_lo
	s_delay_alu instid0(VALU_DEP_2)
	v_cmpx_gt_u32_e32 0x47800000, v0
	s_cbranch_execz .LBB19_2215
; %bb.2210:
	v_cmp_lt_u32_e32 vcc_lo, 0x37ffffff, v0
	s_mov_b32 s4, 0
                                        ; implicit-def: $vgpr0
	s_and_saveexec_b32 s5, vcc_lo
	s_delay_alu instid0(SALU_CYCLE_1)
	s_xor_b32 s5, exec_lo, s5
	s_cbranch_execz .LBB19_2268
; %bb.2211:
	v_bfe_u32 v0, v14, 21, 1
	s_mov_b32 s4, exec_lo
	s_delay_alu instid0(VALU_DEP_1) | instskip(NEXT) | instid1(VALU_DEP_1)
	v_add3_u32 v0, v14, v0, 0x88fffff
	v_lshrrev_b32_e32 v0, 21, v0
	s_and_not1_saveexec_b32 s5, s5
	s_cbranch_execnz .LBB19_2269
.LBB19_2212:
	s_or_b32 exec_lo, exec_lo, s5
	v_mov_b32_e32 v1, 0
	s_and_saveexec_b32 s5, s4
.LBB19_2213:
	v_lshrrev_b32_e32 v1, 24, v14
	s_delay_alu instid0(VALU_DEP_1)
	v_and_or_b32 v1, 0x80, v1, v0
.LBB19_2214:
	s_or_b32 exec_lo, exec_lo, s5
.LBB19_2215:
	s_delay_alu instid0(SALU_CYCLE_1)
	s_or_b32 exec_lo, exec_lo, s3
	s_mov_b32 s3, 0
	global_store_b8 v[2:3], v1, off
.LBB19_2216:
	s_and_b32 vcc_lo, exec_lo, s3
	s_cbranch_vccz .LBB19_2226
; %bb.2217:
	s_wait_xcnt 0x0
	v_and_b32_e32 v1, 0x7fffffff, v14
	s_mov_b32 s3, exec_lo
                                        ; implicit-def: $vgpr0
	s_delay_alu instid0(VALU_DEP_1)
	v_cmpx_gt_u32_e32 0x43f00000, v1
	s_xor_b32 s3, exec_lo, s3
	s_cbranch_execz .LBB19_2223
; %bb.2218:
	s_mov_b32 s4, exec_lo
                                        ; implicit-def: $vgpr0
	v_cmpx_lt_u32_e32 0x3c7fffff, v1
	s_xor_b32 s4, exec_lo, s4
; %bb.2219:
	v_bfe_u32 v0, v14, 20, 1
	s_delay_alu instid0(VALU_DEP_1) | instskip(NEXT) | instid1(VALU_DEP_1)
	v_add3_u32 v0, v14, v0, 0x407ffff
	v_and_b32_e32 v1, 0xff00000, v0
	v_lshrrev_b32_e32 v0, 20, v0
	s_delay_alu instid0(VALU_DEP_2) | instskip(NEXT) | instid1(VALU_DEP_2)
	v_cmp_ne_u32_e32 vcc_lo, 0x7f00000, v1
	v_cndmask_b32_e32 v0, 0x7e, v0, vcc_lo
; %bb.2220:
	s_and_not1_saveexec_b32 s4, s4
; %bb.2221:
	v_add_f32_e64 v0, 0x46800000, |v14|
; %bb.2222:
	s_or_b32 exec_lo, exec_lo, s4
                                        ; implicit-def: $vgpr1
.LBB19_2223:
	s_and_not1_saveexec_b32 s3, s3
; %bb.2224:
	v_mov_b32_e32 v0, 0x7f
	v_cmp_lt_u32_e32 vcc_lo, 0x7f800000, v1
	s_delay_alu instid0(VALU_DEP_2)
	v_cndmask_b32_e32 v0, 0x7e, v0, vcc_lo
; %bb.2225:
	s_or_b32 exec_lo, exec_lo, s3
	v_lshrrev_b32_e32 v1, 24, v14
	s_delay_alu instid0(VALU_DEP_1)
	v_and_or_b32 v0, 0x80, v1, v0
	global_store_b8 v[2:3], v0, off
.LBB19_2226:
	s_mov_b32 s3, 0
.LBB19_2227:
	s_delay_alu instid0(SALU_CYCLE_1)
	s_and_not1_b32 vcc_lo, exec_lo, s3
	s_cbranch_vccnz .LBB19_2237
; %bb.2228:
	s_wait_xcnt 0x0
	v_and_b32_e32 v1, 0x7fffffff, v14
	s_mov_b32 s3, exec_lo
                                        ; implicit-def: $vgpr0
	s_delay_alu instid0(VALU_DEP_1)
	v_cmpx_gt_u32_e32 0x47800000, v1
	s_xor_b32 s3, exec_lo, s3
	s_cbranch_execz .LBB19_2234
; %bb.2229:
	s_mov_b32 s4, exec_lo
                                        ; implicit-def: $vgpr0
	v_cmpx_lt_u32_e32 0x387fffff, v1
	s_xor_b32 s4, exec_lo, s4
; %bb.2230:
	v_bfe_u32 v0, v14, 21, 1
	s_delay_alu instid0(VALU_DEP_1) | instskip(NEXT) | instid1(VALU_DEP_1)
	v_add3_u32 v0, v14, v0, 0x80fffff
	v_lshrrev_b32_e32 v0, 21, v0
; %bb.2231:
	s_and_not1_saveexec_b32 s4, s4
; %bb.2232:
	v_add_f32_e64 v0, 0x43000000, |v14|
; %bb.2233:
	s_or_b32 exec_lo, exec_lo, s4
                                        ; implicit-def: $vgpr1
.LBB19_2234:
	s_and_not1_saveexec_b32 s3, s3
; %bb.2235:
	v_mov_b32_e32 v0, 0x7f
	v_cmp_lt_u32_e32 vcc_lo, 0x7f800000, v1
	s_delay_alu instid0(VALU_DEP_2)
	v_cndmask_b32_e32 v0, 0x7c, v0, vcc_lo
; %bb.2236:
	s_or_b32 exec_lo, exec_lo, s3
	v_lshrrev_b32_e32 v1, 24, v14
	s_delay_alu instid0(VALU_DEP_1)
	v_and_or_b32 v0, 0x80, v1, v0
	global_store_b8 v[2:3], v0, off
.LBB19_2237:
	s_mov_b32 s3, 0
.LBB19_2238:
	s_delay_alu instid0(SALU_CYCLE_1)
	s_and_not1_b32 vcc_lo, exec_lo, s3
	s_mov_b32 s3, 0
	s_cbranch_vccnz .LBB19_2245
; %bb.2239:
	s_cmp_gt_i32 s2, 14
	s_mov_b32 s3, -1
	s_cbranch_scc0 .LBB19_2243
; %bb.2240:
	s_cmp_eq_u32 s2, 15
	s_mov_b32 s0, -1
	s_cbranch_scc0 .LBB19_2242
; %bb.2241:
	s_wait_xcnt 0x0
	v_bfe_u32 v0, v14, 16, 1
	v_cmp_o_f32_e32 vcc_lo, v14, v14
	s_mov_b32 s0, 0
	s_delay_alu instid0(VALU_DEP_2) | instskip(NEXT) | instid1(VALU_DEP_1)
	v_add3_u32 v0, v14, v0, 0x7fff
	v_lshrrev_b32_e32 v0, 16, v0
	s_delay_alu instid0(VALU_DEP_1)
	v_cndmask_b32_e32 v0, 0x7fc0, v0, vcc_lo
	global_store_b16 v[2:3], v0, off
.LBB19_2242:
	s_mov_b32 s3, 0
.LBB19_2243:
	s_delay_alu instid0(SALU_CYCLE_1)
	s_and_b32 vcc_lo, exec_lo, s3
	s_mov_b32 s3, 0
	s_cbranch_vccz .LBB19_2245
; %bb.2244:
	s_cmp_lg_u32 s2, 11
	s_mov_b32 s3, -1
	s_cselect_b32 s0, -1, 0
.LBB19_2245:
	s_delay_alu instid0(SALU_CYCLE_1)
	s_and_b32 vcc_lo, exec_lo, s0
	s_cbranch_vccnz .LBB19_2267
.LBB19_2246:
	s_mov_b32 s0, 0
	s_branch .LBB19_1848
.LBB19_2247:
	s_mov_b32 s0, 0
	s_mov_b32 s3, 0
                                        ; implicit-def: $vgpr2_vgpr3
                                        ; implicit-def: $sgpr6
	s_branch .LBB19_1848
.LBB19_2248:
	s_mov_b32 s3, 0
	s_mov_b32 s0, -1
	s_branch .LBB19_1848
.LBB19_2249:
	s_or_b32 s1, s1, exec_lo
	s_trap 2
	s_cbranch_execz .LBB19_1705
	s_branch .LBB19_1706
.LBB19_2250:
	s_and_not1_saveexec_b32 s11, s11
	s_cbranch_execz .LBB19_1797
.LBB19_2251:
	v_add_f32_e64 v1, 0x46000000, |v8|
	s_and_not1_b32 s10, s10, exec_lo
	s_delay_alu instid0(VALU_DEP_1) | instskip(NEXT) | instid1(VALU_DEP_1)
	v_and_b32_e32 v1, 0xff, v1
	v_cmp_ne_u32_e32 vcc_lo, 0, v1
	s_and_b32 s12, vcc_lo, exec_lo
	s_delay_alu instid0(SALU_CYCLE_1)
	s_or_b32 s10, s10, s12
	s_or_b32 exec_lo, exec_lo, s11
	v_mov_b32_e32 v3, 0
	s_and_saveexec_b32 s11, s10
	s_cbranch_execnz .LBB19_1798
	s_branch .LBB19_1799
.LBB19_2252:
	s_or_b32 s1, s1, exec_lo
	s_trap 2
	s_cbranch_execz .LBB19_1845
	s_branch .LBB19_1846
.LBB19_2253:
	s_and_not1_saveexec_b32 s10, s10
	s_cbranch_execz .LBB19_1810
.LBB19_2254:
	v_add_f32_e64 v1, 0x42800000, |v8|
	s_and_not1_b32 s7, s7, exec_lo
	s_delay_alu instid0(VALU_DEP_1) | instskip(NEXT) | instid1(VALU_DEP_1)
	v_and_b32_e32 v1, 0xff, v1
	v_cmp_ne_u32_e32 vcc_lo, 0, v1
	s_and_b32 s11, vcc_lo, exec_lo
	s_delay_alu instid0(SALU_CYCLE_1)
	s_or_b32 s7, s7, s11
	s_or_b32 exec_lo, exec_lo, s10
	v_mov_b32_e32 v3, 0
	s_and_saveexec_b32 s10, s7
	s_cbranch_execnz .LBB19_1811
	s_branch .LBB19_1812
.LBB19_2255:
	s_and_not1_saveexec_b32 s11, s11
	s_cbranch_execz .LBB19_1961
.LBB19_2256:
	v_add_f32_e64 v1, 0x46000000, |v10|
	s_and_not1_b32 s10, s10, exec_lo
	s_delay_alu instid0(VALU_DEP_1) | instskip(NEXT) | instid1(VALU_DEP_1)
	v_and_b32_e32 v1, 0xff, v1
	v_cmp_ne_u32_e32 vcc_lo, 0, v1
	s_and_b32 s12, vcc_lo, exec_lo
	s_delay_alu instid0(SALU_CYCLE_1)
	s_or_b32 s10, s10, s12
	s_or_b32 exec_lo, exec_lo, s11
	v_mov_b32_e32 v3, 0
	s_and_saveexec_b32 s11, s10
	s_cbranch_execnz .LBB19_1962
	s_branch .LBB19_1963
.LBB19_2257:
	s_or_b32 s1, s1, exec_lo
	s_trap 2
	s_cbranch_execz .LBB19_2009
	s_branch .LBB19_2010
.LBB19_2258:
	s_and_not1_saveexec_b32 s10, s10
	s_cbranch_execz .LBB19_1974
.LBB19_2259:
	v_add_f32_e64 v1, 0x42800000, |v10|
	s_and_not1_b32 s7, s7, exec_lo
	s_delay_alu instid0(VALU_DEP_1) | instskip(NEXT) | instid1(VALU_DEP_1)
	v_and_b32_e32 v1, 0xff, v1
	v_cmp_ne_u32_e32 vcc_lo, 0, v1
	s_and_b32 s11, vcc_lo, exec_lo
	s_delay_alu instid0(SALU_CYCLE_1)
	s_or_b32 s7, s7, s11
	s_or_b32 exec_lo, exec_lo, s10
	v_mov_b32_e32 v3, 0
	s_and_saveexec_b32 s10, s7
	s_cbranch_execnz .LBB19_1975
	s_branch .LBB19_1976
.LBB19_2260:
	s_and_not1_saveexec_b32 s11, s11
	s_cbranch_execz .LBB19_2080
.LBB19_2261:
	v_add_f32_e64 v1, 0x46000000, |v12|
	s_and_not1_b32 s10, s10, exec_lo
	s_delay_alu instid0(VALU_DEP_1) | instskip(NEXT) | instid1(VALU_DEP_1)
	v_and_b32_e32 v1, 0xff, v1
	v_cmp_ne_u32_e32 vcc_lo, 0, v1
	s_and_b32 s12, vcc_lo, exec_lo
	s_delay_alu instid0(SALU_CYCLE_1)
	s_or_b32 s10, s10, s12
	s_or_b32 exec_lo, exec_lo, s11
	v_mov_b32_e32 v4, 0
	s_and_saveexec_b32 s11, s10
	s_cbranch_execnz .LBB19_2081
	s_branch .LBB19_2082
.LBB19_2262:
	s_or_b32 s1, s1, exec_lo
	s_trap 2
	s_cbranch_execz .LBB19_2128
	s_branch .LBB19_2129
.LBB19_2263:
	s_and_not1_saveexec_b32 s10, s10
	s_cbranch_execz .LBB19_2093
.LBB19_2264:
	v_add_f32_e64 v1, 0x42800000, |v12|
	s_and_not1_b32 s7, s7, exec_lo
	s_delay_alu instid0(VALU_DEP_1) | instskip(NEXT) | instid1(VALU_DEP_1)
	v_and_b32_e32 v1, 0xff, v1
	v_cmp_ne_u32_e32 vcc_lo, 0, v1
	s_and_b32 s11, vcc_lo, exec_lo
	s_delay_alu instid0(SALU_CYCLE_1)
	s_or_b32 s7, s7, s11
	s_or_b32 exec_lo, exec_lo, s10
	v_mov_b32_e32 v4, 0
	s_and_saveexec_b32 s10, s7
	s_cbranch_execnz .LBB19_2094
	s_branch .LBB19_2095
.LBB19_2265:
	s_and_not1_saveexec_b32 s7, s7
	s_cbranch_execz .LBB19_2200
.LBB19_2266:
	v_add_f32_e64 v0, 0x46000000, |v14|
	s_and_not1_b32 s5, s5, exec_lo
	s_delay_alu instid0(VALU_DEP_1) | instskip(NEXT) | instid1(VALU_DEP_1)
	v_and_b32_e32 v0, 0xff, v0
	v_cmp_ne_u32_e32 vcc_lo, 0, v0
	s_and_b32 s10, vcc_lo, exec_lo
	s_delay_alu instid0(SALU_CYCLE_1)
	s_or_b32 s5, s5, s10
	s_or_b32 exec_lo, exec_lo, s7
	v_mov_b32_e32 v1, 0
	s_and_saveexec_b32 s7, s5
	s_cbranch_execnz .LBB19_2201
	s_branch .LBB19_2202
.LBB19_2267:
	s_mov_b32 s3, 0
	s_or_b32 s1, s1, exec_lo
	s_trap 2
	s_branch .LBB19_2246
.LBB19_2268:
	s_and_not1_saveexec_b32 s5, s5
	s_cbranch_execz .LBB19_2212
.LBB19_2269:
	v_add_f32_e64 v0, 0x42800000, |v14|
	s_and_not1_b32 s4, s4, exec_lo
	s_delay_alu instid0(VALU_DEP_1) | instskip(NEXT) | instid1(VALU_DEP_1)
	v_and_b32_e32 v0, 0xff, v0
	v_cmp_ne_u32_e32 vcc_lo, 0, v0
	s_and_b32 s7, vcc_lo, exec_lo
	s_delay_alu instid0(SALU_CYCLE_1)
	s_or_b32 s4, s4, s7
	s_or_b32 exec_lo, exec_lo, s5
	v_mov_b32_e32 v1, 0
	s_and_saveexec_b32 s5, s4
	s_cbranch_execnz .LBB19_2213
	s_branch .LBB19_2214
	.section	.rodata,"a",@progbits
	.p2align	6, 0x0
	.amdhsa_kernel _ZN2at6native32elementwise_kernel_manual_unrollILi128ELi4EZNS0_15gpu_kernel_implIZZZNS0_12_GLOBAL__N_130modified_bessel_i1_kernel_cudaERNS_18TensorIteratorBaseEENKUlvE_clEvENKUlvE0_clEvEUlfE_EEvS5_RKT_EUlibE0_EEviT1_
		.amdhsa_group_segment_fixed_size 0
		.amdhsa_private_segment_fixed_size 0
		.amdhsa_kernarg_size 360
		.amdhsa_user_sgpr_count 2
		.amdhsa_user_sgpr_dispatch_ptr 0
		.amdhsa_user_sgpr_queue_ptr 0
		.amdhsa_user_sgpr_kernarg_segment_ptr 1
		.amdhsa_user_sgpr_dispatch_id 0
		.amdhsa_user_sgpr_kernarg_preload_length 0
		.amdhsa_user_sgpr_kernarg_preload_offset 0
		.amdhsa_user_sgpr_private_segment_size 0
		.amdhsa_wavefront_size32 1
		.amdhsa_uses_dynamic_stack 0
		.amdhsa_enable_private_segment 0
		.amdhsa_system_sgpr_workgroup_id_x 1
		.amdhsa_system_sgpr_workgroup_id_y 0
		.amdhsa_system_sgpr_workgroup_id_z 0
		.amdhsa_system_sgpr_workgroup_info 0
		.amdhsa_system_vgpr_workitem_id 0
		.amdhsa_next_free_vgpr 20
		.amdhsa_next_free_sgpr 68
		.amdhsa_named_barrier_count 0
		.amdhsa_reserve_vcc 1
		.amdhsa_float_round_mode_32 0
		.amdhsa_float_round_mode_16_64 0
		.amdhsa_float_denorm_mode_32 3
		.amdhsa_float_denorm_mode_16_64 3
		.amdhsa_fp16_overflow 0
		.amdhsa_memory_ordered 1
		.amdhsa_forward_progress 1
		.amdhsa_inst_pref_size 255
		.amdhsa_round_robin_scheduling 0
		.amdhsa_exception_fp_ieee_invalid_op 0
		.amdhsa_exception_fp_denorm_src 0
		.amdhsa_exception_fp_ieee_div_zero 0
		.amdhsa_exception_fp_ieee_overflow 0
		.amdhsa_exception_fp_ieee_underflow 0
		.amdhsa_exception_fp_ieee_inexact 0
		.amdhsa_exception_int_div_zero 0
	.end_amdhsa_kernel
	.section	.text._ZN2at6native32elementwise_kernel_manual_unrollILi128ELi4EZNS0_15gpu_kernel_implIZZZNS0_12_GLOBAL__N_130modified_bessel_i1_kernel_cudaERNS_18TensorIteratorBaseEENKUlvE_clEvENKUlvE0_clEvEUlfE_EEvS5_RKT_EUlibE0_EEviT1_,"axG",@progbits,_ZN2at6native32elementwise_kernel_manual_unrollILi128ELi4EZNS0_15gpu_kernel_implIZZZNS0_12_GLOBAL__N_130modified_bessel_i1_kernel_cudaERNS_18TensorIteratorBaseEENKUlvE_clEvENKUlvE0_clEvEUlfE_EEvS5_RKT_EUlibE0_EEviT1_,comdat
.Lfunc_end19:
	.size	_ZN2at6native32elementwise_kernel_manual_unrollILi128ELi4EZNS0_15gpu_kernel_implIZZZNS0_12_GLOBAL__N_130modified_bessel_i1_kernel_cudaERNS_18TensorIteratorBaseEENKUlvE_clEvENKUlvE0_clEvEUlfE_EEvS5_RKT_EUlibE0_EEviT1_, .Lfunc_end19-_ZN2at6native32elementwise_kernel_manual_unrollILi128ELi4EZNS0_15gpu_kernel_implIZZZNS0_12_GLOBAL__N_130modified_bessel_i1_kernel_cudaERNS_18TensorIteratorBaseEENKUlvE_clEvENKUlvE0_clEvEUlfE_EEvS5_RKT_EUlibE0_EEviT1_
                                        ; -- End function
	.set _ZN2at6native32elementwise_kernel_manual_unrollILi128ELi4EZNS0_15gpu_kernel_implIZZZNS0_12_GLOBAL__N_130modified_bessel_i1_kernel_cudaERNS_18TensorIteratorBaseEENKUlvE_clEvENKUlvE0_clEvEUlfE_EEvS5_RKT_EUlibE0_EEviT1_.num_vgpr, 20
	.set _ZN2at6native32elementwise_kernel_manual_unrollILi128ELi4EZNS0_15gpu_kernel_implIZZZNS0_12_GLOBAL__N_130modified_bessel_i1_kernel_cudaERNS_18TensorIteratorBaseEENKUlvE_clEvENKUlvE0_clEvEUlfE_EEvS5_RKT_EUlibE0_EEviT1_.num_agpr, 0
	.set _ZN2at6native32elementwise_kernel_manual_unrollILi128ELi4EZNS0_15gpu_kernel_implIZZZNS0_12_GLOBAL__N_130modified_bessel_i1_kernel_cudaERNS_18TensorIteratorBaseEENKUlvE_clEvENKUlvE0_clEvEUlfE_EEvS5_RKT_EUlibE0_EEviT1_.numbered_sgpr, 68
	.set _ZN2at6native32elementwise_kernel_manual_unrollILi128ELi4EZNS0_15gpu_kernel_implIZZZNS0_12_GLOBAL__N_130modified_bessel_i1_kernel_cudaERNS_18TensorIteratorBaseEENKUlvE_clEvENKUlvE0_clEvEUlfE_EEvS5_RKT_EUlibE0_EEviT1_.num_named_barrier, 0
	.set _ZN2at6native32elementwise_kernel_manual_unrollILi128ELi4EZNS0_15gpu_kernel_implIZZZNS0_12_GLOBAL__N_130modified_bessel_i1_kernel_cudaERNS_18TensorIteratorBaseEENKUlvE_clEvENKUlvE0_clEvEUlfE_EEvS5_RKT_EUlibE0_EEviT1_.private_seg_size, 0
	.set _ZN2at6native32elementwise_kernel_manual_unrollILi128ELi4EZNS0_15gpu_kernel_implIZZZNS0_12_GLOBAL__N_130modified_bessel_i1_kernel_cudaERNS_18TensorIteratorBaseEENKUlvE_clEvENKUlvE0_clEvEUlfE_EEvS5_RKT_EUlibE0_EEviT1_.uses_vcc, 1
	.set _ZN2at6native32elementwise_kernel_manual_unrollILi128ELi4EZNS0_15gpu_kernel_implIZZZNS0_12_GLOBAL__N_130modified_bessel_i1_kernel_cudaERNS_18TensorIteratorBaseEENKUlvE_clEvENKUlvE0_clEvEUlfE_EEvS5_RKT_EUlibE0_EEviT1_.uses_flat_scratch, 0
	.set _ZN2at6native32elementwise_kernel_manual_unrollILi128ELi4EZNS0_15gpu_kernel_implIZZZNS0_12_GLOBAL__N_130modified_bessel_i1_kernel_cudaERNS_18TensorIteratorBaseEENKUlvE_clEvENKUlvE0_clEvEUlfE_EEvS5_RKT_EUlibE0_EEviT1_.has_dyn_sized_stack, 0
	.set _ZN2at6native32elementwise_kernel_manual_unrollILi128ELi4EZNS0_15gpu_kernel_implIZZZNS0_12_GLOBAL__N_130modified_bessel_i1_kernel_cudaERNS_18TensorIteratorBaseEENKUlvE_clEvENKUlvE0_clEvEUlfE_EEvS5_RKT_EUlibE0_EEviT1_.has_recursion, 0
	.set _ZN2at6native32elementwise_kernel_manual_unrollILi128ELi4EZNS0_15gpu_kernel_implIZZZNS0_12_GLOBAL__N_130modified_bessel_i1_kernel_cudaERNS_18TensorIteratorBaseEENKUlvE_clEvENKUlvE0_clEvEUlfE_EEvS5_RKT_EUlibE0_EEviT1_.has_indirect_call, 0
	.section	.AMDGPU.csdata,"",@progbits
; Kernel info:
; codeLenInByte = 59452
; TotalNumSgprs: 70
; NumVgprs: 20
; ScratchSize: 0
; MemoryBound: 1
; FloatMode: 240
; IeeeMode: 1
; LDSByteSize: 0 bytes/workgroup (compile time only)
; SGPRBlocks: 0
; VGPRBlocks: 1
; NumSGPRsForWavesPerEU: 70
; NumVGPRsForWavesPerEU: 20
; NamedBarCnt: 0
; Occupancy: 16
; WaveLimiterHint : 1
; COMPUTE_PGM_RSRC2:SCRATCH_EN: 0
; COMPUTE_PGM_RSRC2:USER_SGPR: 2
; COMPUTE_PGM_RSRC2:TRAP_HANDLER: 0
; COMPUTE_PGM_RSRC2:TGID_X_EN: 1
; COMPUTE_PGM_RSRC2:TGID_Y_EN: 0
; COMPUTE_PGM_RSRC2:TGID_Z_EN: 0
; COMPUTE_PGM_RSRC2:TIDIG_COMP_CNT: 0
	.text
	.p2alignl 7, 3214868480
	.fill 96, 4, 3214868480
	.section	.AMDGPU.gpr_maximums,"",@progbits
	.set amdgpu.max_num_vgpr, 32
	.set amdgpu.max_num_agpr, 0
	.set amdgpu.max_num_sgpr, 32
	.text
	.type	__hip_cuid_437624c2f5cd5e25,@object ; @__hip_cuid_437624c2f5cd5e25
	.section	.bss,"aw",@nobits
	.globl	__hip_cuid_437624c2f5cd5e25
__hip_cuid_437624c2f5cd5e25:
	.byte	0                               ; 0x0
	.size	__hip_cuid_437624c2f5cd5e25, 1

	.ident	"AMD clang version 22.0.0git (https://github.com/RadeonOpenCompute/llvm-project roc-7.2.4 26084 f58b06dce1f9c15707c5f808fd002e18c2accf7e)"
	.section	".note.GNU-stack","",@progbits
	.addrsig
	.addrsig_sym __hip_cuid_437624c2f5cd5e25
	.amdgpu_metadata
---
amdhsa.kernels:
  - .args:
      - .offset:         0
        .size:           4
        .value_kind:     by_value
      - .offset:         4
        .size:           1
        .value_kind:     by_value
      - .offset:         8
        .size:           16
        .value_kind:     by_value
    .group_segment_fixed_size: 0
    .kernarg_segment_align: 8
    .kernarg_segment_size: 24
    .language:       OpenCL C
    .language_version:
      - 2
      - 0
    .max_flat_workgroup_size: 256
    .name:           _ZN2at6native29vectorized_elementwise_kernelILi16EZZZNS0_12_GLOBAL__N_130modified_bessel_i1_kernel_cudaERNS_18TensorIteratorBaseEENKUlvE_clEvENKUlvE_clEvEUldE_St5arrayIPcLm2EEEEviT0_T1_
    .private_segment_fixed_size: 0
    .sgpr_count:     35
    .sgpr_spill_count: 0
    .symbol:         _ZN2at6native29vectorized_elementwise_kernelILi16EZZZNS0_12_GLOBAL__N_130modified_bessel_i1_kernel_cudaERNS_18TensorIteratorBaseEENKUlvE_clEvENKUlvE_clEvEUldE_St5arrayIPcLm2EEEEviT0_T1_.kd
    .uniform_work_group_size: 1
    .uses_dynamic_stack: false
    .vgpr_count:     32
    .vgpr_spill_count: 0
    .wavefront_size: 32
  - .args:
      - .offset:         0
        .size:           4
        .value_kind:     by_value
      - .offset:         4
        .size:           1
        .value_kind:     by_value
      - .offset:         8
        .size:           16
        .value_kind:     by_value
    .group_segment_fixed_size: 0
    .kernarg_segment_align: 8
    .kernarg_segment_size: 24
    .language:       OpenCL C
    .language_version:
      - 2
      - 0
    .max_flat_workgroup_size: 256
    .name:           _ZN2at6native29vectorized_elementwise_kernelILi8EZZZNS0_12_GLOBAL__N_130modified_bessel_i1_kernel_cudaERNS_18TensorIteratorBaseEENKUlvE_clEvENKUlvE_clEvEUldE_St5arrayIPcLm2EEEEviT0_T1_
    .private_segment_fixed_size: 0
    .sgpr_count:     35
    .sgpr_spill_count: 0
    .symbol:         _ZN2at6native29vectorized_elementwise_kernelILi8EZZZNS0_12_GLOBAL__N_130modified_bessel_i1_kernel_cudaERNS_18TensorIteratorBaseEENKUlvE_clEvENKUlvE_clEvEUldE_St5arrayIPcLm2EEEEviT0_T1_.kd
    .uniform_work_group_size: 1
    .uses_dynamic_stack: false
    .vgpr_count:     32
    .vgpr_spill_count: 0
    .wavefront_size: 32
  - .args:
      - .offset:         0
        .size:           4
        .value_kind:     by_value
      - .offset:         4
        .size:           1
        .value_kind:     by_value
      - .offset:         8
        .size:           16
        .value_kind:     by_value
    .group_segment_fixed_size: 0
    .kernarg_segment_align: 8
    .kernarg_segment_size: 24
    .language:       OpenCL C
    .language_version:
      - 2
      - 0
    .max_flat_workgroup_size: 256
    .name:           _ZN2at6native29vectorized_elementwise_kernelILi4EZZZNS0_12_GLOBAL__N_130modified_bessel_i1_kernel_cudaERNS_18TensorIteratorBaseEENKUlvE_clEvENKUlvE_clEvEUldE_St5arrayIPcLm2EEEEviT0_T1_
    .private_segment_fixed_size: 0
    .sgpr_count:     35
    .sgpr_spill_count: 0
    .symbol:         _ZN2at6native29vectorized_elementwise_kernelILi4EZZZNS0_12_GLOBAL__N_130modified_bessel_i1_kernel_cudaERNS_18TensorIteratorBaseEENKUlvE_clEvENKUlvE_clEvEUldE_St5arrayIPcLm2EEEEviT0_T1_.kd
    .uniform_work_group_size: 1
    .uses_dynamic_stack: false
    .vgpr_count:     32
    .vgpr_spill_count: 0
    .wavefront_size: 32
  - .args:
      - .offset:         0
        .size:           4
        .value_kind:     by_value
      - .offset:         4
        .size:           1
        .value_kind:     by_value
      - .offset:         8
        .size:           16
        .value_kind:     by_value
    .group_segment_fixed_size: 0
    .kernarg_segment_align: 8
    .kernarg_segment_size: 24
    .language:       OpenCL C
    .language_version:
      - 2
      - 0
    .max_flat_workgroup_size: 256
    .name:           _ZN2at6native29vectorized_elementwise_kernelILi2EZZZNS0_12_GLOBAL__N_130modified_bessel_i1_kernel_cudaERNS_18TensorIteratorBaseEENKUlvE_clEvENKUlvE_clEvEUldE_St5arrayIPcLm2EEEEviT0_T1_
    .private_segment_fixed_size: 0
    .sgpr_count:     35
    .sgpr_spill_count: 0
    .symbol:         _ZN2at6native29vectorized_elementwise_kernelILi2EZZZNS0_12_GLOBAL__N_130modified_bessel_i1_kernel_cudaERNS_18TensorIteratorBaseEENKUlvE_clEvENKUlvE_clEvEUldE_St5arrayIPcLm2EEEEviT0_T1_.kd
    .uniform_work_group_size: 1
    .uses_dynamic_stack: false
    .vgpr_count:     32
    .vgpr_spill_count: 0
    .wavefront_size: 32
  - .args:
      - .offset:         0
        .size:           4
        .value_kind:     by_value
      - .offset:         4
        .size:           1
        .value_kind:     by_value
      - .offset:         8
        .size:           16
        .value_kind:     by_value
      - .offset:         24
        .size:           1
        .value_kind:     by_value
      - .offset:         25
        .size:           1
        .value_kind:     by_value
      - .offset:         26
        .size:           1
        .value_kind:     by_value
      - .offset:         27
        .size:           1
        .value_kind:     by_value
    .group_segment_fixed_size: 0
    .kernarg_segment_align: 8
    .kernarg_segment_size: 28
    .language:       OpenCL C
    .language_version:
      - 2
      - 0
    .max_flat_workgroup_size: 256
    .name:           _ZN2at6native27unrolled_elementwise_kernelIZZZNS0_12_GLOBAL__N_130modified_bessel_i1_kernel_cudaERNS_18TensorIteratorBaseEENKUlvE_clEvENKUlvE_clEvEUldE_St5arrayIPcLm2EELi4E23TrivialOffsetCalculatorILi1EjESC_NS0_6memory15LoadWithoutCastENSD_16StoreWithoutCastEEEviT_T0_T2_T3_T4_T5_
    .private_segment_fixed_size: 0
    .sgpr_count:     35
    .sgpr_spill_count: 0
    .symbol:         _ZN2at6native27unrolled_elementwise_kernelIZZZNS0_12_GLOBAL__N_130modified_bessel_i1_kernel_cudaERNS_18TensorIteratorBaseEENKUlvE_clEvENKUlvE_clEvEUldE_St5arrayIPcLm2EELi4E23TrivialOffsetCalculatorILi1EjESC_NS0_6memory15LoadWithoutCastENSD_16StoreWithoutCastEEEviT_T0_T2_T3_T4_T5_.kd
    .uniform_work_group_size: 1
    .uses_dynamic_stack: false
    .vgpr_count:     32
    .vgpr_spill_count: 0
    .wavefront_size: 32
  - .args:
      - .offset:         0
        .size:           4
        .value_kind:     by_value
      - .offset:         8
        .size:           352
        .value_kind:     by_value
    .group_segment_fixed_size: 0
    .kernarg_segment_align: 8
    .kernarg_segment_size: 360
    .language:       OpenCL C
    .language_version:
      - 2
      - 0
    .max_flat_workgroup_size: 128
    .name:           _ZN2at6native32elementwise_kernel_manual_unrollILi128ELi4EZNS0_22gpu_kernel_impl_nocastIZZZNS0_12_GLOBAL__N_130modified_bessel_i1_kernel_cudaERNS_18TensorIteratorBaseEENKUlvE_clEvENKUlvE_clEvEUldE_EEvS5_RKT_EUlibE_EEviT1_
    .private_segment_fixed_size: 0
    .sgpr_count:     62
    .sgpr_spill_count: 0
    .symbol:         _ZN2at6native32elementwise_kernel_manual_unrollILi128ELi4EZNS0_22gpu_kernel_impl_nocastIZZZNS0_12_GLOBAL__N_130modified_bessel_i1_kernel_cudaERNS_18TensorIteratorBaseEENKUlvE_clEvENKUlvE_clEvEUldE_EEvS5_RKT_EUlibE_EEviT1_.kd
    .uniform_work_group_size: 1
    .uses_dynamic_stack: false
    .vgpr_count:     28
    .vgpr_spill_count: 0
    .wavefront_size: 32
  - .args:
      - .offset:         0
        .size:           4
        .value_kind:     by_value
      - .offset:         8
        .size:           32
        .value_kind:     by_value
    .group_segment_fixed_size: 0
    .kernarg_segment_align: 8
    .kernarg_segment_size: 40
    .language:       OpenCL C
    .language_version:
      - 2
      - 0
    .max_flat_workgroup_size: 128
    .name:           _ZN2at6native32elementwise_kernel_manual_unrollILi128ELi4EZNS0_15gpu_kernel_implIZZZNS0_12_GLOBAL__N_130modified_bessel_i1_kernel_cudaERNS_18TensorIteratorBaseEENKUlvE_clEvENKUlvE_clEvEUldE_EEvS5_RKT_EUlibE_EEviT1_
    .private_segment_fixed_size: 0
    .sgpr_count:     28
    .sgpr_spill_count: 0
    .symbol:         _ZN2at6native32elementwise_kernel_manual_unrollILi128ELi4EZNS0_15gpu_kernel_implIZZZNS0_12_GLOBAL__N_130modified_bessel_i1_kernel_cudaERNS_18TensorIteratorBaseEENKUlvE_clEvENKUlvE_clEvEUldE_EEvS5_RKT_EUlibE_EEviT1_.kd
    .uniform_work_group_size: 1
    .uses_dynamic_stack: false
    .vgpr_count:     22
    .vgpr_spill_count: 0
    .wavefront_size: 32
  - .args:
      - .offset:         0
        .size:           4
        .value_kind:     by_value
      - .offset:         8
        .size:           352
        .value_kind:     by_value
    .group_segment_fixed_size: 0
    .kernarg_segment_align: 8
    .kernarg_segment_size: 360
    .language:       OpenCL C
    .language_version:
      - 2
      - 0
    .max_flat_workgroup_size: 128
    .name:           _ZN2at6native32elementwise_kernel_manual_unrollILi128ELi4EZNS0_15gpu_kernel_implIZZZNS0_12_GLOBAL__N_130modified_bessel_i1_kernel_cudaERNS_18TensorIteratorBaseEENKUlvE_clEvENKUlvE_clEvEUldE_EEvS5_RKT_EUlibE0_EEviT1_
    .private_segment_fixed_size: 0
    .sgpr_count:     70
    .sgpr_spill_count: 0
    .symbol:         _ZN2at6native32elementwise_kernel_manual_unrollILi128ELi4EZNS0_15gpu_kernel_implIZZZNS0_12_GLOBAL__N_130modified_bessel_i1_kernel_cudaERNS_18TensorIteratorBaseEENKUlvE_clEvENKUlvE_clEvEUldE_EEvS5_RKT_EUlibE0_EEviT1_.kd
    .uniform_work_group_size: 1
    .uses_dynamic_stack: false
    .vgpr_count:     28
    .vgpr_spill_count: 0
    .wavefront_size: 32
  - .args:
      - .offset:         0
        .size:           4
        .value_kind:     by_value
      - .offset:         4
        .size:           1
        .value_kind:     by_value
      - .offset:         8
        .size:           16
        .value_kind:     by_value
    .group_segment_fixed_size: 0
    .kernarg_segment_align: 8
    .kernarg_segment_size: 24
    .language:       OpenCL C
    .language_version:
      - 2
      - 0
    .max_flat_workgroup_size: 256
    .name:           _ZN2at6native29vectorized_elementwise_kernelILi16EZZZNS0_12_GLOBAL__N_130modified_bessel_i1_kernel_cudaERNS_18TensorIteratorBaseEENKUlvE_clEvENKUlvE0_clEvEUlfE_St5arrayIPcLm2EEEEviT0_T1_
    .private_segment_fixed_size: 0
    .sgpr_count:     35
    .sgpr_spill_count: 0
    .symbol:         _ZN2at6native29vectorized_elementwise_kernelILi16EZZZNS0_12_GLOBAL__N_130modified_bessel_i1_kernel_cudaERNS_18TensorIteratorBaseEENKUlvE_clEvENKUlvE0_clEvEUlfE_St5arrayIPcLm2EEEEviT0_T1_.kd
    .uniform_work_group_size: 1
    .uses_dynamic_stack: false
    .vgpr_count:     32
    .vgpr_spill_count: 0
    .wavefront_size: 32
  - .args:
      - .offset:         0
        .size:           4
        .value_kind:     by_value
      - .offset:         4
        .size:           1
        .value_kind:     by_value
      - .offset:         8
        .size:           16
        .value_kind:     by_value
    .group_segment_fixed_size: 0
    .kernarg_segment_align: 8
    .kernarg_segment_size: 24
    .language:       OpenCL C
    .language_version:
      - 2
      - 0
    .max_flat_workgroup_size: 256
    .name:           _ZN2at6native29vectorized_elementwise_kernelILi8EZZZNS0_12_GLOBAL__N_130modified_bessel_i1_kernel_cudaERNS_18TensorIteratorBaseEENKUlvE_clEvENKUlvE0_clEvEUlfE_St5arrayIPcLm2EEEEviT0_T1_
    .private_segment_fixed_size: 0
    .sgpr_count:     35
    .sgpr_spill_count: 0
    .symbol:         _ZN2at6native29vectorized_elementwise_kernelILi8EZZZNS0_12_GLOBAL__N_130modified_bessel_i1_kernel_cudaERNS_18TensorIteratorBaseEENKUlvE_clEvENKUlvE0_clEvEUlfE_St5arrayIPcLm2EEEEviT0_T1_.kd
    .uniform_work_group_size: 1
    .uses_dynamic_stack: false
    .vgpr_count:     32
    .vgpr_spill_count: 0
    .wavefront_size: 32
  - .args:
      - .offset:         0
        .size:           4
        .value_kind:     by_value
      - .offset:         4
        .size:           1
        .value_kind:     by_value
      - .offset:         8
        .size:           16
        .value_kind:     by_value
    .group_segment_fixed_size: 0
    .kernarg_segment_align: 8
    .kernarg_segment_size: 24
    .language:       OpenCL C
    .language_version:
      - 2
      - 0
    .max_flat_workgroup_size: 256
    .name:           _ZN2at6native29vectorized_elementwise_kernelILi4EZZZNS0_12_GLOBAL__N_130modified_bessel_i1_kernel_cudaERNS_18TensorIteratorBaseEENKUlvE_clEvENKUlvE0_clEvEUlfE_St5arrayIPcLm2EEEEviT0_T1_
    .private_segment_fixed_size: 0
    .sgpr_count:     35
    .sgpr_spill_count: 0
    .symbol:         _ZN2at6native29vectorized_elementwise_kernelILi4EZZZNS0_12_GLOBAL__N_130modified_bessel_i1_kernel_cudaERNS_18TensorIteratorBaseEENKUlvE_clEvENKUlvE0_clEvEUlfE_St5arrayIPcLm2EEEEviT0_T1_.kd
    .uniform_work_group_size: 1
    .uses_dynamic_stack: false
    .vgpr_count:     32
    .vgpr_spill_count: 0
    .wavefront_size: 32
  - .args:
      - .offset:         0
        .size:           4
        .value_kind:     by_value
      - .offset:         4
        .size:           1
        .value_kind:     by_value
      - .offset:         8
        .size:           16
        .value_kind:     by_value
    .group_segment_fixed_size: 0
    .kernarg_segment_align: 8
    .kernarg_segment_size: 24
    .language:       OpenCL C
    .language_version:
      - 2
      - 0
    .max_flat_workgroup_size: 256
    .name:           _ZN2at6native29vectorized_elementwise_kernelILi2EZZZNS0_12_GLOBAL__N_130modified_bessel_i1_kernel_cudaERNS_18TensorIteratorBaseEENKUlvE_clEvENKUlvE0_clEvEUlfE_St5arrayIPcLm2EEEEviT0_T1_
    .private_segment_fixed_size: 0
    .sgpr_count:     35
    .sgpr_spill_count: 0
    .symbol:         _ZN2at6native29vectorized_elementwise_kernelILi2EZZZNS0_12_GLOBAL__N_130modified_bessel_i1_kernel_cudaERNS_18TensorIteratorBaseEENKUlvE_clEvENKUlvE0_clEvEUlfE_St5arrayIPcLm2EEEEviT0_T1_.kd
    .uniform_work_group_size: 1
    .uses_dynamic_stack: false
    .vgpr_count:     32
    .vgpr_spill_count: 0
    .wavefront_size: 32
  - .args:
      - .offset:         0
        .size:           4
        .value_kind:     by_value
      - .offset:         4
        .size:           1
        .value_kind:     by_value
      - .offset:         8
        .size:           16
        .value_kind:     by_value
      - .offset:         24
        .size:           1
        .value_kind:     by_value
      - .offset:         25
        .size:           1
        .value_kind:     by_value
      - .offset:         26
        .size:           1
        .value_kind:     by_value
      - .offset:         27
        .size:           1
        .value_kind:     by_value
    .group_segment_fixed_size: 0
    .kernarg_segment_align: 8
    .kernarg_segment_size: 28
    .language:       OpenCL C
    .language_version:
      - 2
      - 0
    .max_flat_workgroup_size: 256
    .name:           _ZN2at6native27unrolled_elementwise_kernelIZZZNS0_12_GLOBAL__N_130modified_bessel_i1_kernel_cudaERNS_18TensorIteratorBaseEENKUlvE_clEvENKUlvE0_clEvEUlfE_St5arrayIPcLm2EELi4E23TrivialOffsetCalculatorILi1EjESC_NS0_6memory15LoadWithoutCastENSD_16StoreWithoutCastEEEviT_T0_T2_T3_T4_T5_
    .private_segment_fixed_size: 0
    .sgpr_count:     35
    .sgpr_spill_count: 0
    .symbol:         _ZN2at6native27unrolled_elementwise_kernelIZZZNS0_12_GLOBAL__N_130modified_bessel_i1_kernel_cudaERNS_18TensorIteratorBaseEENKUlvE_clEvENKUlvE0_clEvEUlfE_St5arrayIPcLm2EELi4E23TrivialOffsetCalculatorILi1EjESC_NS0_6memory15LoadWithoutCastENSD_16StoreWithoutCastEEEviT_T0_T2_T3_T4_T5_.kd
    .uniform_work_group_size: 1
    .uses_dynamic_stack: false
    .vgpr_count:     32
    .vgpr_spill_count: 0
    .wavefront_size: 32
  - .args:
      - .offset:         0
        .size:           4
        .value_kind:     by_value
      - .offset:         8
        .size:           352
        .value_kind:     by_value
    .group_segment_fixed_size: 0
    .kernarg_segment_align: 8
    .kernarg_segment_size: 360
    .language:       OpenCL C
    .language_version:
      - 2
      - 0
    .max_flat_workgroup_size: 128
    .name:           _ZN2at6native32elementwise_kernel_manual_unrollILi128ELi4EZNS0_22gpu_kernel_impl_nocastIZZZNS0_12_GLOBAL__N_130modified_bessel_i1_kernel_cudaERNS_18TensorIteratorBaseEENKUlvE_clEvENKUlvE0_clEvEUlfE_EEvS5_RKT_EUlibE_EEviT1_
    .private_segment_fixed_size: 0
    .sgpr_count:     62
    .sgpr_spill_count: 0
    .symbol:         _ZN2at6native32elementwise_kernel_manual_unrollILi128ELi4EZNS0_22gpu_kernel_impl_nocastIZZZNS0_12_GLOBAL__N_130modified_bessel_i1_kernel_cudaERNS_18TensorIteratorBaseEENKUlvE_clEvENKUlvE0_clEvEUlfE_EEvS5_RKT_EUlibE_EEviT1_.kd
    .uniform_work_group_size: 1
    .uses_dynamic_stack: false
    .vgpr_count:     15
    .vgpr_spill_count: 0
    .wavefront_size: 32
  - .args:
      - .offset:         0
        .size:           4
        .value_kind:     by_value
      - .offset:         8
        .size:           32
        .value_kind:     by_value
    .group_segment_fixed_size: 0
    .kernarg_segment_align: 8
    .kernarg_segment_size: 40
    .language:       OpenCL C
    .language_version:
      - 2
      - 0
    .max_flat_workgroup_size: 128
    .name:           _ZN2at6native32elementwise_kernel_manual_unrollILi128ELi4EZNS0_15gpu_kernel_implIZZZNS0_12_GLOBAL__N_130modified_bessel_i1_kernel_cudaERNS_18TensorIteratorBaseEENKUlvE_clEvENKUlvE0_clEvEUlfE_EEvS5_RKT_EUlibE_EEviT1_
    .private_segment_fixed_size: 0
    .sgpr_count:     28
    .sgpr_spill_count: 0
    .symbol:         _ZN2at6native32elementwise_kernel_manual_unrollILi128ELi4EZNS0_15gpu_kernel_implIZZZNS0_12_GLOBAL__N_130modified_bessel_i1_kernel_cudaERNS_18TensorIteratorBaseEENKUlvE_clEvENKUlvE0_clEvEUlfE_EEvS5_RKT_EUlibE_EEviT1_.kd
    .uniform_work_group_size: 1
    .uses_dynamic_stack: false
    .vgpr_count:     16
    .vgpr_spill_count: 0
    .wavefront_size: 32
  - .args:
      - .offset:         0
        .size:           4
        .value_kind:     by_value
      - .offset:         8
        .size:           352
        .value_kind:     by_value
    .group_segment_fixed_size: 0
    .kernarg_segment_align: 8
    .kernarg_segment_size: 360
    .language:       OpenCL C
    .language_version:
      - 2
      - 0
    .max_flat_workgroup_size: 128
    .name:           _ZN2at6native32elementwise_kernel_manual_unrollILi128ELi4EZNS0_15gpu_kernel_implIZZZNS0_12_GLOBAL__N_130modified_bessel_i1_kernel_cudaERNS_18TensorIteratorBaseEENKUlvE_clEvENKUlvE0_clEvEUlfE_EEvS5_RKT_EUlibE0_EEviT1_
    .private_segment_fixed_size: 0
    .sgpr_count:     70
    .sgpr_spill_count: 0
    .symbol:         _ZN2at6native32elementwise_kernel_manual_unrollILi128ELi4EZNS0_15gpu_kernel_implIZZZNS0_12_GLOBAL__N_130modified_bessel_i1_kernel_cudaERNS_18TensorIteratorBaseEENKUlvE_clEvENKUlvE0_clEvEUlfE_EEvS5_RKT_EUlibE0_EEviT1_.kd
    .uniform_work_group_size: 1
    .uses_dynamic_stack: false
    .vgpr_count:     20
    .vgpr_spill_count: 0
    .wavefront_size: 32
amdhsa.target:   amdgcn-amd-amdhsa--gfx1250
amdhsa.version:
  - 1
  - 2
...

	.end_amdgpu_metadata
